;; amdgpu-corpus repo=ROCm/rccl kind=compiled arch=gfx1250 opt=O3
	.amdgcn_target "amdgcn-amd-amdhsa--gfx1250"
	.amdhsa_code_object_version 6
	.text
	.p2align	2                               ; -- Begin function __ockl_fprintf_append_string_n
	.type	__ockl_fprintf_append_string_n,@function
__ockl_fprintf_append_string_n:         ; @__ockl_fprintf_append_string_n
; %bb.0:
	s_wait_loadcnt_dscnt 0x0
	s_wait_kmcnt 0x0
	v_or_b32_e32 v2, 2, v0
	v_cmp_eq_u32_e32 vcc_lo, 0, v6
	v_mbcnt_lo_u32_b32 v30, -1, 0
	s_get_pc_i64 s[0:1]
	s_add_nc_u64 s[0:1], s[0:1], .str.3@rel64+4
	s_mov_b32 s6, 0
	s_cmp_lg_u64 s[0:1], 0
	v_cndmask_b32_e32 v3, v2, v0, vcc_lo
	s_cbranch_scc0 .LBB0_113
; %bb.1:
	s_load_b64 s[2:3], s[8:9], 0x50
	s_delay_alu instid0(VALU_DEP_1) | instskip(SKIP_3) | instid1(VALU_DEP_4)
	v_dual_mov_b32 v7, 0 :: v_dual_bitop2_b32 v0, -3, v3 bitop3:0x40
	v_mov_b64_e32 v[8:9], 0x100000002
	v_mov_b64_e32 v[32:33], s[0:1]
	v_and_b32_e32 v2, 2, v3
	v_mov_b64_e32 v[10:11], v[0:1]
	s_mov_b32 s7, 0
	s_branch .LBB0_3
.LBB0_2:                                ;   in Loop: Header=BB0_3 Depth=1
	s_or_b32 exec_lo, exec_lo, s10
	v_sub_nc_u64_e32 v[4:5], v[4:5], v[34:35]
	v_add_nc_u64_e32 v[32:33], v[32:33], v[34:35]
	s_delay_alu instid0(VALU_DEP_2) | instskip(SKIP_1) | instid1(SALU_CYCLE_1)
	v_cmp_eq_u64_e32 vcc_lo, 0, v[4:5]
	s_or_b32 s7, vcc_lo, s7
	s_and_not1_b32 exec_lo, exec_lo, s7
	s_cbranch_execz .LBB0_85
.LBB0_3:                                ; =>This Loop Header: Depth=1
                                        ;     Child Loop BB0_6 Depth 2
                                        ;     Child Loop BB0_14 Depth 2
	;; [unrolled: 1-line block ×11, first 2 shown]
	v_min_u64 v[34:35], v[4:5], 56
	s_delay_alu instid0(VALU_DEP_3)
	v_add_nc_u64_e32 v[16:17], 8, v[32:33]
	s_mov_b32 s0, exec_lo
	v_cmpx_gt_u64_e32 8, v[4:5]
	s_xor_b32 s4, exec_lo, s0
	s_cbranch_execz .LBB0_9
; %bb.4:                                ;   in Loop: Header=BB0_3 Depth=1
	s_wait_loadcnt 0x0
	v_mov_b64_e32 v[12:13], 0
	s_mov_b32 s5, exec_lo
	v_cmpx_ne_u64_e32 0, v[4:5]
	s_cbranch_execz .LBB0_8
; %bb.5:                                ;   in Loop: Header=BB0_3 Depth=1
	v_mov_b64_e32 v[12:13], 0
	v_mov_b64_e32 v[14:15], v[32:33]
	v_lshlrev_b32_e32 v0, 3, v34
	s_mov_b64 s[0:1], 0
	s_mov_b32 s10, 0
.LBB0_6:                                ;   Parent Loop BB0_3 Depth=1
                                        ; =>  This Inner Loop Header: Depth=2
	global_load_u8 v6, v[14:15], off
	v_mov_b32_e32 v17, s6
	s_wait_xcnt 0x0
	v_add_nc_u64_e32 v[14:15], 1, v[14:15]
	s_wait_loadcnt 0x0
	v_and_b32_e32 v16, 0xffff, v6
	s_delay_alu instid0(VALU_DEP_1) | instskip(SKIP_1) | instid1(SALU_CYCLE_1)
	v_lshlrev_b64_e32 v[16:17], s0, v[16:17]
	s_add_nc_u64 s[0:1], s[0:1], 8
	v_cmp_eq_u32_e32 vcc_lo, s0, v0
	s_delay_alu instid0(VALU_DEP_2) | instskip(NEXT) | instid1(VALU_DEP_3)
	v_or_b32_e32 v13, v17, v13
	v_or_b32_e32 v12, v16, v12
	s_or_b32 s10, vcc_lo, s10
	s_delay_alu instid0(SALU_CYCLE_1)
	s_and_not1_b32 exec_lo, exec_lo, s10
	s_cbranch_execnz .LBB0_6
; %bb.7:                                ;   in Loop: Header=BB0_3 Depth=1
	s_or_b32 exec_lo, exec_lo, s10
.LBB0_8:                                ;   in Loop: Header=BB0_3 Depth=1
	s_delay_alu instid0(SALU_CYCLE_1)
	s_or_b32 exec_lo, exec_lo, s5
	v_mov_b64_e32 v[16:17], v[32:33]
.LBB0_9:                                ;   in Loop: Header=BB0_3 Depth=1
	s_or_saveexec_b32 s0, s4
	v_mov_b32_e32 v0, 0
	s_xor_b32 exec_lo, exec_lo, s0
	s_cbranch_execz .LBB0_11
; %bb.10:                               ;   in Loop: Header=BB0_3 Depth=1
	s_wait_loadcnt 0x0
	global_load_b64 v[12:13], v[32:33], off
	v_add_nc_u32_e32 v0, -8, v34
.LBB0_11:                               ;   in Loop: Header=BB0_3 Depth=1
	s_wait_xcnt 0x0
	s_or_b32 exec_lo, exec_lo, s0
	v_add_nc_u64_e32 v[18:19], 8, v[16:17]
                                        ; implicit-def: $vgpr14_vgpr15
	s_mov_b32 s0, exec_lo
	v_cmpx_gt_u32_e32 8, v0
	s_xor_b32 s10, exec_lo, s0
	s_cbranch_execz .LBB0_17
; %bb.12:                               ;   in Loop: Header=BB0_3 Depth=1
	v_mov_b64_e32 v[14:15], 0
	s_mov_b32 s11, exec_lo
	v_cmpx_ne_u32_e32 0, v0
	s_cbranch_execz .LBB0_16
; %bb.13:                               ;   in Loop: Header=BB0_3 Depth=1
	v_mov_b64_e32 v[14:15], 0
	s_mov_b64 s[0:1], 0
	s_mov_b32 s12, 0
	s_mov_b64 s[4:5], 0
.LBB0_14:                               ;   Parent Loop BB0_3 Depth=1
                                        ; =>  This Inner Loop Header: Depth=2
	s_delay_alu instid0(SALU_CYCLE_1) | instskip(SKIP_1) | instid1(SALU_CYCLE_1)
	v_add_nc_u64_e32 v[18:19], s[4:5], v[16:17]
	s_add_nc_u64 s[4:5], s[4:5], 1
	v_cmp_eq_u32_e32 vcc_lo, s4, v0
	global_load_u8 v6, v[18:19], off
	s_wait_xcnt 0x0
	v_mov_b32_e32 v19, s6
	s_or_b32 s12, vcc_lo, s12
	s_wait_loadcnt 0x0
	v_and_b32_e32 v18, 0xffff, v6
	s_delay_alu instid0(VALU_DEP_1) | instskip(SKIP_1) | instid1(VALU_DEP_1)
	v_lshlrev_b64_e32 v[18:19], s0, v[18:19]
	s_add_nc_u64 s[0:1], s[0:1], 8
	v_or_b32_e32 v15, v19, v15
	s_delay_alu instid0(VALU_DEP_2)
	v_or_b32_e32 v14, v18, v14
	s_and_not1_b32 exec_lo, exec_lo, s12
	s_cbranch_execnz .LBB0_14
; %bb.15:                               ;   in Loop: Header=BB0_3 Depth=1
	s_or_b32 exec_lo, exec_lo, s12
.LBB0_16:                               ;   in Loop: Header=BB0_3 Depth=1
	s_delay_alu instid0(SALU_CYCLE_1)
	s_or_b32 exec_lo, exec_lo, s11
	v_mov_b64_e32 v[18:19], v[16:17]
                                        ; implicit-def: $vgpr0
.LBB0_17:                               ;   in Loop: Header=BB0_3 Depth=1
	s_or_saveexec_b32 s0, s10
	v_mov_b32_e32 v6, 0
	s_xor_b32 exec_lo, exec_lo, s0
	s_cbranch_execz .LBB0_19
; %bb.18:                               ;   in Loop: Header=BB0_3 Depth=1
	global_load_b64 v[14:15], v[16:17], off
	v_add_nc_u32_e32 v6, -8, v0
.LBB0_19:                               ;   in Loop: Header=BB0_3 Depth=1
	s_wait_xcnt 0x0
	s_or_b32 exec_lo, exec_lo, s0
	v_add_nc_u64_e32 v[20:21], 8, v[18:19]
	s_mov_b32 s0, exec_lo
	v_cmpx_gt_u32_e32 8, v6
	s_xor_b32 s10, exec_lo, s0
	s_cbranch_execz .LBB0_25
; %bb.20:                               ;   in Loop: Header=BB0_3 Depth=1
	v_mov_b64_e32 v[16:17], 0
	s_mov_b32 s11, exec_lo
	v_cmpx_ne_u32_e32 0, v6
	s_cbranch_execz .LBB0_24
; %bb.21:                               ;   in Loop: Header=BB0_3 Depth=1
	v_mov_b64_e32 v[16:17], 0
	s_mov_b64 s[0:1], 0
	s_mov_b32 s12, 0
	s_mov_b64 s[4:5], 0
.LBB0_22:                               ;   Parent Loop BB0_3 Depth=1
                                        ; =>  This Inner Loop Header: Depth=2
	s_delay_alu instid0(SALU_CYCLE_1) | instskip(SKIP_1) | instid1(SALU_CYCLE_1)
	v_add_nc_u64_e32 v[20:21], s[4:5], v[18:19]
	s_add_nc_u64 s[4:5], s[4:5], 1
	v_cmp_eq_u32_e32 vcc_lo, s4, v6
	global_load_u8 v0, v[20:21], off
	s_wait_xcnt 0x0
	v_mov_b32_e32 v21, s6
	s_or_b32 s12, vcc_lo, s12
	s_wait_loadcnt 0x0
	v_and_b32_e32 v20, 0xffff, v0
	s_delay_alu instid0(VALU_DEP_1) | instskip(SKIP_1) | instid1(VALU_DEP_1)
	v_lshlrev_b64_e32 v[20:21], s0, v[20:21]
	s_add_nc_u64 s[0:1], s[0:1], 8
	v_or_b32_e32 v17, v21, v17
	s_delay_alu instid0(VALU_DEP_2)
	v_or_b32_e32 v16, v20, v16
	s_and_not1_b32 exec_lo, exec_lo, s12
	s_cbranch_execnz .LBB0_22
; %bb.23:                               ;   in Loop: Header=BB0_3 Depth=1
	s_or_b32 exec_lo, exec_lo, s12
.LBB0_24:                               ;   in Loop: Header=BB0_3 Depth=1
	s_delay_alu instid0(SALU_CYCLE_1)
	s_or_b32 exec_lo, exec_lo, s11
	v_mov_b64_e32 v[20:21], v[18:19]
                                        ; implicit-def: $vgpr6
.LBB0_25:                               ;   in Loop: Header=BB0_3 Depth=1
	s_or_saveexec_b32 s0, s10
	v_mov_b32_e32 v0, 0
	s_xor_b32 exec_lo, exec_lo, s0
	s_cbranch_execz .LBB0_27
; %bb.26:                               ;   in Loop: Header=BB0_3 Depth=1
	global_load_b64 v[16:17], v[18:19], off
	v_add_nc_u32_e32 v0, -8, v6
.LBB0_27:                               ;   in Loop: Header=BB0_3 Depth=1
	s_wait_xcnt 0x0
	s_or_b32 exec_lo, exec_lo, s0
	v_add_nc_u64_e32 v[22:23], 8, v[20:21]
                                        ; implicit-def: $vgpr18_vgpr19
	s_mov_b32 s0, exec_lo
	v_cmpx_gt_u32_e32 8, v0
	s_xor_b32 s10, exec_lo, s0
	s_cbranch_execz .LBB0_33
; %bb.28:                               ;   in Loop: Header=BB0_3 Depth=1
	v_mov_b64_e32 v[18:19], 0
	s_mov_b32 s11, exec_lo
	v_cmpx_ne_u32_e32 0, v0
	s_cbranch_execz .LBB0_32
; %bb.29:                               ;   in Loop: Header=BB0_3 Depth=1
	v_mov_b64_e32 v[18:19], 0
	s_mov_b64 s[0:1], 0
	s_mov_b32 s12, 0
	s_mov_b64 s[4:5], 0
.LBB0_30:                               ;   Parent Loop BB0_3 Depth=1
                                        ; =>  This Inner Loop Header: Depth=2
	s_delay_alu instid0(SALU_CYCLE_1) | instskip(SKIP_1) | instid1(SALU_CYCLE_1)
	v_add_nc_u64_e32 v[22:23], s[4:5], v[20:21]
	s_add_nc_u64 s[4:5], s[4:5], 1
	v_cmp_eq_u32_e32 vcc_lo, s4, v0
	global_load_u8 v6, v[22:23], off
	s_wait_xcnt 0x0
	v_mov_b32_e32 v23, s6
	s_or_b32 s12, vcc_lo, s12
	s_wait_loadcnt 0x0
	v_and_b32_e32 v22, 0xffff, v6
	s_delay_alu instid0(VALU_DEP_1) | instskip(SKIP_1) | instid1(VALU_DEP_1)
	v_lshlrev_b64_e32 v[22:23], s0, v[22:23]
	s_add_nc_u64 s[0:1], s[0:1], 8
	v_or_b32_e32 v19, v23, v19
	s_delay_alu instid0(VALU_DEP_2)
	v_or_b32_e32 v18, v22, v18
	s_and_not1_b32 exec_lo, exec_lo, s12
	s_cbranch_execnz .LBB0_30
; %bb.31:                               ;   in Loop: Header=BB0_3 Depth=1
	s_or_b32 exec_lo, exec_lo, s12
.LBB0_32:                               ;   in Loop: Header=BB0_3 Depth=1
	s_delay_alu instid0(SALU_CYCLE_1)
	s_or_b32 exec_lo, exec_lo, s11
	v_mov_b64_e32 v[22:23], v[20:21]
                                        ; implicit-def: $vgpr0
.LBB0_33:                               ;   in Loop: Header=BB0_3 Depth=1
	s_or_saveexec_b32 s0, s10
	v_mov_b32_e32 v6, 0
	s_xor_b32 exec_lo, exec_lo, s0
	s_cbranch_execz .LBB0_35
; %bb.34:                               ;   in Loop: Header=BB0_3 Depth=1
	global_load_b64 v[18:19], v[20:21], off
	v_add_nc_u32_e32 v6, -8, v0
.LBB0_35:                               ;   in Loop: Header=BB0_3 Depth=1
	s_wait_xcnt 0x0
	s_or_b32 exec_lo, exec_lo, s0
	v_add_nc_u64_e32 v[24:25], 8, v[22:23]
	s_mov_b32 s0, exec_lo
	v_cmpx_gt_u32_e32 8, v6
	s_xor_b32 s10, exec_lo, s0
	s_cbranch_execz .LBB0_41
; %bb.36:                               ;   in Loop: Header=BB0_3 Depth=1
	v_mov_b64_e32 v[20:21], 0
	s_mov_b32 s11, exec_lo
	v_cmpx_ne_u32_e32 0, v6
	s_cbranch_execz .LBB0_40
; %bb.37:                               ;   in Loop: Header=BB0_3 Depth=1
	v_mov_b64_e32 v[20:21], 0
	s_mov_b64 s[0:1], 0
	s_mov_b32 s12, 0
	s_mov_b64 s[4:5], 0
.LBB0_38:                               ;   Parent Loop BB0_3 Depth=1
                                        ; =>  This Inner Loop Header: Depth=2
	s_delay_alu instid0(SALU_CYCLE_1) | instskip(SKIP_1) | instid1(SALU_CYCLE_1)
	v_add_nc_u64_e32 v[24:25], s[4:5], v[22:23]
	s_add_nc_u64 s[4:5], s[4:5], 1
	v_cmp_eq_u32_e32 vcc_lo, s4, v6
	global_load_u8 v0, v[24:25], off
	s_wait_xcnt 0x0
	v_mov_b32_e32 v25, s6
	s_or_b32 s12, vcc_lo, s12
	s_wait_loadcnt 0x0
	v_and_b32_e32 v24, 0xffff, v0
	s_delay_alu instid0(VALU_DEP_1) | instskip(SKIP_1) | instid1(VALU_DEP_1)
	v_lshlrev_b64_e32 v[24:25], s0, v[24:25]
	s_add_nc_u64 s[0:1], s[0:1], 8
	v_or_b32_e32 v21, v25, v21
	s_delay_alu instid0(VALU_DEP_2)
	v_or_b32_e32 v20, v24, v20
	s_and_not1_b32 exec_lo, exec_lo, s12
	s_cbranch_execnz .LBB0_38
; %bb.39:                               ;   in Loop: Header=BB0_3 Depth=1
	s_or_b32 exec_lo, exec_lo, s12
.LBB0_40:                               ;   in Loop: Header=BB0_3 Depth=1
	s_delay_alu instid0(SALU_CYCLE_1)
	s_or_b32 exec_lo, exec_lo, s11
	v_mov_b64_e32 v[24:25], v[22:23]
                                        ; implicit-def: $vgpr6
.LBB0_41:                               ;   in Loop: Header=BB0_3 Depth=1
	s_or_saveexec_b32 s0, s10
	v_mov_b32_e32 v0, 0
	s_xor_b32 exec_lo, exec_lo, s0
	s_cbranch_execz .LBB0_43
; %bb.42:                               ;   in Loop: Header=BB0_3 Depth=1
	global_load_b64 v[20:21], v[22:23], off
	v_add_nc_u32_e32 v0, -8, v6
.LBB0_43:                               ;   in Loop: Header=BB0_3 Depth=1
	s_wait_xcnt 0x0
	s_or_b32 exec_lo, exec_lo, s0
	v_add_nc_u64_e32 v[26:27], 8, v[24:25]
                                        ; implicit-def: $vgpr22_vgpr23
	s_mov_b32 s0, exec_lo
	v_cmpx_gt_u32_e32 8, v0
	s_xor_b32 s10, exec_lo, s0
	s_cbranch_execz .LBB0_49
; %bb.44:                               ;   in Loop: Header=BB0_3 Depth=1
	v_mov_b64_e32 v[22:23], 0
	s_mov_b32 s11, exec_lo
	v_cmpx_ne_u32_e32 0, v0
	s_cbranch_execz .LBB0_48
; %bb.45:                               ;   in Loop: Header=BB0_3 Depth=1
	v_mov_b64_e32 v[22:23], 0
	s_mov_b64 s[0:1], 0
	s_mov_b32 s12, 0
	s_mov_b64 s[4:5], 0
.LBB0_46:                               ;   Parent Loop BB0_3 Depth=1
                                        ; =>  This Inner Loop Header: Depth=2
	s_delay_alu instid0(SALU_CYCLE_1) | instskip(SKIP_1) | instid1(SALU_CYCLE_1)
	v_add_nc_u64_e32 v[26:27], s[4:5], v[24:25]
	s_add_nc_u64 s[4:5], s[4:5], 1
	v_cmp_eq_u32_e32 vcc_lo, s4, v0
	global_load_u8 v6, v[26:27], off
	s_wait_xcnt 0x0
	v_mov_b32_e32 v27, s6
	s_or_b32 s12, vcc_lo, s12
	s_wait_loadcnt 0x0
	v_and_b32_e32 v26, 0xffff, v6
	s_delay_alu instid0(VALU_DEP_1) | instskip(SKIP_1) | instid1(VALU_DEP_1)
	v_lshlrev_b64_e32 v[26:27], s0, v[26:27]
	s_add_nc_u64 s[0:1], s[0:1], 8
	v_or_b32_e32 v23, v27, v23
	s_delay_alu instid0(VALU_DEP_2)
	v_or_b32_e32 v22, v26, v22
	s_and_not1_b32 exec_lo, exec_lo, s12
	s_cbranch_execnz .LBB0_46
; %bb.47:                               ;   in Loop: Header=BB0_3 Depth=1
	s_or_b32 exec_lo, exec_lo, s12
.LBB0_48:                               ;   in Loop: Header=BB0_3 Depth=1
	s_delay_alu instid0(SALU_CYCLE_1)
	s_or_b32 exec_lo, exec_lo, s11
	v_mov_b64_e32 v[26:27], v[24:25]
                                        ; implicit-def: $vgpr0
.LBB0_49:                               ;   in Loop: Header=BB0_3 Depth=1
	s_or_saveexec_b32 s0, s10
	v_mov_b32_e32 v6, 0
	s_xor_b32 exec_lo, exec_lo, s0
	s_cbranch_execz .LBB0_51
; %bb.50:                               ;   in Loop: Header=BB0_3 Depth=1
	global_load_b64 v[22:23], v[24:25], off
	v_add_nc_u32_e32 v6, -8, v0
.LBB0_51:                               ;   in Loop: Header=BB0_3 Depth=1
	s_wait_xcnt 0x0
	s_or_b32 exec_lo, exec_lo, s0
	s_delay_alu instid0(SALU_CYCLE_1) | instskip(NEXT) | instid1(VALU_DEP_1)
	s_mov_b32 s0, exec_lo
	v_cmpx_gt_u32_e32 8, v6
	s_xor_b32 s4, exec_lo, s0
	s_cbranch_execz .LBB0_57
; %bb.52:                               ;   in Loop: Header=BB0_3 Depth=1
	v_mov_b64_e32 v[24:25], 0
	s_mov_b32 s5, exec_lo
	v_cmpx_ne_u32_e32 0, v6
	s_cbranch_execz .LBB0_56
; %bb.53:                               ;   in Loop: Header=BB0_3 Depth=1
	v_mov_b64_e32 v[24:25], 0
	s_mov_b64 s[0:1], 0
	s_mov_b32 s10, 0
.LBB0_54:                               ;   Parent Loop BB0_3 Depth=1
                                        ; =>  This Inner Loop Header: Depth=2
	global_load_u8 v0, v[26:27], off
	v_dual_mov_b32 v29, s6 :: v_dual_add_nc_u32 v6, -1, v6
	s_wait_xcnt 0x0
	v_add_nc_u64_e32 v[26:27], 1, v[26:27]
	s_delay_alu instid0(VALU_DEP_2) | instskip(SKIP_3) | instid1(VALU_DEP_1)
	v_cmp_eq_u32_e32 vcc_lo, 0, v6
	s_or_b32 s10, vcc_lo, s10
	s_wait_loadcnt 0x0
	v_and_b32_e32 v28, 0xffff, v0
	v_lshlrev_b64_e32 v[28:29], s0, v[28:29]
	s_add_nc_u64 s[0:1], s[0:1], 8
	s_delay_alu instid0(VALU_DEP_1) | instskip(NEXT) | instid1(VALU_DEP_2)
	v_or_b32_e32 v25, v29, v25
	v_or_b32_e32 v24, v28, v24
	s_and_not1_b32 exec_lo, exec_lo, s10
	s_cbranch_execnz .LBB0_54
; %bb.55:                               ;   in Loop: Header=BB0_3 Depth=1
	s_or_b32 exec_lo, exec_lo, s10
.LBB0_56:                               ;   in Loop: Header=BB0_3 Depth=1
	s_delay_alu instid0(SALU_CYCLE_1)
	s_or_b32 exec_lo, exec_lo, s5
                                        ; implicit-def: $vgpr26_vgpr27
.LBB0_57:                               ;   in Loop: Header=BB0_3 Depth=1
	s_and_not1_saveexec_b32 s0, s4
	s_cbranch_execz .LBB0_59
; %bb.58:                               ;   in Loop: Header=BB0_3 Depth=1
	global_load_b64 v[24:25], v[26:27], off
.LBB0_59:                               ;   in Loop: Header=BB0_3 Depth=1
	s_wait_xcnt 0x0
	s_or_b32 exec_lo, exec_lo, s0
	v_readfirstlane_b32 s0, v30
	v_mov_b64_e32 v[36:37], 0
	s_delay_alu instid0(VALU_DEP_2)
	v_cmp_eq_u32_e64 s0, s0, v30
	s_and_saveexec_b32 s1, s0
	s_cbranch_execz .LBB0_65
; %bb.60:                               ;   in Loop: Header=BB0_3 Depth=1
	s_wait_kmcnt 0x0
	global_load_b64 v[28:29], v7, s[2:3] offset:24 scope:SCOPE_SYS
	s_wait_loadcnt 0x0
	global_inv scope:SCOPE_SYS
	s_clause 0x1
	global_load_b64 v[26:27], v7, s[2:3] offset:40
	global_load_b64 v[36:37], v7, s[2:3]
	s_mov_b32 s4, exec_lo
	s_wait_loadcnt 0x1
	v_and_b32_e32 v26, v26, v28
	v_and_b32_e32 v27, v27, v29
	s_delay_alu instid0(VALU_DEP_1) | instskip(SKIP_1) | instid1(VALU_DEP_1)
	v_mul_u64_e32 v[26:27], 24, v[26:27]
	s_wait_loadcnt 0x0
	v_add_nc_u64_e32 v[26:27], v[36:37], v[26:27]
	global_load_b64 v[26:27], v[26:27], off scope:SCOPE_SYS
	s_wait_xcnt 0x0
	s_wait_loadcnt 0x0
	global_atomic_cmpswap_b64 v[36:37], v7, v[26:29], s[2:3] offset:24 th:TH_ATOMIC_RETURN scope:SCOPE_SYS
	s_wait_loadcnt 0x0
	global_inv scope:SCOPE_SYS
	s_wait_xcnt 0x0
	v_cmpx_ne_u64_e64 v[36:37], v[28:29]
	s_cbranch_execz .LBB0_64
; %bb.61:                               ;   in Loop: Header=BB0_3 Depth=1
	s_mov_b32 s5, 0
.LBB0_62:                               ;   Parent Loop BB0_3 Depth=1
                                        ; =>  This Inner Loop Header: Depth=2
	s_sleep 1
	s_clause 0x1
	global_load_b64 v[26:27], v7, s[2:3] offset:40
	global_load_b64 v[38:39], v7, s[2:3]
	v_mov_b64_e32 v[28:29], v[36:37]
	s_wait_loadcnt 0x1
	s_delay_alu instid0(VALU_DEP_1) | instskip(SKIP_1) | instid1(VALU_DEP_1)
	v_and_b32_e32 v0, v26, v28
	s_wait_loadcnt 0x0
	v_mad_nc_u64_u32 v[36:37], v0, 24, v[38:39]
	s_delay_alu instid0(VALU_DEP_3) | instskip(NEXT) | instid1(VALU_DEP_1)
	v_and_b32_e32 v0, v27, v29
	v_mad_u32 v37, v0, 24, v37
	global_load_b64 v[26:27], v[36:37], off scope:SCOPE_SYS
	s_wait_xcnt 0x0
	s_wait_loadcnt 0x0
	global_atomic_cmpswap_b64 v[36:37], v7, v[26:29], s[2:3] offset:24 th:TH_ATOMIC_RETURN scope:SCOPE_SYS
	s_wait_loadcnt 0x0
	global_inv scope:SCOPE_SYS
	v_cmp_eq_u64_e32 vcc_lo, v[36:37], v[28:29]
	s_or_b32 s5, vcc_lo, s5
	s_wait_xcnt 0x0
	s_and_not1_b32 exec_lo, exec_lo, s5
	s_cbranch_execnz .LBB0_62
; %bb.63:                               ;   in Loop: Header=BB0_3 Depth=1
	s_or_b32 exec_lo, exec_lo, s5
.LBB0_64:                               ;   in Loop: Header=BB0_3 Depth=1
	s_delay_alu instid0(SALU_CYCLE_1)
	s_or_b32 exec_lo, exec_lo, s4
.LBB0_65:                               ;   in Loop: Header=BB0_3 Depth=1
	s_delay_alu instid0(SALU_CYCLE_1)
	s_or_b32 exec_lo, exec_lo, s1
	s_wait_kmcnt 0x0
	s_clause 0x1
	global_load_b64 v[38:39], v7, s[2:3] offset:40
	global_load_b128 v[26:29], v7, s[2:3]
	v_readfirstlane_b32 s4, v36
	v_readfirstlane_b32 s5, v37
	s_mov_b32 s1, exec_lo
	s_wait_loadcnt 0x1
	v_and_b32_e32 v38, s4, v38
	v_and_b32_e32 v39, s5, v39
	s_delay_alu instid0(VALU_DEP_1) | instskip(SKIP_1) | instid1(VALU_DEP_1)
	v_mul_u64_e32 v[36:37], 24, v[38:39]
	s_wait_loadcnt 0x0
	v_add_nc_u64_e32 v[36:37], v[26:27], v[36:37]
	s_wait_xcnt 0x0
	s_and_saveexec_b32 s10, s0
	s_cbranch_execz .LBB0_67
; %bb.66:                               ;   in Loop: Header=BB0_3 Depth=1
	v_mov_b32_e32 v6, s1
	global_store_b128 v[36:37], v[6:9], off offset:8
.LBB0_67:                               ;   in Loop: Header=BB0_3 Depth=1
	s_wait_xcnt 0x0
	s_or_b32 exec_lo, exec_lo, s10
	v_cmp_gt_u64_e32 vcc_lo, 57, v[4:5]
	v_lshlrev_b64_e32 v[38:39], 12, v[38:39]
	v_and_b32_e32 v6, 0xffffff1f, v10
	v_lshl_add_u32 v10, v34, 2, 28
	v_cndmask_b32_e32 v0, 0, v2, vcc_lo
	s_delay_alu instid0(VALU_DEP_4) | instskip(NEXT) | instid1(VALU_DEP_2)
	v_add_nc_u64_e32 v[28:29], v[28:29], v[38:39]
	v_dual_lshlrev_b32 v6, 6, v30 :: v_dual_bitop2_b32 v0, v6, v0 bitop3:0x54
	s_delay_alu instid0(VALU_DEP_2) | instskip(NEXT) | instid1(VALU_DEP_3)
	v_readfirstlane_b32 s10, v28
	v_readfirstlane_b32 s11, v29
	s_delay_alu instid0(VALU_DEP_3)
	v_and_or_b32 v10, 0x1e0, v10, v0
	s_clause 0x3
	global_store_b128 v6, v[10:13], s[10:11]
	global_store_b128 v6, v[14:17], s[10:11] offset:16
	global_store_b128 v6, v[18:21], s[10:11] offset:32
	;; [unrolled: 1-line block ×3, first 2 shown]
	s_wait_xcnt 0x0
	s_and_saveexec_b32 s1, s0
	s_cbranch_execz .LBB0_75
; %bb.68:                               ;   in Loop: Header=BB0_3 Depth=1
	s_clause 0x1
	global_load_b64 v[18:19], v7, s[2:3] offset:32 scope:SCOPE_SYS
	global_load_b64 v[10:11], v7, s[2:3] offset:40
	s_mov_b32 s10, exec_lo
	v_dual_mov_b32 v16, s4 :: v_dual_mov_b32 v17, s5
	s_wait_loadcnt 0x0
	v_and_b32_e32 v11, s5, v11
	v_and_b32_e32 v10, s4, v10
	s_delay_alu instid0(VALU_DEP_1) | instskip(NEXT) | instid1(VALU_DEP_1)
	v_mul_u64_e32 v[10:11], 24, v[10:11]
	v_add_nc_u64_e32 v[14:15], v[26:27], v[10:11]
	global_store_b64 v[14:15], v[18:19], off
	global_wb scope:SCOPE_SYS
	s_wait_storecnt 0x0
	s_wait_xcnt 0x0
	global_atomic_cmpswap_b64 v[12:13], v7, v[16:19], s[2:3] offset:32 th:TH_ATOMIC_RETURN scope:SCOPE_SYS
	s_wait_loadcnt 0x0
	v_cmpx_ne_u64_e64 v[12:13], v[18:19]
	s_cbranch_execz .LBB0_71
; %bb.69:                               ;   in Loop: Header=BB0_3 Depth=1
	s_mov_b32 s11, 0
.LBB0_70:                               ;   Parent Loop BB0_3 Depth=1
                                        ; =>  This Inner Loop Header: Depth=2
	v_dual_mov_b32 v10, s4 :: v_dual_mov_b32 v11, s5
	s_sleep 1
	global_store_b64 v[14:15], v[12:13], off
	global_wb scope:SCOPE_SYS
	s_wait_storecnt 0x0
	s_wait_xcnt 0x0
	global_atomic_cmpswap_b64 v[10:11], v7, v[10:13], s[2:3] offset:32 th:TH_ATOMIC_RETURN scope:SCOPE_SYS
	s_wait_loadcnt 0x0
	v_cmp_eq_u64_e32 vcc_lo, v[10:11], v[12:13]
	v_mov_b64_e32 v[12:13], v[10:11]
	s_or_b32 s11, vcc_lo, s11
	s_delay_alu instid0(SALU_CYCLE_1)
	s_and_not1_b32 exec_lo, exec_lo, s11
	s_cbranch_execnz .LBB0_70
.LBB0_71:                               ;   in Loop: Header=BB0_3 Depth=1
	s_or_b32 exec_lo, exec_lo, s10
	global_load_b64 v[10:11], v7, s[2:3] offset:16
	s_mov_b32 s11, exec_lo
	s_mov_b32 s10, exec_lo
	v_mbcnt_lo_u32_b32 v0, s11, 0
	s_wait_xcnt 0x0
	s_delay_alu instid0(VALU_DEP_1)
	v_cmpx_eq_u32_e32 0, v0
	s_cbranch_execz .LBB0_73
; %bb.72:                               ;   in Loop: Header=BB0_3 Depth=1
	s_bcnt1_i32_b32 s11, s11
	s_delay_alu instid0(SALU_CYCLE_1)
	v_dual_mov_b32 v13, v7 :: v_dual_mov_b32 v12, s11
	global_wb scope:SCOPE_SYS
	s_wait_loadcnt 0x0
	s_wait_storecnt 0x0
	global_atomic_add_u64 v[10:11], v[12:13], off offset:8 scope:SCOPE_SYS
.LBB0_73:                               ;   in Loop: Header=BB0_3 Depth=1
	s_wait_xcnt 0x0
	s_or_b32 exec_lo, exec_lo, s10
	s_wait_loadcnt 0x0
	global_load_b64 v[12:13], v[10:11], off offset:16
	s_wait_loadcnt 0x0
	v_cmp_eq_u64_e32 vcc_lo, 0, v[12:13]
	s_cbranch_vccnz .LBB0_75
; %bb.74:                               ;   in Loop: Header=BB0_3 Depth=1
	global_load_b32 v10, v[10:11], off offset:24
	s_wait_xcnt 0x0
	v_mov_b32_e32 v11, v7
	s_wait_loadcnt 0x0
	v_readfirstlane_b32 s10, v10
	global_wb scope:SCOPE_SYS
	s_wait_storecnt 0x0
	global_store_b64 v[12:13], v[10:11], off scope:SCOPE_SYS
	s_and_b32 m0, s10, 0xffffff
	s_sendmsg sendmsg(MSG_INTERRUPT)
.LBB0_75:                               ;   in Loop: Header=BB0_3 Depth=1
	s_wait_xcnt 0x0
	s_or_b32 exec_lo, exec_lo, s1
	v_add_nc_u64_e32 v[10:11], v[28:29], v[6:7]
	s_branch .LBB0_79
.LBB0_76:                               ;   in Loop: Header=BB0_79 Depth=2
	s_wait_xcnt 0x0
	s_or_b32 exec_lo, exec_lo, s1
	s_delay_alu instid0(VALU_DEP_1)
	v_readfirstlane_b32 s1, v0
	s_cmp_eq_u32 s1, 0
	s_cbranch_scc1 .LBB0_78
; %bb.77:                               ;   in Loop: Header=BB0_79 Depth=2
	s_sleep 1
	s_cbranch_execnz .LBB0_79
	s_branch .LBB0_81
.LBB0_78:                               ;   in Loop: Header=BB0_3 Depth=1
	s_branch .LBB0_81
.LBB0_79:                               ;   Parent Loop BB0_3 Depth=1
                                        ; =>  This Inner Loop Header: Depth=2
	v_mov_b32_e32 v0, 1
	s_and_saveexec_b32 s1, s0
	s_cbranch_execz .LBB0_76
; %bb.80:                               ;   in Loop: Header=BB0_79 Depth=2
	global_load_b32 v0, v[36:37], off offset:20 scope:SCOPE_SYS
	s_wait_loadcnt 0x0
	global_inv scope:SCOPE_SYS
	v_and_b32_e32 v0, 1, v0
	s_branch .LBB0_76
.LBB0_81:                               ;   in Loop: Header=BB0_3 Depth=1
	global_load_b128 v[10:13], v[10:11], off
	s_wait_xcnt 0x0
	s_and_saveexec_b32 s10, s0
	s_cbranch_execz .LBB0_2
; %bb.82:                               ;   in Loop: Header=BB0_3 Depth=1
	s_wait_loadcnt 0x0
	s_clause 0x2
	global_load_b64 v[12:13], v7, s[2:3] offset:40
	global_load_b64 v[20:21], v7, s[2:3] offset:24 scope:SCOPE_SYS
	global_load_b64 v[14:15], v7, s[2:3]
	s_wait_loadcnt 0x2
	v_readfirstlane_b32 s12, v12
	v_readfirstlane_b32 s13, v13
	s_add_nc_u64 s[0:1], s[12:13], 1
	s_delay_alu instid0(SALU_CYCLE_1) | instskip(NEXT) | instid1(SALU_CYCLE_1)
	s_add_nc_u64 s[4:5], s[0:1], s[4:5]
	s_cmp_eq_u64 s[4:5], 0
	s_cselect_b32 s1, s1, s5
	s_cselect_b32 s0, s0, s4
	s_delay_alu instid0(SALU_CYCLE_1) | instskip(SKIP_1) | instid1(SALU_CYCLE_1)
	v_dual_mov_b32 v19, s1 :: v_dual_mov_b32 v18, s0
	s_and_b64 s[4:5], s[0:1], s[12:13]
	s_mul_u64 s[4:5], s[4:5], 24
	s_wait_loadcnt 0x0
	v_add_nc_u64_e32 v[16:17], s[4:5], v[14:15]
	global_store_b64 v[16:17], v[20:21], off
	global_wb scope:SCOPE_SYS
	s_wait_storecnt 0x0
	s_wait_xcnt 0x0
	global_atomic_cmpswap_b64 v[14:15], v7, v[18:21], s[2:3] offset:24 th:TH_ATOMIC_RETURN scope:SCOPE_SYS
	s_wait_loadcnt 0x0
	v_cmp_ne_u64_e32 vcc_lo, v[14:15], v[20:21]
	s_and_b32 exec_lo, exec_lo, vcc_lo
	s_cbranch_execz .LBB0_2
; %bb.83:                               ;   in Loop: Header=BB0_3 Depth=1
	s_mov_b32 s4, 0
.LBB0_84:                               ;   Parent Loop BB0_3 Depth=1
                                        ; =>  This Inner Loop Header: Depth=2
	v_dual_mov_b32 v12, s0 :: v_dual_mov_b32 v13, s1
	s_sleep 1
	global_store_b64 v[16:17], v[14:15], off
	global_wb scope:SCOPE_SYS
	s_wait_storecnt 0x0
	s_wait_xcnt 0x0
	global_atomic_cmpswap_b64 v[12:13], v7, v[12:15], s[2:3] offset:24 th:TH_ATOMIC_RETURN scope:SCOPE_SYS
	s_wait_loadcnt 0x0
	v_cmp_eq_u64_e32 vcc_lo, v[12:13], v[14:15]
	v_mov_b64_e32 v[14:15], v[12:13]
	s_or_b32 s4, vcc_lo, s4
	s_delay_alu instid0(SALU_CYCLE_1)
	s_and_not1_b32 exec_lo, exec_lo, s4
	s_cbranch_execnz .LBB0_84
	s_branch .LBB0_2
.LBB0_85:
	s_or_b32 exec_lo, exec_lo, s7
	s_branch .LBB0_114
.LBB0_86:
	s_load_b64 s[2:3], s[8:9], 0x50
	v_readfirstlane_b32 s0, v30
	v_mov_b64_e32 v[8:9], 0
	s_delay_alu instid0(VALU_DEP_2)
	v_cmp_eq_u32_e64 s0, s0, v30
	s_and_saveexec_b32 s1, s0
	s_cbranch_execz .LBB0_92
; %bb.87:
	v_mov_b32_e32 v0, 0
	s_mov_b32 s4, exec_lo
	s_wait_kmcnt 0x0
	global_load_b64 v[6:7], v0, s[2:3] offset:24 scope:SCOPE_SYS
	s_wait_loadcnt 0x0
	global_inv scope:SCOPE_SYS
	s_clause 0x1
	global_load_b64 v[4:5], v0, s[2:3] offset:40
	global_load_b64 v[8:9], v0, s[2:3]
	s_wait_loadcnt 0x1
	v_and_b32_e32 v4, v4, v6
	v_and_b32_e32 v5, v5, v7
	s_delay_alu instid0(VALU_DEP_1) | instskip(SKIP_1) | instid1(VALU_DEP_1)
	v_mul_u64_e32 v[4:5], 24, v[4:5]
	s_wait_loadcnt 0x0
	v_add_nc_u64_e32 v[4:5], v[8:9], v[4:5]
	global_load_b64 v[4:5], v[4:5], off scope:SCOPE_SYS
	s_wait_xcnt 0x0
	s_wait_loadcnt 0x0
	global_atomic_cmpswap_b64 v[8:9], v0, v[4:7], s[2:3] offset:24 th:TH_ATOMIC_RETURN scope:SCOPE_SYS
	s_wait_loadcnt 0x0
	global_inv scope:SCOPE_SYS
	s_wait_xcnt 0x0
	v_cmpx_ne_u64_e64 v[8:9], v[6:7]
	s_cbranch_execz .LBB0_91
; %bb.88:
	s_mov_b32 s5, 0
.LBB0_89:                               ; =>This Inner Loop Header: Depth=1
	s_sleep 1
	s_clause 0x1
	global_load_b64 v[4:5], v0, s[2:3] offset:40
	global_load_b64 v[10:11], v0, s[2:3]
	v_mov_b64_e32 v[6:7], v[8:9]
	s_wait_loadcnt 0x1
	s_delay_alu instid0(VALU_DEP_1) | instskip(SKIP_1) | instid1(VALU_DEP_1)
	v_and_b32_e32 v2, v4, v6
	s_wait_loadcnt 0x0
	v_mad_nc_u64_u32 v[8:9], v2, 24, v[10:11]
	s_delay_alu instid0(VALU_DEP_3) | instskip(NEXT) | instid1(VALU_DEP_1)
	v_and_b32_e32 v2, v5, v7
	v_mad_u32 v9, v2, 24, v9
	global_load_b64 v[4:5], v[8:9], off scope:SCOPE_SYS
	s_wait_xcnt 0x0
	s_wait_loadcnt 0x0
	global_atomic_cmpswap_b64 v[8:9], v0, v[4:7], s[2:3] offset:24 th:TH_ATOMIC_RETURN scope:SCOPE_SYS
	s_wait_loadcnt 0x0
	global_inv scope:SCOPE_SYS
	v_cmp_eq_u64_e32 vcc_lo, v[8:9], v[6:7]
	s_or_b32 s5, vcc_lo, s5
	s_wait_xcnt 0x0
	s_and_not1_b32 exec_lo, exec_lo, s5
	s_cbranch_execnz .LBB0_89
; %bb.90:
	s_or_b32 exec_lo, exec_lo, s5
.LBB0_91:
	s_delay_alu instid0(SALU_CYCLE_1)
	s_or_b32 exec_lo, exec_lo, s4
.LBB0_92:
	s_delay_alu instid0(SALU_CYCLE_1)
	s_or_b32 exec_lo, exec_lo, s1
	v_readfirstlane_b32 s4, v8
	v_mov_b32_e32 v2, 0
	v_readfirstlane_b32 s5, v9
	s_mov_b32 s1, exec_lo
	s_wait_loadcnt 0x0
	s_wait_kmcnt 0x0
	s_clause 0x1
	global_load_b64 v[10:11], v2, s[2:3] offset:40
	global_load_b128 v[4:7], v2, s[2:3]
	s_wait_loadcnt 0x1
	v_and_b32_e32 v10, s4, v10
	v_and_b32_e32 v11, s5, v11
	s_delay_alu instid0(VALU_DEP_1) | instskip(SKIP_1) | instid1(VALU_DEP_1)
	v_mul_u64_e32 v[8:9], 24, v[10:11]
	s_wait_loadcnt 0x0
	v_add_nc_u64_e32 v[8:9], v[4:5], v[8:9]
	s_wait_xcnt 0x0
	s_and_saveexec_b32 s6, s0
	s_cbranch_execz .LBB0_94
; %bb.93:
	v_mov_b64_e32 v[14:15], 0x100000002
	v_dual_mov_b32 v12, s1 :: v_dual_mov_b32 v13, v2
	global_store_b128 v[8:9], v[12:15], off offset:8
.LBB0_94:
	s_wait_xcnt 0x0
	s_or_b32 exec_lo, exec_lo, s6
	v_lshlrev_b64_e32 v[10:11], 12, v[10:11]
	s_mov_b32 s8, 0
	v_and_or_b32 v0, 0xffffff1f, v3, 32
	s_mov_b32 s10, s8
	s_mov_b32 s11, s8
	;; [unrolled: 1-line block ×3, first 2 shown]
	v_dual_mov_b32 v3, v2 :: v_dual_lshlrev_b32 v14, 6, v30
	v_add_nc_u64_e32 v[6:7], v[6:7], v[10:11]
	v_mov_b64_e32 v[12:13], s[10:11]
	v_mov_b64_e32 v[10:11], s[8:9]
	s_delay_alu instid0(VALU_DEP_3) | instskip(NEXT) | instid1(VALU_DEP_4)
	v_readfirstlane_b32 s6, v6
	v_readfirstlane_b32 s7, v7
	s_clause 0x3
	global_store_b128 v14, v[0:3], s[6:7]
	global_store_b128 v14, v[10:13], s[6:7] offset:16
	global_store_b128 v14, v[10:13], s[6:7] offset:32
	;; [unrolled: 1-line block ×3, first 2 shown]
	s_wait_xcnt 0x0
	s_and_saveexec_b32 s1, s0
	s_cbranch_execz .LBB0_102
; %bb.95:
	v_dual_mov_b32 v6, 0 :: v_dual_mov_b32 v11, s5
	s_mov_b32 s6, exec_lo
	s_clause 0x1
	global_load_b64 v[12:13], v6, s[2:3] offset:32 scope:SCOPE_SYS
	global_load_b64 v[0:1], v6, s[2:3] offset:40
	s_wait_loadcnt 0x0
	v_dual_mov_b32 v10, s4 :: v_dual_bitop2_b32 v1, s5, v1 bitop3:0x40
	v_and_b32_e32 v0, s4, v0
	s_delay_alu instid0(VALU_DEP_1) | instskip(NEXT) | instid1(VALU_DEP_1)
	v_mul_u64_e32 v[0:1], 24, v[0:1]
	v_add_nc_u64_e32 v[4:5], v[4:5], v[0:1]
	global_store_b64 v[4:5], v[12:13], off
	global_wb scope:SCOPE_SYS
	s_wait_storecnt 0x0
	s_wait_xcnt 0x0
	global_atomic_cmpswap_b64 v[2:3], v6, v[10:13], s[2:3] offset:32 th:TH_ATOMIC_RETURN scope:SCOPE_SYS
	s_wait_loadcnt 0x0
	v_cmpx_ne_u64_e64 v[2:3], v[12:13]
	s_cbranch_execz .LBB0_98
; %bb.96:
	s_mov_b32 s7, 0
.LBB0_97:                               ; =>This Inner Loop Header: Depth=1
	v_dual_mov_b32 v0, s4 :: v_dual_mov_b32 v1, s5
	s_sleep 1
	global_store_b64 v[4:5], v[2:3], off
	global_wb scope:SCOPE_SYS
	s_wait_storecnt 0x0
	s_wait_xcnt 0x0
	global_atomic_cmpswap_b64 v[0:1], v6, v[0:3], s[2:3] offset:32 th:TH_ATOMIC_RETURN scope:SCOPE_SYS
	s_wait_loadcnt 0x0
	v_cmp_eq_u64_e32 vcc_lo, v[0:1], v[2:3]
	v_mov_b64_e32 v[2:3], v[0:1]
	s_or_b32 s7, vcc_lo, s7
	s_delay_alu instid0(SALU_CYCLE_1)
	s_and_not1_b32 exec_lo, exec_lo, s7
	s_cbranch_execnz .LBB0_97
.LBB0_98:
	s_or_b32 exec_lo, exec_lo, s6
	v_mov_b32_e32 v3, 0
	s_mov_b32 s7, exec_lo
	s_mov_b32 s6, exec_lo
	v_mbcnt_lo_u32_b32 v2, s7, 0
	global_load_b64 v[0:1], v3, s[2:3] offset:16
	s_wait_xcnt 0x0
	v_cmpx_eq_u32_e32 0, v2
	s_cbranch_execz .LBB0_100
; %bb.99:
	s_bcnt1_i32_b32 s7, s7
	s_delay_alu instid0(SALU_CYCLE_1)
	v_mov_b32_e32 v2, s7
	global_wb scope:SCOPE_SYS
	s_wait_loadcnt 0x0
	s_wait_storecnt 0x0
	global_atomic_add_u64 v[0:1], v[2:3], off offset:8 scope:SCOPE_SYS
.LBB0_100:
	s_wait_xcnt 0x0
	s_or_b32 exec_lo, exec_lo, s6
	s_wait_loadcnt 0x0
	global_load_b64 v[2:3], v[0:1], off offset:16
	s_wait_loadcnt 0x0
	v_cmp_eq_u64_e32 vcc_lo, 0, v[2:3]
	s_cbranch_vccnz .LBB0_102
; %bb.101:
	global_load_b32 v0, v[0:1], off offset:24
	s_wait_xcnt 0x0
	v_mov_b32_e32 v1, 0
	s_wait_loadcnt 0x0
	v_readfirstlane_b32 s6, v0
	global_wb scope:SCOPE_SYS
	s_wait_storecnt 0x0
	global_store_b64 v[2:3], v[0:1], off scope:SCOPE_SYS
	s_and_b32 m0, s6, 0xffffff
	s_sendmsg sendmsg(MSG_INTERRUPT)
.LBB0_102:
	s_wait_xcnt 0x0
	s_or_b32 exec_lo, exec_lo, s1
	s_branch .LBB0_106
.LBB0_103:                              ;   in Loop: Header=BB0_106 Depth=1
	s_wait_xcnt 0x0
	s_or_b32 exec_lo, exec_lo, s1
	s_delay_alu instid0(VALU_DEP_1)
	v_readfirstlane_b32 s1, v0
	s_cmp_eq_u32 s1, 0
	s_cbranch_scc1 .LBB0_105
; %bb.104:                              ;   in Loop: Header=BB0_106 Depth=1
	s_sleep 1
	s_cbranch_execnz .LBB0_106
	s_branch .LBB0_108
.LBB0_105:
	s_branch .LBB0_108
.LBB0_106:                              ; =>This Inner Loop Header: Depth=1
	v_mov_b32_e32 v0, 1
	s_and_saveexec_b32 s1, s0
	s_cbranch_execz .LBB0_103
; %bb.107:                              ;   in Loop: Header=BB0_106 Depth=1
	global_load_b32 v0, v[8:9], off offset:20 scope:SCOPE_SYS
	s_wait_loadcnt 0x0
	global_inv scope:SCOPE_SYS
	v_and_b32_e32 v0, 1, v0
	s_branch .LBB0_103
.LBB0_108:
	s_and_saveexec_b32 s6, s0
	s_cbranch_execz .LBB0_112
; %bb.109:
	v_mov_b32_e32 v6, 0
	s_clause 0x2
	global_load_b64 v[0:1], v6, s[2:3] offset:40
	global_load_b64 v[10:11], v6, s[2:3] offset:24 scope:SCOPE_SYS
	global_load_b64 v[2:3], v6, s[2:3]
	s_wait_loadcnt 0x2
	v_readfirstlane_b32 s8, v0
	v_readfirstlane_b32 s9, v1
	s_add_nc_u64 s[0:1], s[8:9], 1
	s_delay_alu instid0(SALU_CYCLE_1) | instskip(NEXT) | instid1(SALU_CYCLE_1)
	s_add_nc_u64 s[4:5], s[0:1], s[4:5]
	s_cmp_eq_u64 s[4:5], 0
	s_cselect_b32 s1, s1, s5
	s_cselect_b32 s0, s0, s4
	v_mov_b32_e32 v9, s1
	s_and_b64 s[4:5], s[0:1], s[8:9]
	v_mov_b32_e32 v8, s0
	s_mul_u64 s[4:5], s[4:5], 24
	s_wait_loadcnt 0x0
	v_add_nc_u64_e32 v[4:5], s[4:5], v[2:3]
	global_store_b64 v[4:5], v[10:11], off
	global_wb scope:SCOPE_SYS
	s_wait_storecnt 0x0
	s_wait_xcnt 0x0
	global_atomic_cmpswap_b64 v[2:3], v6, v[8:11], s[2:3] offset:24 th:TH_ATOMIC_RETURN scope:SCOPE_SYS
	s_wait_loadcnt 0x0
	v_cmp_ne_u64_e32 vcc_lo, v[2:3], v[10:11]
	s_and_b32 exec_lo, exec_lo, vcc_lo
	s_cbranch_execz .LBB0_112
; %bb.110:
	s_mov_b32 s4, 0
.LBB0_111:                              ; =>This Inner Loop Header: Depth=1
	v_dual_mov_b32 v0, s0 :: v_dual_mov_b32 v1, s1
	s_sleep 1
	global_store_b64 v[4:5], v[2:3], off
	global_wb scope:SCOPE_SYS
	s_wait_storecnt 0x0
	s_wait_xcnt 0x0
	global_atomic_cmpswap_b64 v[0:1], v6, v[0:3], s[2:3] offset:24 th:TH_ATOMIC_RETURN scope:SCOPE_SYS
	s_wait_loadcnt 0x0
	v_cmp_eq_u64_e32 vcc_lo, v[0:1], v[2:3]
	v_mov_b64_e32 v[2:3], v[0:1]
	s_or_b32 s4, vcc_lo, s4
	s_delay_alu instid0(SALU_CYCLE_1)
	s_and_not1_b32 exec_lo, exec_lo, s4
	s_cbranch_execnz .LBB0_111
.LBB0_112:
	s_or_b32 exec_lo, exec_lo, s6
	s_wait_loadcnt 0x0
	s_wait_kmcnt 0x0
	s_set_pc_i64 s[30:31]
.LBB0_113:
	s_cbranch_execnz .LBB0_86
.LBB0_114:
	s_wait_loadcnt 0x0
	s_wait_kmcnt 0x0
	s_set_pc_i64 s[30:31]
.Lfunc_end0:
	.size	__ockl_fprintf_append_string_n, .Lfunc_end0-__ockl_fprintf_append_string_n
                                        ; -- End function
	.set .L__ockl_fprintf_append_string_n.num_vgpr, 40
	.set .L__ockl_fprintf_append_string_n.num_agpr, 0
	.set .L__ockl_fprintf_append_string_n.numbered_sgpr, 32
	.set .L__ockl_fprintf_append_string_n.num_named_barrier, 0
	.set .L__ockl_fprintf_append_string_n.private_seg_size, 0
	.set .L__ockl_fprintf_append_string_n.uses_vcc, 1
	.set .L__ockl_fprintf_append_string_n.uses_flat_scratch, 0
	.set .L__ockl_fprintf_append_string_n.has_dyn_sized_stack, 0
	.set .L__ockl_fprintf_append_string_n.has_recursion, 0
	.set .L__ockl_fprintf_append_string_n.has_indirect_call, 0
	.section	.AMDGPU.csdata,"",@progbits
; Function info:
; codeLenInByte = 4324
; TotalNumSgprs: 34
; NumVgprs: 40
; ScratchSize: 0
; MemoryBound: 0
	.text
	.p2align	2                               ; -- Begin function __assert_fail
	.type	__assert_fail,@function
__assert_fail:                          ; @__assert_fail
; %bb.0:
	s_wait_loadcnt_dscnt 0x0
	s_wait_kmcnt 0x0
	s_mov_b32 s20, s33
	s_mov_b32 s33, s32
	s_or_saveexec_b32 s0, -1
	scratch_store_b32 off, v40, s33 offset:48 ; 4-byte Folded Spill
	s_wait_xcnt 0x0
	s_mov_b32 exec_lo, s0
	v_writelane_b32 v40, s30, 0
	s_add_co_i32 s32, s32, 64
	v_writelane_b32 v40, s31, 1
	v_mov_b32_e32 v8, 0
	s_get_pc_i64 s[0:1]
	s_add_nc_u64 s[0:1], s[0:1], __const.__assert_fail.fmt@rel64+35
	v_dual_mov_b32 v5, v1 :: v_dual_mov_b32 v4, v0
	s_get_pc_i64 s[10:11]
	s_add_nc_u64 s[10:11], s[10:11], __const.__assert_fail.fmt@rel64+20
	global_load_b128 v[0:3], v8, s[0:1]
	s_wait_xcnt 0x0
	s_get_pc_i64 s[0:1]
	s_add_nc_u64 s[0:1], s[0:1], __const.__assert_fail.fmt@rel64+4
	s_clause 0x1
	s_load_b128 s[4:7], s[0:1], 0x0
	s_load_b128 s[12:15], s[10:11], 0x0
	s_load_b64 s[2:3], s[8:9], 0x50
	v_mbcnt_lo_u32_b32 v48, -1, 0
	v_mov_b64_e32 v[6:7], 0
	s_wait_xcnt 0x0
	s_delay_alu instid0(VALU_DEP_2) | instskip(NEXT) | instid1(VALU_DEP_1)
	v_readfirstlane_b32 s0, v48
	v_cmp_eq_u32_e64 s0, s0, v48
	s_wait_kmcnt 0x0
	v_mov_b64_e32 v[12:13], s[6:7]
	v_mov_b64_e32 v[10:11], s[4:5]
	;; [unrolled: 1-line block ×4, first 2 shown]
	s_clause 0x1
	scratch_store_b128 off, v[10:13], s33
	scratch_store_b128 off, v[14:17], s33 offset:16
	s_wait_loadcnt 0x0
	scratch_store_b128 off, v[0:3], s33 offset:31
	s_wait_xcnt 0x0
	s_and_saveexec_b32 s1, s0
	s_cbranch_execz .LBB1_6
; %bb.1:
	global_load_b64 v[2:3], v8, s[2:3] offset:24 scope:SCOPE_SYS
	s_wait_loadcnt 0x0
	global_inv scope:SCOPE_SYS
	s_clause 0x1
	global_load_b64 v[0:1], v8, s[2:3] offset:40
	global_load_b64 v[6:7], v8, s[2:3]
	s_mov_b32 s4, exec_lo
	s_wait_loadcnt 0x1
	v_and_b32_e32 v0, v0, v2
	v_and_b32_e32 v1, v1, v3
	s_delay_alu instid0(VALU_DEP_1) | instskip(SKIP_1) | instid1(VALU_DEP_1)
	v_mul_u64_e32 v[0:1], 24, v[0:1]
	s_wait_loadcnt 0x0
	v_add_nc_u64_e32 v[0:1], v[6:7], v[0:1]
	global_load_b64 v[0:1], v[0:1], off scope:SCOPE_SYS
	s_wait_xcnt 0x0
	s_wait_loadcnt 0x0
	global_atomic_cmpswap_b64 v[6:7], v8, v[0:3], s[2:3] offset:24 th:TH_ATOMIC_RETURN scope:SCOPE_SYS
	s_wait_loadcnt 0x0
	global_inv scope:SCOPE_SYS
	s_wait_xcnt 0x0
	v_cmpx_ne_u64_e64 v[6:7], v[2:3]
	s_cbranch_execz .LBB1_5
; %bb.2:
	v_mov_b32_e32 v0, 0
	s_mov_b32 s5, 0
.LBB1_3:                                ; =>This Inner Loop Header: Depth=1
	s_sleep 1
	s_clause 0x1
	global_load_b64 v[2:3], v0, s[2:3] offset:40
	global_load_b64 v[10:11], v0, s[2:3]
	v_mov_b64_e32 v[12:13], v[6:7]
	s_wait_loadcnt 0x1
	s_delay_alu instid0(VALU_DEP_1) | instskip(SKIP_1) | instid1(VALU_DEP_1)
	v_and_b32_e32 v1, v2, v12
	s_wait_loadcnt 0x0
	v_mad_nc_u64_u32 v[6:7], v1, 24, v[10:11]
	s_delay_alu instid0(VALU_DEP_3) | instskip(NEXT) | instid1(VALU_DEP_1)
	v_and_b32_e32 v1, v3, v13
	v_mad_u32 v7, v1, 24, v7
	global_load_b64 v[10:11], v[6:7], off scope:SCOPE_SYS
	s_wait_xcnt 0x0
	s_wait_loadcnt 0x0
	global_atomic_cmpswap_b64 v[6:7], v0, v[10:13], s[2:3] offset:24 th:TH_ATOMIC_RETURN scope:SCOPE_SYS
	s_wait_loadcnt 0x0
	global_inv scope:SCOPE_SYS
	v_cmp_eq_u64_e32 vcc_lo, v[6:7], v[12:13]
	s_or_b32 s5, vcc_lo, s5
	s_wait_xcnt 0x0
	s_and_not1_b32 exec_lo, exec_lo, s5
	s_cbranch_execnz .LBB1_3
; %bb.4:
	s_or_b32 exec_lo, exec_lo, s5
.LBB1_5:
	s_delay_alu instid0(SALU_CYCLE_1)
	s_or_b32 exec_lo, exec_lo, s4
.LBB1_6:
	s_delay_alu instid0(SALU_CYCLE_1)
	s_or_b32 exec_lo, exec_lo, s1
	s_clause 0x1
	global_load_b64 v[10:11], v8, s[2:3] offset:40
	global_load_b128 v[0:3], v8, s[2:3]
	v_readfirstlane_b32 s4, v6
	v_readfirstlane_b32 s5, v7
	s_mov_b32 s1, exec_lo
	s_wait_loadcnt 0x1
	s_wait_xcnt 0x0
	v_and_b32_e32 v8, s4, v10
	v_and_b32_e32 v9, s5, v11
	s_delay_alu instid0(VALU_DEP_1) | instskip(SKIP_1) | instid1(VALU_DEP_1)
	v_mul_u64_e32 v[6:7], 24, v[8:9]
	s_wait_loadcnt 0x0
	v_add_nc_u64_e32 v[6:7], v[0:1], v[6:7]
	s_and_saveexec_b32 s6, s0
	s_cbranch_execz .LBB1_8
; %bb.7:
	v_mov_b64_e32 v[12:13], 0x100000002
	v_dual_mov_b32 v10, s1 :: v_dual_mov_b32 v11, 0
	global_store_b128 v[6:7], v[10:13], off offset:8
.LBB1_8:
	s_wait_xcnt 0x0
	s_or_b32 exec_lo, exec_lo, s6
	v_lshlrev_b64_e32 v[8:9], 12, v[8:9]
	s_mov_b32 s12, 0
	v_dual_mov_b32 v31, 0 :: v_dual_lshlrev_b32 v30, 6, v48
	s_mov_b32 s14, s12
	s_mov_b32 s15, s12
	;; [unrolled: 1-line block ×3, first 2 shown]
	s_delay_alu instid0(VALU_DEP_2)
	v_add_nc_u64_e32 v[8:9], v[2:3], v[8:9]
	v_mov_b64_e32 v[16:17], s[14:15]
	v_mov_b64_e32 v[14:15], s[12:13]
	v_dual_mov_b32 v10, 33 :: v_dual_mov_b32 v12, 1
	v_dual_mov_b32 v11, v31 :: v_dual_mov_b32 v13, v31
	v_readfirstlane_b32 s6, v8
	v_readfirstlane_b32 s7, v9
	s_clause 0x3
	global_store_b128 v30, v[10:13], s[6:7]
	global_store_b128 v30, v[14:17], s[6:7] offset:16
	global_store_b128 v30, v[14:17], s[6:7] offset:32
	;; [unrolled: 1-line block ×3, first 2 shown]
	s_wait_xcnt 0x0
	s_and_saveexec_b32 s1, s0
	s_cbranch_execz .LBB1_16
; %bb.9:
	s_clause 0x1
	global_load_b64 v[14:15], v31, s[2:3] offset:32 scope:SCOPE_SYS
	global_load_b64 v[2:3], v31, s[2:3] offset:40
	s_mov_b32 s6, exec_lo
	v_dual_mov_b32 v12, s4 :: v_dual_mov_b32 v13, s5
	s_wait_loadcnt 0x0
	v_and_b32_e32 v3, s5, v3
	v_and_b32_e32 v2, s4, v2
	s_delay_alu instid0(VALU_DEP_1) | instskip(NEXT) | instid1(VALU_DEP_1)
	v_mul_u64_e32 v[2:3], 24, v[2:3]
	v_add_nc_u64_e32 v[10:11], v[0:1], v[2:3]
	global_store_b64 v[10:11], v[14:15], off
	global_wb scope:SCOPE_SYS
	s_wait_storecnt 0x0
	s_wait_xcnt 0x0
	global_atomic_cmpswap_b64 v[2:3], v31, v[12:15], s[2:3] offset:32 th:TH_ATOMIC_RETURN scope:SCOPE_SYS
	s_wait_loadcnt 0x0
	v_cmpx_ne_u64_e64 v[2:3], v[14:15]
	s_cbranch_execz .LBB1_12
; %bb.10:
	v_mov_b32_e32 v12, 0
	s_mov_b32 s7, 0
.LBB1_11:                               ; =>This Inner Loop Header: Depth=1
	v_dual_mov_b32 v0, s4 :: v_dual_mov_b32 v1, s5
	s_sleep 1
	global_store_b64 v[10:11], v[2:3], off
	global_wb scope:SCOPE_SYS
	s_wait_storecnt 0x0
	s_wait_xcnt 0x0
	global_atomic_cmpswap_b64 v[0:1], v12, v[0:3], s[2:3] offset:32 th:TH_ATOMIC_RETURN scope:SCOPE_SYS
	s_wait_loadcnt 0x0
	v_cmp_eq_u64_e32 vcc_lo, v[0:1], v[2:3]
	v_mov_b64_e32 v[2:3], v[0:1]
	s_or_b32 s7, vcc_lo, s7
	s_delay_alu instid0(SALU_CYCLE_1)
	s_and_not1_b32 exec_lo, exec_lo, s7
	s_cbranch_execnz .LBB1_11
.LBB1_12:
	s_or_b32 exec_lo, exec_lo, s6
	v_mov_b32_e32 v3, 0
	s_mov_b32 s7, exec_lo
	s_mov_b32 s6, exec_lo
	v_mbcnt_lo_u32_b32 v2, s7, 0
	global_load_b64 v[0:1], v3, s[2:3] offset:16
	s_wait_xcnt 0x0
	v_cmpx_eq_u32_e32 0, v2
	s_cbranch_execz .LBB1_14
; %bb.13:
	s_bcnt1_i32_b32 s7, s7
	s_delay_alu instid0(SALU_CYCLE_1)
	v_mov_b32_e32 v2, s7
	global_wb scope:SCOPE_SYS
	s_wait_loadcnt 0x0
	s_wait_storecnt 0x0
	global_atomic_add_u64 v[0:1], v[2:3], off offset:8 scope:SCOPE_SYS
.LBB1_14:
	s_wait_xcnt 0x0
	s_or_b32 exec_lo, exec_lo, s6
	s_wait_loadcnt 0x0
	global_load_b64 v[2:3], v[0:1], off offset:16
	s_wait_loadcnt 0x0
	v_cmp_eq_u64_e32 vcc_lo, 0, v[2:3]
	s_cbranch_vccnz .LBB1_16
; %bb.15:
	global_load_b32 v0, v[0:1], off offset:24
	s_wait_xcnt 0x0
	v_mov_b32_e32 v1, 0
	s_wait_loadcnt 0x0
	v_readfirstlane_b32 s6, v0
	global_wb scope:SCOPE_SYS
	s_wait_storecnt 0x0
	global_store_b64 v[2:3], v[0:1], off scope:SCOPE_SYS
	s_and_b32 m0, s6, 0xffffff
	s_sendmsg sendmsg(MSG_INTERRUPT)
.LBB1_16:
	s_wait_xcnt 0x0
	s_or_b32 exec_lo, exec_lo, s1
	v_add_nc_u64_e32 v[0:1], v[8:9], v[30:31]
	s_branch .LBB1_20
.LBB1_17:                               ;   in Loop: Header=BB1_20 Depth=1
	s_wait_xcnt 0x0
	s_or_b32 exec_lo, exec_lo, s1
	s_delay_alu instid0(VALU_DEP_1)
	v_readfirstlane_b32 s1, v2
	s_cmp_eq_u32 s1, 0
	s_cbranch_scc1 .LBB1_19
; %bb.18:                               ;   in Loop: Header=BB1_20 Depth=1
	s_sleep 1
	s_cbranch_execnz .LBB1_20
	s_branch .LBB1_22
.LBB1_19:
	s_branch .LBB1_22
.LBB1_20:                               ; =>This Inner Loop Header: Depth=1
	v_mov_b32_e32 v2, 1
	s_and_saveexec_b32 s1, s0
	s_cbranch_execz .LBB1_17
; %bb.21:                               ;   in Loop: Header=BB1_20 Depth=1
	global_load_b32 v2, v[6:7], off offset:20 scope:SCOPE_SYS
	s_wait_loadcnt 0x0
	global_inv scope:SCOPE_SYS
	v_and_b32_e32 v2, 1, v2
	s_branch .LBB1_17
.LBB1_22:
	global_load_b64 v[6:7], v[0:1], off
	s_wait_xcnt 0x0
	s_and_saveexec_b32 s6, s0
	s_cbranch_execz .LBB1_26
; %bb.23:
	v_mov_b32_e32 v10, 0
	s_clause 0x2
	global_load_b64 v[0:1], v10, s[2:3] offset:40
	global_load_b64 v[14:15], v10, s[2:3] offset:24 scope:SCOPE_SYS
	global_load_b64 v[2:3], v10, s[2:3]
	s_wait_loadcnt 0x2
	v_readfirstlane_b32 s10, v0
	v_readfirstlane_b32 s11, v1
	s_add_nc_u64 s[0:1], s[10:11], 1
	s_delay_alu instid0(SALU_CYCLE_1) | instskip(NEXT) | instid1(SALU_CYCLE_1)
	s_add_nc_u64 s[4:5], s[0:1], s[4:5]
	s_cmp_eq_u64 s[4:5], 0
	s_cselect_b32 s1, s1, s5
	s_cselect_b32 s0, s0, s4
	v_mov_b32_e32 v13, s1
	s_and_b64 s[4:5], s[0:1], s[10:11]
	v_mov_b32_e32 v12, s0
	s_mul_u64 s[4:5], s[4:5], 24
	s_wait_loadcnt 0x0
	v_add_nc_u64_e32 v[8:9], s[4:5], v[2:3]
	global_store_b64 v[8:9], v[14:15], off
	global_wb scope:SCOPE_SYS
	s_wait_storecnt 0x0
	s_wait_xcnt 0x0
	global_atomic_cmpswap_b64 v[2:3], v10, v[12:15], s[2:3] offset:24 th:TH_ATOMIC_RETURN scope:SCOPE_SYS
	s_wait_loadcnt 0x0
	v_cmp_ne_u64_e32 vcc_lo, v[2:3], v[14:15]
	s_and_b32 exec_lo, exec_lo, vcc_lo
	s_cbranch_execz .LBB1_26
; %bb.24:
	s_mov_b32 s4, 0
.LBB1_25:                               ; =>This Inner Loop Header: Depth=1
	v_dual_mov_b32 v0, s0 :: v_dual_mov_b32 v1, s1
	s_sleep 1
	global_store_b64 v[8:9], v[2:3], off
	global_wb scope:SCOPE_SYS
	s_wait_storecnt 0x0
	s_wait_xcnt 0x0
	global_atomic_cmpswap_b64 v[0:1], v10, v[0:3], s[2:3] offset:24 th:TH_ATOMIC_RETURN scope:SCOPE_SYS
	s_wait_loadcnt 0x0
	v_cmp_eq_u64_e32 vcc_lo, v[0:1], v[2:3]
	v_mov_b64_e32 v[2:3], v[0:1]
	s_or_b32 s4, vcc_lo, s4
	s_delay_alu instid0(SALU_CYCLE_1)
	s_and_not1_b32 exec_lo, exec_lo, s4
	s_cbranch_execnz .LBB1_25
.LBB1_26:
	s_or_b32 exec_lo, exec_lo, s6
	s_mov_b32 s1, s33
	s_mov_b32 s0, 0
.LBB1_27:                               ; =>This Inner Loop Header: Depth=1
	scratch_load_u8 v0, off, s1
	s_wait_xcnt 0x0
	s_add_co_i32 s1, s1, 1
	s_wait_loadcnt 0x0
	v_cmp_eq_u16_e32 vcc_lo, 0, v0
	v_mov_b32_e32 v0, s1
	s_or_b32 s0, vcc_lo, s0
	s_delay_alu instid0(SALU_CYCLE_1)
	s_and_not1_b32 exec_lo, exec_lo, s0
	s_cbranch_execnz .LBB1_27
; %bb.28:
	s_or_b32 exec_lo, exec_lo, s0
	s_cmp_lg_u32 s33, -1
	s_cbranch_scc0 .LBB1_113
; %bb.29:
	s_mov_b64 s[0:1], src_flat_scratch_base_lo
	v_mov_b64_e32 v[10:11], 0x100000002
	v_dual_add_nc_u32 v0, s0, v0 :: v_dual_bitop2_b32 v28, 2, v6 bitop3:0x40
	s_add_co_i32 s0, s33, s0
	v_dual_mov_b32 v31, 0 :: v_dual_mov_b32 v29, s33
	s_delay_alu instid0(VALU_DEP_2) | instskip(SKIP_3) | instid1(VALU_DEP_2)
	v_subrev_nc_u32_e32 v32, s0, v0
	v_dual_mov_b32 v1, v7 :: v_dual_bitop2_b32 v0, -3, v6 bitop3:0x40
	s_mov_b32 s7, 0
	s_mov_b32 s6, 0
	v_ashrrev_i32_e32 v33, 31, v32
	s_branch .LBB1_31
.LBB1_30:                               ;   in Loop: Header=BB1_31 Depth=1
	s_or_b32 exec_lo, exec_lo, s10
	v_sub_nc_u64_e32 v[32:33], v[32:33], v[34:35]
	v_add_nc_u32_e32 v29, v29, v34
	s_delay_alu instid0(VALU_DEP_2) | instskip(SKIP_1) | instid1(SALU_CYCLE_1)
	v_cmp_eq_u64_e32 vcc_lo, 0, v[32:33]
	s_or_b32 s6, vcc_lo, s6
	s_and_not1_b32 exec_lo, exec_lo, s6
	s_cbranch_execz .LBB1_192
.LBB1_31:                               ; =>This Loop Header: Depth=1
                                        ;     Child Loop BB1_34 Depth 2
                                        ;     Child Loop BB1_42 Depth 2
	;; [unrolled: 1-line block ×11, first 2 shown]
	s_delay_alu instid0(VALU_DEP_1)
	v_min_u64 v[34:35], v[32:33], 56
	v_add_nc_u32_e32 v9, 8, v29
	s_mov_b32 s0, exec_lo
	v_cmpx_gt_u64_e32 8, v[32:33]
	s_xor_b32 s4, exec_lo, s0
	s_cbranch_execz .LBB1_37
; %bb.32:                               ;   in Loop: Header=BB1_31 Depth=1
	v_mov_b64_e32 v[2:3], 0
	s_mov_b32 s5, exec_lo
	v_cmpx_ne_u64_e32 0, v[32:33]
	s_cbranch_execz .LBB1_36
; %bb.33:                               ;   in Loop: Header=BB1_31 Depth=1
	v_mov_b64_e32 v[2:3], 0
	v_dual_mov_b32 v9, v29 :: v_dual_lshlrev_b32 v8, 3, v34
	s_mov_b64 s[0:1], 0
	s_mov_b32 s10, 0
.LBB1_34:                               ;   Parent Loop BB1_31 Depth=1
                                        ; =>  This Inner Loop Header: Depth=2
	scratch_load_u8 v12, v9, off
	s_wait_xcnt 0x0
	v_dual_mov_b32 v13, s7 :: v_dual_add_nc_u32 v9, 1, v9
	s_wait_loadcnt 0x0
	v_and_b32_e32 v12, 0xffff, v12
	s_delay_alu instid0(VALU_DEP_1) | instskip(SKIP_1) | instid1(SALU_CYCLE_1)
	v_lshlrev_b64_e32 v[12:13], s0, v[12:13]
	s_add_nc_u64 s[0:1], s[0:1], 8
	v_cmp_eq_u32_e32 vcc_lo, s0, v8
	s_delay_alu instid0(VALU_DEP_2) | instskip(NEXT) | instid1(VALU_DEP_3)
	v_or_b32_e32 v3, v13, v3
	v_or_b32_e32 v2, v12, v2
	s_or_b32 s10, vcc_lo, s10
	s_delay_alu instid0(SALU_CYCLE_1)
	s_and_not1_b32 exec_lo, exec_lo, s10
	s_cbranch_execnz .LBB1_34
; %bb.35:                               ;   in Loop: Header=BB1_31 Depth=1
	s_or_b32 exec_lo, exec_lo, s10
.LBB1_36:                               ;   in Loop: Header=BB1_31 Depth=1
	s_delay_alu instid0(SALU_CYCLE_1)
	s_or_b32 exec_lo, exec_lo, s5
	v_mov_b32_e32 v9, v29
.LBB1_37:                               ;   in Loop: Header=BB1_31 Depth=1
	s_or_saveexec_b32 s0, s4
	v_mov_b32_e32 v14, 0
	s_xor_b32 exec_lo, exec_lo, s0
	s_cbranch_execz .LBB1_39
; %bb.38:                               ;   in Loop: Header=BB1_31 Depth=1
	scratch_load_b64 v[2:3], v29, off
	v_add_nc_u32_e32 v14, -8, v34
.LBB1_39:                               ;   in Loop: Header=BB1_31 Depth=1
	s_wait_xcnt 0x0
	s_or_b32 exec_lo, exec_lo, s0
	v_add_nc_u32_e32 v8, 8, v9
                                        ; implicit-def: $vgpr12_vgpr13
	s_mov_b32 s0, exec_lo
	v_cmpx_gt_u32_e32 8, v14
	s_xor_b32 s4, exec_lo, s0
	s_cbranch_execz .LBB1_45
; %bb.40:                               ;   in Loop: Header=BB1_31 Depth=1
	v_mov_b64_e32 v[12:13], 0
	s_mov_b32 s5, exec_lo
	v_cmpx_ne_u32_e32 0, v14
	s_cbranch_execz .LBB1_44
; %bb.41:                               ;   in Loop: Header=BB1_31 Depth=1
	v_mov_b64_e32 v[12:13], 0
	s_mov_b64 s[0:1], 0
	s_mov_b32 s10, 0
	s_mov_b32 s11, 0
.LBB1_42:                               ;   Parent Loop BB1_31 Depth=1
                                        ; =>  This Inner Loop Header: Depth=2
	scratch_load_u8 v8, v9, s11
	v_mov_b32_e32 v17, s7
	s_wait_xcnt 0x0
	s_add_co_i32 s11, s11, 1
	s_delay_alu instid0(SALU_CYCLE_1) | instskip(SKIP_3) | instid1(VALU_DEP_1)
	v_cmp_eq_u32_e32 vcc_lo, s11, v14
	s_or_b32 s10, vcc_lo, s10
	s_wait_loadcnt 0x0
	v_and_b32_e32 v16, 0xffff, v8
	v_lshlrev_b64_e32 v[16:17], s0, v[16:17]
	s_add_nc_u64 s[0:1], s[0:1], 8
	s_delay_alu instid0(VALU_DEP_1) | instskip(NEXT) | instid1(VALU_DEP_2)
	v_or_b32_e32 v13, v17, v13
	v_or_b32_e32 v12, v16, v12
	s_and_not1_b32 exec_lo, exec_lo, s10
	s_cbranch_execnz .LBB1_42
; %bb.43:                               ;   in Loop: Header=BB1_31 Depth=1
	s_or_b32 exec_lo, exec_lo, s10
.LBB1_44:                               ;   in Loop: Header=BB1_31 Depth=1
	s_delay_alu instid0(SALU_CYCLE_1)
	s_or_b32 exec_lo, exec_lo, s5
	v_mov_b32_e32 v8, v9
                                        ; implicit-def: $vgpr14
.LBB1_45:                               ;   in Loop: Header=BB1_31 Depth=1
	s_or_saveexec_b32 s0, s4
	v_mov_b32_e32 v16, 0
	s_xor_b32 exec_lo, exec_lo, s0
	s_cbranch_execz .LBB1_47
; %bb.46:                               ;   in Loop: Header=BB1_31 Depth=1
	scratch_load_b64 v[12:13], v9, off
	v_add_nc_u32_e32 v16, -8, v14
.LBB1_47:                               ;   in Loop: Header=BB1_31 Depth=1
	s_wait_xcnt 0x0
	s_or_b32 exec_lo, exec_lo, s0
	v_add_nc_u32_e32 v9, 8, v8
	s_mov_b32 s0, exec_lo
	v_cmpx_gt_u32_e32 8, v16
	s_xor_b32 s4, exec_lo, s0
	s_cbranch_execz .LBB1_53
; %bb.48:                               ;   in Loop: Header=BB1_31 Depth=1
	v_mov_b64_e32 v[14:15], 0
	s_mov_b32 s5, exec_lo
	v_cmpx_ne_u32_e32 0, v16
	s_cbranch_execz .LBB1_52
; %bb.49:                               ;   in Loop: Header=BB1_31 Depth=1
	v_mov_b64_e32 v[14:15], 0
	s_mov_b64 s[0:1], 0
	s_mov_b32 s10, 0
	s_mov_b32 s11, 0
.LBB1_50:                               ;   Parent Loop BB1_31 Depth=1
                                        ; =>  This Inner Loop Header: Depth=2
	scratch_load_u8 v9, v8, s11
	v_mov_b32_e32 v19, s7
	s_wait_xcnt 0x0
	s_add_co_i32 s11, s11, 1
	s_delay_alu instid0(SALU_CYCLE_1) | instskip(SKIP_3) | instid1(VALU_DEP_1)
	v_cmp_eq_u32_e32 vcc_lo, s11, v16
	s_or_b32 s10, vcc_lo, s10
	s_wait_loadcnt 0x0
	v_and_b32_e32 v18, 0xffff, v9
	v_lshlrev_b64_e32 v[18:19], s0, v[18:19]
	s_add_nc_u64 s[0:1], s[0:1], 8
	s_delay_alu instid0(VALU_DEP_1) | instskip(NEXT) | instid1(VALU_DEP_2)
	v_or_b32_e32 v15, v19, v15
	v_or_b32_e32 v14, v18, v14
	s_and_not1_b32 exec_lo, exec_lo, s10
	s_cbranch_execnz .LBB1_50
; %bb.51:                               ;   in Loop: Header=BB1_31 Depth=1
	s_or_b32 exec_lo, exec_lo, s10
.LBB1_52:                               ;   in Loop: Header=BB1_31 Depth=1
	s_delay_alu instid0(SALU_CYCLE_1)
	s_or_b32 exec_lo, exec_lo, s5
	v_mov_b32_e32 v9, v8
                                        ; implicit-def: $vgpr16
.LBB1_53:                               ;   in Loop: Header=BB1_31 Depth=1
	s_or_saveexec_b32 s0, s4
	v_mov_b32_e32 v18, 0
	s_xor_b32 exec_lo, exec_lo, s0
	s_cbranch_execz .LBB1_55
; %bb.54:                               ;   in Loop: Header=BB1_31 Depth=1
	scratch_load_b64 v[14:15], v8, off
	v_add_nc_u32_e32 v18, -8, v16
.LBB1_55:                               ;   in Loop: Header=BB1_31 Depth=1
	s_wait_xcnt 0x0
	s_or_b32 exec_lo, exec_lo, s0
	v_add_nc_u32_e32 v8, 8, v9
                                        ; implicit-def: $vgpr16_vgpr17
	s_mov_b32 s0, exec_lo
	v_cmpx_gt_u32_e32 8, v18
	s_xor_b32 s4, exec_lo, s0
	s_cbranch_execz .LBB1_61
; %bb.56:                               ;   in Loop: Header=BB1_31 Depth=1
	v_mov_b64_e32 v[16:17], 0
	s_mov_b32 s5, exec_lo
	v_cmpx_ne_u32_e32 0, v18
	s_cbranch_execz .LBB1_60
; %bb.57:                               ;   in Loop: Header=BB1_31 Depth=1
	v_mov_b64_e32 v[16:17], 0
	s_mov_b64 s[0:1], 0
	s_mov_b32 s10, 0
	s_mov_b32 s11, 0
.LBB1_58:                               ;   Parent Loop BB1_31 Depth=1
                                        ; =>  This Inner Loop Header: Depth=2
	scratch_load_u8 v8, v9, s11
	v_mov_b32_e32 v21, s7
	s_wait_xcnt 0x0
	s_add_co_i32 s11, s11, 1
	s_delay_alu instid0(SALU_CYCLE_1) | instskip(SKIP_3) | instid1(VALU_DEP_1)
	v_cmp_eq_u32_e32 vcc_lo, s11, v18
	s_or_b32 s10, vcc_lo, s10
	s_wait_loadcnt 0x0
	v_and_b32_e32 v20, 0xffff, v8
	v_lshlrev_b64_e32 v[20:21], s0, v[20:21]
	s_add_nc_u64 s[0:1], s[0:1], 8
	s_delay_alu instid0(VALU_DEP_1) | instskip(NEXT) | instid1(VALU_DEP_2)
	v_or_b32_e32 v17, v21, v17
	v_or_b32_e32 v16, v20, v16
	s_and_not1_b32 exec_lo, exec_lo, s10
	s_cbranch_execnz .LBB1_58
; %bb.59:                               ;   in Loop: Header=BB1_31 Depth=1
	s_or_b32 exec_lo, exec_lo, s10
.LBB1_60:                               ;   in Loop: Header=BB1_31 Depth=1
	s_delay_alu instid0(SALU_CYCLE_1)
	s_or_b32 exec_lo, exec_lo, s5
	v_mov_b32_e32 v8, v9
                                        ; implicit-def: $vgpr18
.LBB1_61:                               ;   in Loop: Header=BB1_31 Depth=1
	s_or_saveexec_b32 s0, s4
	v_mov_b32_e32 v20, 0
	s_xor_b32 exec_lo, exec_lo, s0
	s_cbranch_execz .LBB1_63
; %bb.62:                               ;   in Loop: Header=BB1_31 Depth=1
	scratch_load_b64 v[16:17], v9, off
	v_add_nc_u32_e32 v20, -8, v18
.LBB1_63:                               ;   in Loop: Header=BB1_31 Depth=1
	s_wait_xcnt 0x0
	s_or_b32 exec_lo, exec_lo, s0
	v_add_nc_u32_e32 v9, 8, v8
	s_mov_b32 s0, exec_lo
	v_cmpx_gt_u32_e32 8, v20
	s_xor_b32 s4, exec_lo, s0
	s_cbranch_execz .LBB1_69
; %bb.64:                               ;   in Loop: Header=BB1_31 Depth=1
	v_mov_b64_e32 v[18:19], 0
	s_mov_b32 s5, exec_lo
	v_cmpx_ne_u32_e32 0, v20
	s_cbranch_execz .LBB1_68
; %bb.65:                               ;   in Loop: Header=BB1_31 Depth=1
	v_mov_b64_e32 v[18:19], 0
	s_mov_b64 s[0:1], 0
	s_mov_b32 s10, 0
	s_mov_b32 s11, 0
.LBB1_66:                               ;   Parent Loop BB1_31 Depth=1
                                        ; =>  This Inner Loop Header: Depth=2
	scratch_load_u8 v9, v8, s11
	v_mov_b32_e32 v23, s7
	s_wait_xcnt 0x0
	s_add_co_i32 s11, s11, 1
	s_delay_alu instid0(SALU_CYCLE_1) | instskip(SKIP_3) | instid1(VALU_DEP_1)
	v_cmp_eq_u32_e32 vcc_lo, s11, v20
	s_or_b32 s10, vcc_lo, s10
	s_wait_loadcnt 0x0
	v_and_b32_e32 v22, 0xffff, v9
	v_lshlrev_b64_e32 v[22:23], s0, v[22:23]
	s_add_nc_u64 s[0:1], s[0:1], 8
	s_delay_alu instid0(VALU_DEP_1) | instskip(NEXT) | instid1(VALU_DEP_2)
	v_or_b32_e32 v19, v23, v19
	v_or_b32_e32 v18, v22, v18
	s_and_not1_b32 exec_lo, exec_lo, s10
	s_cbranch_execnz .LBB1_66
; %bb.67:                               ;   in Loop: Header=BB1_31 Depth=1
	s_or_b32 exec_lo, exec_lo, s10
.LBB1_68:                               ;   in Loop: Header=BB1_31 Depth=1
	s_delay_alu instid0(SALU_CYCLE_1)
	s_or_b32 exec_lo, exec_lo, s5
	v_mov_b32_e32 v9, v8
                                        ; implicit-def: $vgpr20
.LBB1_69:                               ;   in Loop: Header=BB1_31 Depth=1
	s_or_saveexec_b32 s0, s4
	v_mov_b32_e32 v22, 0
	s_xor_b32 exec_lo, exec_lo, s0
	s_cbranch_execz .LBB1_71
; %bb.70:                               ;   in Loop: Header=BB1_31 Depth=1
	scratch_load_b64 v[18:19], v8, off
	v_add_nc_u32_e32 v22, -8, v20
.LBB1_71:                               ;   in Loop: Header=BB1_31 Depth=1
	s_wait_xcnt 0x0
	s_or_b32 exec_lo, exec_lo, s0
	v_add_nc_u32_e32 v8, 8, v9
                                        ; implicit-def: $vgpr20_vgpr21
	s_mov_b32 s0, exec_lo
	v_cmpx_gt_u32_e32 8, v22
	s_xor_b32 s4, exec_lo, s0
	s_cbranch_execz .LBB1_77
; %bb.72:                               ;   in Loop: Header=BB1_31 Depth=1
	v_mov_b64_e32 v[20:21], 0
	s_mov_b32 s5, exec_lo
	v_cmpx_ne_u32_e32 0, v22
	s_cbranch_execz .LBB1_76
; %bb.73:                               ;   in Loop: Header=BB1_31 Depth=1
	v_mov_b64_e32 v[20:21], 0
	s_mov_b64 s[0:1], 0
	s_mov_b32 s10, 0
	s_mov_b32 s11, 0
.LBB1_74:                               ;   Parent Loop BB1_31 Depth=1
                                        ; =>  This Inner Loop Header: Depth=2
	scratch_load_u8 v8, v9, s11
	v_mov_b32_e32 v25, s7
	s_wait_xcnt 0x0
	s_add_co_i32 s11, s11, 1
	s_delay_alu instid0(SALU_CYCLE_1) | instskip(SKIP_3) | instid1(VALU_DEP_1)
	v_cmp_eq_u32_e32 vcc_lo, s11, v22
	s_or_b32 s10, vcc_lo, s10
	s_wait_loadcnt 0x0
	v_and_b32_e32 v24, 0xffff, v8
	v_lshlrev_b64_e32 v[24:25], s0, v[24:25]
	s_add_nc_u64 s[0:1], s[0:1], 8
	s_delay_alu instid0(VALU_DEP_1) | instskip(NEXT) | instid1(VALU_DEP_2)
	v_or_b32_e32 v21, v25, v21
	v_or_b32_e32 v20, v24, v20
	s_and_not1_b32 exec_lo, exec_lo, s10
	s_cbranch_execnz .LBB1_74
; %bb.75:                               ;   in Loop: Header=BB1_31 Depth=1
	s_or_b32 exec_lo, exec_lo, s10
.LBB1_76:                               ;   in Loop: Header=BB1_31 Depth=1
	s_delay_alu instid0(SALU_CYCLE_1)
	s_or_b32 exec_lo, exec_lo, s5
	v_mov_b32_e32 v8, v9
                                        ; implicit-def: $vgpr22
.LBB1_77:                               ;   in Loop: Header=BB1_31 Depth=1
	s_or_saveexec_b32 s0, s4
	v_mov_b32_e32 v24, 0
	s_xor_b32 exec_lo, exec_lo, s0
	s_cbranch_execz .LBB1_79
; %bb.78:                               ;   in Loop: Header=BB1_31 Depth=1
	scratch_load_b64 v[20:21], v9, off
	v_add_nc_u32_e32 v24, -8, v22
.LBB1_79:                               ;   in Loop: Header=BB1_31 Depth=1
	s_wait_xcnt 0x0
	s_or_b32 exec_lo, exec_lo, s0
	s_delay_alu instid0(SALU_CYCLE_1) | instskip(NEXT) | instid1(VALU_DEP_1)
	s_mov_b32 s0, exec_lo
	v_cmpx_gt_u32_e32 8, v24
	s_xor_b32 s4, exec_lo, s0
	s_cbranch_execz .LBB1_85
; %bb.80:                               ;   in Loop: Header=BB1_31 Depth=1
	v_mov_b64_e32 v[22:23], 0
	s_mov_b32 s5, exec_lo
	v_cmpx_ne_u32_e32 0, v24
	s_cbranch_execz .LBB1_84
; %bb.81:                               ;   in Loop: Header=BB1_31 Depth=1
	v_mov_b64_e32 v[22:23], 0
	s_mov_b64 s[0:1], 0
	s_mov_b32 s10, 0
.LBB1_82:                               ;   Parent Loop BB1_31 Depth=1
                                        ; =>  This Inner Loop Header: Depth=2
	scratch_load_u8 v9, v8, off
	v_dual_mov_b32 v27, s7 :: v_dual_add_nc_u32 v24, -1, v24
	s_delay_alu instid0(VALU_DEP_1) | instskip(SKIP_3) | instid1(VALU_DEP_1)
	v_cmp_eq_u32_e32 vcc_lo, 0, v24
	s_or_b32 s10, vcc_lo, s10
	s_wait_loadcnt 0x0
	v_and_b32_e32 v26, 0xffff, v9
	v_lshlrev_b64_e32 v[26:27], s0, v[26:27]
	s_wait_xcnt 0x0
	v_add_nc_u32_e32 v8, 1, v8
	s_add_nc_u64 s[0:1], s[0:1], 8
	s_delay_alu instid0(VALU_DEP_2) | instskip(NEXT) | instid1(VALU_DEP_3)
	v_or_b32_e32 v23, v27, v23
	v_or_b32_e32 v22, v26, v22
	s_and_not1_b32 exec_lo, exec_lo, s10
	s_cbranch_execnz .LBB1_82
; %bb.83:                               ;   in Loop: Header=BB1_31 Depth=1
	s_or_b32 exec_lo, exec_lo, s10
.LBB1_84:                               ;   in Loop: Header=BB1_31 Depth=1
	s_delay_alu instid0(SALU_CYCLE_1)
	s_or_b32 exec_lo, exec_lo, s5
                                        ; implicit-def: $vgpr8
.LBB1_85:                               ;   in Loop: Header=BB1_31 Depth=1
	s_and_not1_saveexec_b32 s0, s4
	s_cbranch_execz .LBB1_87
; %bb.86:                               ;   in Loop: Header=BB1_31 Depth=1
	scratch_load_b64 v[22:23], v8, off
.LBB1_87:                               ;   in Loop: Header=BB1_31 Depth=1
	s_wait_xcnt 0x0
	s_or_b32 exec_lo, exec_lo, s0
	v_readfirstlane_b32 s0, v48
	v_mov_b64_e32 v[8:9], 0
	s_delay_alu instid0(VALU_DEP_2)
	v_cmp_eq_u32_e64 s0, s0, v48
	s_and_saveexec_b32 s1, s0
	s_cbranch_execz .LBB1_93
; %bb.88:                               ;   in Loop: Header=BB1_31 Depth=1
	global_load_b64 v[26:27], v31, s[2:3] offset:24 scope:SCOPE_SYS
	s_wait_loadcnt 0x0
	global_inv scope:SCOPE_SYS
	s_clause 0x1
	global_load_b64 v[8:9], v31, s[2:3] offset:40
	global_load_b64 v[24:25], v31, s[2:3]
	s_mov_b32 s4, exec_lo
	s_wait_loadcnt 0x1
	v_and_b32_e32 v8, v8, v26
	v_and_b32_e32 v9, v9, v27
	s_delay_alu instid0(VALU_DEP_1) | instskip(SKIP_1) | instid1(VALU_DEP_1)
	v_mul_u64_e32 v[8:9], 24, v[8:9]
	s_wait_loadcnt 0x0
	v_add_nc_u64_e32 v[8:9], v[24:25], v[8:9]
	global_load_b64 v[24:25], v[8:9], off scope:SCOPE_SYS
	s_wait_xcnt 0x0
	s_wait_loadcnt 0x0
	global_atomic_cmpswap_b64 v[8:9], v31, v[24:27], s[2:3] offset:24 th:TH_ATOMIC_RETURN scope:SCOPE_SYS
	s_wait_loadcnt 0x0
	global_inv scope:SCOPE_SYS
	s_wait_xcnt 0x0
	v_cmpx_ne_u64_e64 v[8:9], v[26:27]
	s_cbranch_execz .LBB1_92
; %bb.89:                               ;   in Loop: Header=BB1_31 Depth=1
	s_mov_b32 s5, 0
.LBB1_90:                               ;   Parent Loop BB1_31 Depth=1
                                        ; =>  This Inner Loop Header: Depth=2
	s_sleep 1
	s_clause 0x1
	global_load_b64 v[24:25], v31, s[2:3] offset:40
	global_load_b64 v[36:37], v31, s[2:3]
	v_mov_b64_e32 v[26:27], v[8:9]
	s_wait_loadcnt 0x1
	s_delay_alu instid0(VALU_DEP_1) | instskip(NEXT) | instid1(VALU_DEP_2)
	v_and_b32_e32 v8, v24, v26
	v_and_b32_e32 v24, v25, v27
	s_wait_loadcnt 0x0
	s_delay_alu instid0(VALU_DEP_2) | instskip(NEXT) | instid1(VALU_DEP_1)
	v_mad_nc_u64_u32 v[8:9], v8, 24, v[36:37]
	v_mad_u32 v9, v24, 24, v9
	global_load_b64 v[24:25], v[8:9], off scope:SCOPE_SYS
	s_wait_xcnt 0x0
	s_wait_loadcnt 0x0
	global_atomic_cmpswap_b64 v[8:9], v31, v[24:27], s[2:3] offset:24 th:TH_ATOMIC_RETURN scope:SCOPE_SYS
	s_wait_loadcnt 0x0
	global_inv scope:SCOPE_SYS
	v_cmp_eq_u64_e32 vcc_lo, v[8:9], v[26:27]
	s_or_b32 s5, vcc_lo, s5
	s_wait_xcnt 0x0
	s_and_not1_b32 exec_lo, exec_lo, s5
	s_cbranch_execnz .LBB1_90
; %bb.91:                               ;   in Loop: Header=BB1_31 Depth=1
	s_or_b32 exec_lo, exec_lo, s5
.LBB1_92:                               ;   in Loop: Header=BB1_31 Depth=1
	s_delay_alu instid0(SALU_CYCLE_1)
	s_or_b32 exec_lo, exec_lo, s4
.LBB1_93:                               ;   in Loop: Header=BB1_31 Depth=1
	s_delay_alu instid0(SALU_CYCLE_1)
	s_or_b32 exec_lo, exec_lo, s1
	s_clause 0x1
	global_load_b64 v[36:37], v31, s[2:3] offset:40
	global_load_b128 v[24:27], v31, s[2:3]
	v_readfirstlane_b32 s4, v8
	v_readfirstlane_b32 s5, v9
	s_mov_b32 s1, exec_lo
	s_wait_loadcnt 0x1
	v_and_b32_e32 v38, s4, v36
	v_and_b32_e32 v39, s5, v37
	s_delay_alu instid0(VALU_DEP_1) | instskip(SKIP_1) | instid1(VALU_DEP_1)
	v_mul_u64_e32 v[8:9], 24, v[38:39]
	s_wait_loadcnt 0x0
	v_add_nc_u64_e32 v[36:37], v[24:25], v[8:9]
	s_wait_xcnt 0x0
	s_and_saveexec_b32 s10, s0
	s_cbranch_execz .LBB1_95
; %bb.94:                               ;   in Loop: Header=BB1_31 Depth=1
	v_dual_mov_b32 v8, s1 :: v_dual_mov_b32 v9, v31
	global_store_b128 v[36:37], v[8:11], off offset:8
.LBB1_95:                               ;   in Loop: Header=BB1_31 Depth=1
	s_wait_xcnt 0x0
	s_or_b32 exec_lo, exec_lo, s10
	v_cmp_gt_u64_e32 vcc_lo, 57, v[32:33]
	v_lshlrev_b64_e32 v[8:9], 12, v[38:39]
	v_and_b32_e32 v0, 0xffffff1f, v0
	v_lshl_add_u32 v39, v34, 2, 28
	v_cndmask_b32_e32 v38, 0, v28, vcc_lo
	s_delay_alu instid0(VALU_DEP_4) | instskip(NEXT) | instid1(VALU_DEP_2)
	v_add_nc_u64_e32 v[8:9], v[26:27], v[8:9]
	v_or_b32_e32 v0, v0, v38
	s_delay_alu instid0(VALU_DEP_2) | instskip(NEXT) | instid1(VALU_DEP_3)
	v_readfirstlane_b32 s10, v8
	v_readfirstlane_b32 s11, v9
	s_delay_alu instid0(VALU_DEP_3)
	v_and_or_b32 v0, 0x1e0, v39, v0
	s_clause 0x3
	global_store_b128 v30, v[0:3], s[10:11]
	global_store_b128 v30, v[12:15], s[10:11] offset:16
	global_store_b128 v30, v[16:19], s[10:11] offset:32
	;; [unrolled: 1-line block ×3, first 2 shown]
	s_wait_xcnt 0x0
	s_and_saveexec_b32 s1, s0
	s_cbranch_execz .LBB1_103
; %bb.96:                               ;   in Loop: Header=BB1_31 Depth=1
	s_clause 0x1
	global_load_b64 v[16:17], v31, s[2:3] offset:32 scope:SCOPE_SYS
	global_load_b64 v[0:1], v31, s[2:3] offset:40
	s_mov_b32 s10, exec_lo
	v_dual_mov_b32 v14, s4 :: v_dual_mov_b32 v15, s5
	s_wait_loadcnt 0x0
	v_and_b32_e32 v1, s5, v1
	v_and_b32_e32 v0, s4, v0
	s_delay_alu instid0(VALU_DEP_1) | instskip(NEXT) | instid1(VALU_DEP_1)
	v_mul_u64_e32 v[0:1], 24, v[0:1]
	v_add_nc_u64_e32 v[12:13], v[24:25], v[0:1]
	global_store_b64 v[12:13], v[16:17], off
	global_wb scope:SCOPE_SYS
	s_wait_storecnt 0x0
	s_wait_xcnt 0x0
	global_atomic_cmpswap_b64 v[2:3], v31, v[14:17], s[2:3] offset:32 th:TH_ATOMIC_RETURN scope:SCOPE_SYS
	s_wait_loadcnt 0x0
	v_cmpx_ne_u64_e64 v[2:3], v[16:17]
	s_cbranch_execz .LBB1_99
; %bb.97:                               ;   in Loop: Header=BB1_31 Depth=1
	s_mov_b32 s11, 0
.LBB1_98:                               ;   Parent Loop BB1_31 Depth=1
                                        ; =>  This Inner Loop Header: Depth=2
	v_dual_mov_b32 v0, s4 :: v_dual_mov_b32 v1, s5
	s_sleep 1
	global_store_b64 v[12:13], v[2:3], off
	global_wb scope:SCOPE_SYS
	s_wait_storecnt 0x0
	s_wait_xcnt 0x0
	global_atomic_cmpswap_b64 v[0:1], v31, v[0:3], s[2:3] offset:32 th:TH_ATOMIC_RETURN scope:SCOPE_SYS
	s_wait_loadcnt 0x0
	v_cmp_eq_u64_e32 vcc_lo, v[0:1], v[2:3]
	v_mov_b64_e32 v[2:3], v[0:1]
	s_or_b32 s11, vcc_lo, s11
	s_delay_alu instid0(SALU_CYCLE_1)
	s_and_not1_b32 exec_lo, exec_lo, s11
	s_cbranch_execnz .LBB1_98
.LBB1_99:                               ;   in Loop: Header=BB1_31 Depth=1
	s_or_b32 exec_lo, exec_lo, s10
	global_load_b64 v[0:1], v31, s[2:3] offset:16
	s_mov_b32 s11, exec_lo
	s_mov_b32 s10, exec_lo
	v_mbcnt_lo_u32_b32 v2, s11, 0
	s_wait_xcnt 0x0
	s_delay_alu instid0(VALU_DEP_1)
	v_cmpx_eq_u32_e32 0, v2
	s_cbranch_execz .LBB1_101
; %bb.100:                              ;   in Loop: Header=BB1_31 Depth=1
	s_bcnt1_i32_b32 s11, s11
	s_delay_alu instid0(SALU_CYCLE_1)
	v_dual_mov_b32 v3, v31 :: v_dual_mov_b32 v2, s11
	global_wb scope:SCOPE_SYS
	s_wait_loadcnt 0x0
	s_wait_storecnt 0x0
	global_atomic_add_u64 v[0:1], v[2:3], off offset:8 scope:SCOPE_SYS
.LBB1_101:                              ;   in Loop: Header=BB1_31 Depth=1
	s_wait_xcnt 0x0
	s_or_b32 exec_lo, exec_lo, s10
	s_wait_loadcnt 0x0
	global_load_b64 v[2:3], v[0:1], off offset:16
	s_wait_loadcnt 0x0
	v_cmp_eq_u64_e32 vcc_lo, 0, v[2:3]
	s_cbranch_vccnz .LBB1_103
; %bb.102:                              ;   in Loop: Header=BB1_31 Depth=1
	global_load_b32 v0, v[0:1], off offset:24
	s_wait_xcnt 0x0
	v_mov_b32_e32 v1, v31
	s_wait_loadcnt 0x0
	v_readfirstlane_b32 s10, v0
	global_wb scope:SCOPE_SYS
	s_wait_storecnt 0x0
	global_store_b64 v[2:3], v[0:1], off scope:SCOPE_SYS
	s_and_b32 m0, s10, 0xffffff
	s_sendmsg sendmsg(MSG_INTERRUPT)
.LBB1_103:                              ;   in Loop: Header=BB1_31 Depth=1
	s_wait_xcnt 0x0
	s_or_b32 exec_lo, exec_lo, s1
	v_add_nc_u64_e32 v[0:1], v[8:9], v[30:31]
	s_branch .LBB1_107
.LBB1_104:                              ;   in Loop: Header=BB1_107 Depth=2
	s_wait_xcnt 0x0
	s_or_b32 exec_lo, exec_lo, s1
	s_delay_alu instid0(VALU_DEP_1)
	v_readfirstlane_b32 s1, v2
	s_cmp_eq_u32 s1, 0
	s_cbranch_scc1 .LBB1_106
; %bb.105:                              ;   in Loop: Header=BB1_107 Depth=2
	s_sleep 1
	s_cbranch_execnz .LBB1_107
	s_branch .LBB1_109
.LBB1_106:                              ;   in Loop: Header=BB1_31 Depth=1
	s_branch .LBB1_109
.LBB1_107:                              ;   Parent Loop BB1_31 Depth=1
                                        ; =>  This Inner Loop Header: Depth=2
	v_mov_b32_e32 v2, 1
	s_and_saveexec_b32 s1, s0
	s_cbranch_execz .LBB1_104
; %bb.108:                              ;   in Loop: Header=BB1_107 Depth=2
	global_load_b32 v2, v[36:37], off offset:20 scope:SCOPE_SYS
	s_wait_loadcnt 0x0
	global_inv scope:SCOPE_SYS
	v_and_b32_e32 v2, 1, v2
	s_branch .LBB1_104
.LBB1_109:                              ;   in Loop: Header=BB1_31 Depth=1
	global_load_b64 v[0:1], v[0:1], off
	s_wait_xcnt 0x0
	s_and_saveexec_b32 s10, s0
	s_cbranch_execz .LBB1_30
; %bb.110:                              ;   in Loop: Header=BB1_31 Depth=1
	s_clause 0x2
	global_load_b64 v[2:3], v31, s[2:3] offset:40
	global_load_b64 v[16:17], v31, s[2:3] offset:24 scope:SCOPE_SYS
	global_load_b64 v[8:9], v31, s[2:3]
	s_wait_loadcnt 0x2
	v_readfirstlane_b32 s12, v2
	v_readfirstlane_b32 s13, v3
	s_add_nc_u64 s[0:1], s[12:13], 1
	s_delay_alu instid0(SALU_CYCLE_1) | instskip(NEXT) | instid1(SALU_CYCLE_1)
	s_add_nc_u64 s[4:5], s[0:1], s[4:5]
	s_cmp_eq_u64 s[4:5], 0
	s_cselect_b32 s1, s1, s5
	s_cselect_b32 s0, s0, s4
	s_delay_alu instid0(SALU_CYCLE_1) | instskip(SKIP_1) | instid1(SALU_CYCLE_1)
	v_dual_mov_b32 v15, s1 :: v_dual_mov_b32 v14, s0
	s_and_b64 s[4:5], s[0:1], s[12:13]
	s_mul_u64 s[4:5], s[4:5], 24
	s_wait_loadcnt 0x0
	v_add_nc_u64_e32 v[2:3], s[4:5], v[8:9]
	global_store_b64 v[2:3], v[16:17], off
	global_wb scope:SCOPE_SYS
	s_wait_storecnt 0x0
	s_wait_xcnt 0x0
	global_atomic_cmpswap_b64 v[14:15], v31, v[14:17], s[2:3] offset:24 th:TH_ATOMIC_RETURN scope:SCOPE_SYS
	s_wait_loadcnt 0x0
	v_cmp_ne_u64_e32 vcc_lo, v[14:15], v[16:17]
	s_and_b32 exec_lo, exec_lo, vcc_lo
	s_cbranch_execz .LBB1_30
; %bb.111:                              ;   in Loop: Header=BB1_31 Depth=1
	s_mov_b32 s4, 0
.LBB1_112:                              ;   Parent Loop BB1_31 Depth=1
                                        ; =>  This Inner Loop Header: Depth=2
	v_dual_mov_b32 v12, s0 :: v_dual_mov_b32 v13, s1
	s_sleep 1
	global_store_b64 v[2:3], v[14:15], off
	global_wb scope:SCOPE_SYS
	s_wait_storecnt 0x0
	s_wait_xcnt 0x0
	global_atomic_cmpswap_b64 v[8:9], v31, v[12:15], s[2:3] offset:24 th:TH_ATOMIC_RETURN scope:SCOPE_SYS
	s_wait_loadcnt 0x0
	v_cmp_eq_u64_e32 vcc_lo, v[8:9], v[14:15]
	v_mov_b64_e32 v[14:15], v[8:9]
	s_or_b32 s4, vcc_lo, s4
	s_delay_alu instid0(SALU_CYCLE_1)
	s_and_not1_b32 exec_lo, exec_lo, s4
	s_cbranch_execnz .LBB1_112
	s_branch .LBB1_30
.LBB1_113:
                                        ; implicit-def: $vgpr0_vgpr1
	s_cbranch_execnz .LBB1_193
.LBB1_114:
	s_get_pc_i64 s[4:5]
	s_add_nc_u64 s[4:5], s[4:5], .str.4@rel64+4
	s_delay_alu instid0(SALU_CYCLE_1)
	s_cmp_lg_u64 s[4:5], 0
	s_cbranch_scc0 .LBB1_221
.LBB1_115:
	v_mov_b64_e32 v[12:13], 0x100000002
	s_get_pc_i64 s[0:1]
	s_add_nc_u64 s[0:1], s[0:1], .str.4@rel64+80
	s_wait_loadcnt 0x0
	v_dual_mov_b32 v11, 0 :: v_dual_bitop2_b32 v2, 2, v0 bitop3:0x40
	v_dual_mov_b32 v7, v1 :: v_dual_bitop2_b32 v6, -3, v0 bitop3:0x40
	s_sub_co_i32 s6, s0, s4
	s_delay_alu instid0(SALU_CYCLE_1)
	s_ashr_i32 s7, s6, 31
	s_branch .LBB1_117
.LBB1_116:                              ;   in Loop: Header=BB1_117 Depth=1
	s_or_b32 exec_lo, exec_lo, s14
	s_sub_nc_u64 s[6:7], s[6:7], s[10:11]
	s_add_nc_u64 s[4:5], s[4:5], s[10:11]
	s_cmp_lg_u64 s[6:7], 0
	s_cbranch_scc0 .LBB1_215
.LBB1_117:                              ; =>This Loop Header: Depth=1
                                        ;     Child Loop BB1_120 Depth 2
                                        ;     Child Loop BB1_127 Depth 2
	;; [unrolled: 1-line block ×11, first 2 shown]
	v_min_u64 v[8:9], s[6:7], 56
	v_cmp_gt_u64_e64 s0, s[6:7], 7
	s_and_b32 vcc_lo, exec_lo, s0
	v_readfirstlane_b32 s10, v8
	v_readfirstlane_b32 s11, v9
	s_cbranch_vccnz .LBB1_122
; %bb.118:                              ;   in Loop: Header=BB1_117 Depth=1
	v_mov_b64_e32 v[8:9], 0
	s_cmp_eq_u64 s[6:7], 0
	s_cbranch_scc1 .LBB1_121
; %bb.119:                              ;   in Loop: Header=BB1_117 Depth=1
	s_mov_b64 s[0:1], 0
	s_mov_b64 s[12:13], 0
.LBB1_120:                              ;   Parent Loop BB1_117 Depth=1
                                        ; =>  This Inner Loop Header: Depth=2
	s_wait_xcnt 0x0
	s_add_nc_u64 s[14:15], s[4:5], s[12:13]
	s_add_nc_u64 s[12:13], s[12:13], 1
	global_load_u8 v3, v11, s[14:15]
	s_cmp_lg_u32 s10, s12
	s_wait_loadcnt 0x0
	v_and_b32_e32 v10, 0xffff, v3
	s_delay_alu instid0(VALU_DEP_1) | instskip(SKIP_1) | instid1(VALU_DEP_1)
	v_lshlrev_b64_e32 v[14:15], s0, v[10:11]
	s_add_nc_u64 s[0:1], s[0:1], 8
	v_or_b32_e32 v8, v14, v8
	s_delay_alu instid0(VALU_DEP_2)
	v_or_b32_e32 v9, v15, v9
	s_cbranch_scc1 .LBB1_120
.LBB1_121:                              ;   in Loop: Header=BB1_117 Depth=1
	s_mov_b64 s[12:13], s[4:5]
	s_mov_b32 s16, 0
	s_cbranch_execz .LBB1_123
	s_branch .LBB1_124
.LBB1_122:                              ;   in Loop: Header=BB1_117 Depth=1
	s_add_nc_u64 s[12:13], s[4:5], 8
	s_mov_b32 s16, 0
.LBB1_123:                              ;   in Loop: Header=BB1_117 Depth=1
	global_load_b64 v[8:9], v11, s[4:5]
	s_add_co_i32 s16, s10, -8
.LBB1_124:                              ;   in Loop: Header=BB1_117 Depth=1
	s_delay_alu instid0(SALU_CYCLE_1)
	s_cmp_gt_u32 s16, 7
	s_cbranch_scc1 .LBB1_129
; %bb.125:                              ;   in Loop: Header=BB1_117 Depth=1
	v_mov_b64_e32 v[14:15], 0
	s_cmp_eq_u32 s16, 0
	s_cbranch_scc1 .LBB1_128
; %bb.126:                              ;   in Loop: Header=BB1_117 Depth=1
	s_mov_b64 s[0:1], 0
	s_wait_xcnt 0x0
	s_mov_b64 s[14:15], 0
.LBB1_127:                              ;   Parent Loop BB1_117 Depth=1
                                        ; =>  This Inner Loop Header: Depth=2
	s_wait_xcnt 0x0
	s_add_nc_u64 s[18:19], s[12:13], s[14:15]
	s_add_nc_u64 s[14:15], s[14:15], 1
	global_load_u8 v3, v11, s[18:19]
	s_cmp_lg_u32 s16, s14
	s_wait_loadcnt 0x0
	v_and_b32_e32 v10, 0xffff, v3
	s_delay_alu instid0(VALU_DEP_1) | instskip(SKIP_1) | instid1(VALU_DEP_1)
	v_lshlrev_b64_e32 v[16:17], s0, v[10:11]
	s_add_nc_u64 s[0:1], s[0:1], 8
	v_or_b32_e32 v14, v16, v14
	s_delay_alu instid0(VALU_DEP_2)
	v_or_b32_e32 v15, v17, v15
	s_cbranch_scc1 .LBB1_127
.LBB1_128:                              ;   in Loop: Header=BB1_117 Depth=1
	s_wait_xcnt 0x0
	s_mov_b64 s[0:1], s[12:13]
	s_mov_b32 s17, 0
	s_cbranch_execz .LBB1_130
	s_branch .LBB1_131
.LBB1_129:                              ;   in Loop: Header=BB1_117 Depth=1
	s_add_nc_u64 s[0:1], s[12:13], 8
	s_wait_xcnt 0x0
                                        ; implicit-def: $vgpr14_vgpr15
	s_mov_b32 s17, 0
.LBB1_130:                              ;   in Loop: Header=BB1_117 Depth=1
	global_load_b64 v[14:15], v11, s[12:13]
	s_add_co_i32 s17, s16, -8
.LBB1_131:                              ;   in Loop: Header=BB1_117 Depth=1
	s_delay_alu instid0(SALU_CYCLE_1)
	s_cmp_gt_u32 s17, 7
	s_cbranch_scc1 .LBB1_136
; %bb.132:                              ;   in Loop: Header=BB1_117 Depth=1
	v_mov_b64_e32 v[16:17], 0
	s_cmp_eq_u32 s17, 0
	s_cbranch_scc1 .LBB1_135
; %bb.133:                              ;   in Loop: Header=BB1_117 Depth=1
	s_wait_xcnt 0x0
	s_mov_b64 s[12:13], 0
	s_mov_b64 s[14:15], 0
.LBB1_134:                              ;   Parent Loop BB1_117 Depth=1
                                        ; =>  This Inner Loop Header: Depth=2
	s_wait_xcnt 0x0
	s_add_nc_u64 s[18:19], s[0:1], s[14:15]
	s_add_nc_u64 s[14:15], s[14:15], 1
	global_load_u8 v3, v11, s[18:19]
	s_cmp_lg_u32 s17, s14
	s_wait_loadcnt 0x0
	v_and_b32_e32 v10, 0xffff, v3
	s_delay_alu instid0(VALU_DEP_1) | instskip(SKIP_1) | instid1(VALU_DEP_1)
	v_lshlrev_b64_e32 v[18:19], s12, v[10:11]
	s_add_nc_u64 s[12:13], s[12:13], 8
	v_or_b32_e32 v16, v18, v16
	s_delay_alu instid0(VALU_DEP_2)
	v_or_b32_e32 v17, v19, v17
	s_cbranch_scc1 .LBB1_134
.LBB1_135:                              ;   in Loop: Header=BB1_117 Depth=1
	s_wait_xcnt 0x0
	s_mov_b64 s[12:13], s[0:1]
	s_mov_b32 s16, 0
	s_cbranch_execz .LBB1_137
	s_branch .LBB1_138
.LBB1_136:                              ;   in Loop: Header=BB1_117 Depth=1
	s_wait_xcnt 0x0
	s_add_nc_u64 s[12:13], s[0:1], 8
	s_mov_b32 s16, 0
.LBB1_137:                              ;   in Loop: Header=BB1_117 Depth=1
	global_load_b64 v[16:17], v11, s[0:1]
	s_add_co_i32 s16, s17, -8
.LBB1_138:                              ;   in Loop: Header=BB1_117 Depth=1
	s_delay_alu instid0(SALU_CYCLE_1)
	s_cmp_gt_u32 s16, 7
	s_cbranch_scc1 .LBB1_143
; %bb.139:                              ;   in Loop: Header=BB1_117 Depth=1
	v_mov_b64_e32 v[18:19], 0
	s_cmp_eq_u32 s16, 0
	s_cbranch_scc1 .LBB1_142
; %bb.140:                              ;   in Loop: Header=BB1_117 Depth=1
	s_wait_xcnt 0x0
	s_mov_b64 s[0:1], 0
	s_mov_b64 s[14:15], 0
.LBB1_141:                              ;   Parent Loop BB1_117 Depth=1
                                        ; =>  This Inner Loop Header: Depth=2
	s_wait_xcnt 0x0
	s_add_nc_u64 s[18:19], s[12:13], s[14:15]
	s_add_nc_u64 s[14:15], s[14:15], 1
	global_load_u8 v3, v11, s[18:19]
	s_cmp_lg_u32 s16, s14
	s_wait_loadcnt 0x0
	v_and_b32_e32 v10, 0xffff, v3
	s_delay_alu instid0(VALU_DEP_1) | instskip(SKIP_1) | instid1(VALU_DEP_1)
	v_lshlrev_b64_e32 v[20:21], s0, v[10:11]
	s_add_nc_u64 s[0:1], s[0:1], 8
	v_or_b32_e32 v18, v20, v18
	s_delay_alu instid0(VALU_DEP_2)
	v_or_b32_e32 v19, v21, v19
	s_cbranch_scc1 .LBB1_141
.LBB1_142:                              ;   in Loop: Header=BB1_117 Depth=1
	s_wait_xcnt 0x0
	s_mov_b64 s[0:1], s[12:13]
	s_mov_b32 s17, 0
	s_cbranch_execz .LBB1_144
	s_branch .LBB1_145
.LBB1_143:                              ;   in Loop: Header=BB1_117 Depth=1
	s_wait_xcnt 0x0
	s_add_nc_u64 s[0:1], s[12:13], 8
                                        ; implicit-def: $vgpr18_vgpr19
	s_mov_b32 s17, 0
.LBB1_144:                              ;   in Loop: Header=BB1_117 Depth=1
	global_load_b64 v[18:19], v11, s[12:13]
	s_add_co_i32 s17, s16, -8
.LBB1_145:                              ;   in Loop: Header=BB1_117 Depth=1
	s_delay_alu instid0(SALU_CYCLE_1)
	s_cmp_gt_u32 s17, 7
	s_cbranch_scc1 .LBB1_150
; %bb.146:                              ;   in Loop: Header=BB1_117 Depth=1
	v_mov_b64_e32 v[20:21], 0
	s_cmp_eq_u32 s17, 0
	s_cbranch_scc1 .LBB1_149
; %bb.147:                              ;   in Loop: Header=BB1_117 Depth=1
	s_wait_xcnt 0x0
	s_mov_b64 s[12:13], 0
	s_mov_b64 s[14:15], 0
.LBB1_148:                              ;   Parent Loop BB1_117 Depth=1
                                        ; =>  This Inner Loop Header: Depth=2
	s_wait_xcnt 0x0
	s_add_nc_u64 s[18:19], s[0:1], s[14:15]
	s_add_nc_u64 s[14:15], s[14:15], 1
	global_load_u8 v3, v11, s[18:19]
	s_cmp_lg_u32 s17, s14
	s_wait_loadcnt 0x0
	v_and_b32_e32 v10, 0xffff, v3
	s_delay_alu instid0(VALU_DEP_1) | instskip(SKIP_1) | instid1(VALU_DEP_1)
	v_lshlrev_b64_e32 v[22:23], s12, v[10:11]
	s_add_nc_u64 s[12:13], s[12:13], 8
	v_or_b32_e32 v20, v22, v20
	s_delay_alu instid0(VALU_DEP_2)
	v_or_b32_e32 v21, v23, v21
	s_cbranch_scc1 .LBB1_148
.LBB1_149:                              ;   in Loop: Header=BB1_117 Depth=1
	s_wait_xcnt 0x0
	s_mov_b64 s[12:13], s[0:1]
	s_mov_b32 s16, 0
	s_cbranch_execz .LBB1_151
	s_branch .LBB1_152
.LBB1_150:                              ;   in Loop: Header=BB1_117 Depth=1
	s_wait_xcnt 0x0
	s_add_nc_u64 s[12:13], s[0:1], 8
	s_mov_b32 s16, 0
.LBB1_151:                              ;   in Loop: Header=BB1_117 Depth=1
	global_load_b64 v[20:21], v11, s[0:1]
	s_add_co_i32 s16, s17, -8
.LBB1_152:                              ;   in Loop: Header=BB1_117 Depth=1
	s_delay_alu instid0(SALU_CYCLE_1)
	s_cmp_gt_u32 s16, 7
	s_cbranch_scc1 .LBB1_157
; %bb.153:                              ;   in Loop: Header=BB1_117 Depth=1
	v_mov_b64_e32 v[22:23], 0
	s_cmp_eq_u32 s16, 0
	s_cbranch_scc1 .LBB1_156
; %bb.154:                              ;   in Loop: Header=BB1_117 Depth=1
	s_wait_xcnt 0x0
	s_mov_b64 s[0:1], 0
	s_mov_b64 s[14:15], 0
.LBB1_155:                              ;   Parent Loop BB1_117 Depth=1
                                        ; =>  This Inner Loop Header: Depth=2
	s_wait_xcnt 0x0
	s_add_nc_u64 s[18:19], s[12:13], s[14:15]
	s_add_nc_u64 s[14:15], s[14:15], 1
	global_load_u8 v3, v11, s[18:19]
	s_cmp_lg_u32 s16, s14
	s_wait_loadcnt 0x0
	v_and_b32_e32 v10, 0xffff, v3
	s_delay_alu instid0(VALU_DEP_1) | instskip(SKIP_1) | instid1(VALU_DEP_1)
	v_lshlrev_b64_e32 v[24:25], s0, v[10:11]
	s_add_nc_u64 s[0:1], s[0:1], 8
	v_or_b32_e32 v22, v24, v22
	s_delay_alu instid0(VALU_DEP_2)
	v_or_b32_e32 v23, v25, v23
	s_cbranch_scc1 .LBB1_155
.LBB1_156:                              ;   in Loop: Header=BB1_117 Depth=1
	s_wait_xcnt 0x0
	s_mov_b64 s[0:1], s[12:13]
	s_mov_b32 s17, 0
	s_cbranch_execz .LBB1_158
	s_branch .LBB1_159
.LBB1_157:                              ;   in Loop: Header=BB1_117 Depth=1
	s_wait_xcnt 0x0
	s_add_nc_u64 s[0:1], s[12:13], 8
                                        ; implicit-def: $vgpr22_vgpr23
	s_mov_b32 s17, 0
.LBB1_158:                              ;   in Loop: Header=BB1_117 Depth=1
	global_load_b64 v[22:23], v11, s[12:13]
	s_add_co_i32 s17, s16, -8
.LBB1_159:                              ;   in Loop: Header=BB1_117 Depth=1
	s_delay_alu instid0(SALU_CYCLE_1)
	s_cmp_gt_u32 s17, 7
	s_cbranch_scc1 .LBB1_164
; %bb.160:                              ;   in Loop: Header=BB1_117 Depth=1
	v_mov_b64_e32 v[24:25], 0
	s_cmp_eq_u32 s17, 0
	s_cbranch_scc1 .LBB1_163
; %bb.161:                              ;   in Loop: Header=BB1_117 Depth=1
	s_wait_xcnt 0x0
	s_mov_b64 s[12:13], 0
	s_mov_b64 s[14:15], s[0:1]
.LBB1_162:                              ;   Parent Loop BB1_117 Depth=1
                                        ; =>  This Inner Loop Header: Depth=2
	global_load_u8 v3, v11, s[14:15]
	s_add_co_i32 s17, s17, -1
	s_wait_xcnt 0x0
	s_add_nc_u64 s[14:15], s[14:15], 1
	s_cmp_lg_u32 s17, 0
	s_wait_loadcnt 0x0
	v_and_b32_e32 v10, 0xffff, v3
	s_delay_alu instid0(VALU_DEP_1) | instskip(SKIP_1) | instid1(VALU_DEP_1)
	v_lshlrev_b64_e32 v[26:27], s12, v[10:11]
	s_add_nc_u64 s[12:13], s[12:13], 8
	v_or_b32_e32 v24, v26, v24
	s_delay_alu instid0(VALU_DEP_2)
	v_or_b32_e32 v25, v27, v25
	s_cbranch_scc1 .LBB1_162
.LBB1_163:                              ;   in Loop: Header=BB1_117 Depth=1
	s_wait_xcnt 0x0
	s_cbranch_execz .LBB1_165
	s_branch .LBB1_166
.LBB1_164:                              ;   in Loop: Header=BB1_117 Depth=1
	s_wait_xcnt 0x0
.LBB1_165:                              ;   in Loop: Header=BB1_117 Depth=1
	global_load_b64 v[24:25], v11, s[0:1]
.LBB1_166:                              ;   in Loop: Header=BB1_117 Depth=1
	s_wait_xcnt 0x0
	v_readfirstlane_b32 s0, v48
	v_mov_b64_e32 v[32:33], 0
	s_delay_alu instid0(VALU_DEP_2)
	v_cmp_eq_u32_e64 s0, s0, v48
	s_and_saveexec_b32 s1, s0
	s_cbranch_execz .LBB1_172
; %bb.167:                              ;   in Loop: Header=BB1_117 Depth=1
	global_load_b64 v[28:29], v11, s[2:3] offset:24 scope:SCOPE_SYS
	s_wait_loadcnt 0x0
	global_inv scope:SCOPE_SYS
	s_clause 0x1
	global_load_b64 v[26:27], v11, s[2:3] offset:40
	global_load_b64 v[32:33], v11, s[2:3]
	s_mov_b32 s12, exec_lo
	s_wait_loadcnt 0x1
	v_and_b32_e32 v26, v26, v28
	v_and_b32_e32 v27, v27, v29
	s_delay_alu instid0(VALU_DEP_1) | instskip(SKIP_1) | instid1(VALU_DEP_1)
	v_mul_u64_e32 v[26:27], 24, v[26:27]
	s_wait_loadcnt 0x0
	v_add_nc_u64_e32 v[26:27], v[32:33], v[26:27]
	global_load_b64 v[26:27], v[26:27], off scope:SCOPE_SYS
	s_wait_xcnt 0x0
	s_wait_loadcnt 0x0
	global_atomic_cmpswap_b64 v[32:33], v11, v[26:29], s[2:3] offset:24 th:TH_ATOMIC_RETURN scope:SCOPE_SYS
	s_wait_loadcnt 0x0
	global_inv scope:SCOPE_SYS
	s_wait_xcnt 0x0
	v_cmpx_ne_u64_e64 v[32:33], v[28:29]
	s_cbranch_execz .LBB1_171
; %bb.168:                              ;   in Loop: Header=BB1_117 Depth=1
	s_mov_b32 s13, 0
.LBB1_169:                              ;   Parent Loop BB1_117 Depth=1
                                        ; =>  This Inner Loop Header: Depth=2
	s_sleep 1
	s_clause 0x1
	global_load_b64 v[26:27], v11, s[2:3] offset:40
	global_load_b64 v[34:35], v11, s[2:3]
	v_mov_b64_e32 v[28:29], v[32:33]
	s_wait_loadcnt 0x1
	s_delay_alu instid0(VALU_DEP_1) | instskip(SKIP_1) | instid1(VALU_DEP_1)
	v_and_b32_e32 v3, v26, v28
	s_wait_loadcnt 0x0
	v_mad_nc_u64_u32 v[32:33], v3, 24, v[34:35]
	s_delay_alu instid0(VALU_DEP_3) | instskip(NEXT) | instid1(VALU_DEP_1)
	v_and_b32_e32 v3, v27, v29
	v_mad_u32 v33, v3, 24, v33
	global_load_b64 v[26:27], v[32:33], off scope:SCOPE_SYS
	s_wait_xcnt 0x0
	s_wait_loadcnt 0x0
	global_atomic_cmpswap_b64 v[32:33], v11, v[26:29], s[2:3] offset:24 th:TH_ATOMIC_RETURN scope:SCOPE_SYS
	s_wait_loadcnt 0x0
	global_inv scope:SCOPE_SYS
	v_cmp_eq_u64_e32 vcc_lo, v[32:33], v[28:29]
	s_or_b32 s13, vcc_lo, s13
	s_wait_xcnt 0x0
	s_and_not1_b32 exec_lo, exec_lo, s13
	s_cbranch_execnz .LBB1_169
; %bb.170:                              ;   in Loop: Header=BB1_117 Depth=1
	s_or_b32 exec_lo, exec_lo, s13
.LBB1_171:                              ;   in Loop: Header=BB1_117 Depth=1
	s_delay_alu instid0(SALU_CYCLE_1)
	s_or_b32 exec_lo, exec_lo, s12
.LBB1_172:                              ;   in Loop: Header=BB1_117 Depth=1
	s_delay_alu instid0(SALU_CYCLE_1)
	s_or_b32 exec_lo, exec_lo, s1
	s_clause 0x1
	global_load_b64 v[34:35], v11, s[2:3] offset:40
	global_load_b128 v[26:29], v11, s[2:3]
	v_readfirstlane_b32 s12, v32
	v_readfirstlane_b32 s13, v33
	s_mov_b32 s1, exec_lo
	s_wait_loadcnt 0x1
	v_and_b32_e32 v34, s12, v34
	v_and_b32_e32 v35, s13, v35
	s_delay_alu instid0(VALU_DEP_1) | instskip(SKIP_1) | instid1(VALU_DEP_1)
	v_mul_u64_e32 v[32:33], 24, v[34:35]
	s_wait_loadcnt 0x0
	v_add_nc_u64_e32 v[32:33], v[26:27], v[32:33]
	s_wait_xcnt 0x0
	s_and_saveexec_b32 s14, s0
	s_cbranch_execz .LBB1_174
; %bb.173:                              ;   in Loop: Header=BB1_117 Depth=1
	v_mov_b32_e32 v10, s1
	global_store_b128 v[32:33], v[10:13], off offset:8
.LBB1_174:                              ;   in Loop: Header=BB1_117 Depth=1
	s_wait_xcnt 0x0
	s_or_b32 exec_lo, exec_lo, s14
	v_cmp_lt_u64_e64 vcc_lo, s[6:7], 57
	v_lshlrev_b64_e32 v[34:35], 12, v[34:35]
	v_and_b32_e32 v6, 0xffffff1f, v6
	s_lshl_b32 s1, s10, 2
	s_delay_alu instid0(SALU_CYCLE_1) | instskip(SKIP_1) | instid1(VALU_DEP_3)
	s_add_co_i32 s1, s1, 28
	v_cndmask_b32_e32 v3, 0, v2, vcc_lo
	v_add_nc_u64_e32 v[28:29], v[28:29], v[34:35]
	s_delay_alu instid0(VALU_DEP_2) | instskip(NEXT) | instid1(VALU_DEP_2)
	v_or_b32_e32 v3, v6, v3
	v_readfirstlane_b32 s14, v28
	s_delay_alu instid0(VALU_DEP_3) | instskip(NEXT) | instid1(VALU_DEP_3)
	v_readfirstlane_b32 s15, v29
	v_and_or_b32 v6, 0x1e0, s1, v3
	s_clause 0x3
	global_store_b128 v30, v[6:9], s[14:15]
	global_store_b128 v30, v[14:17], s[14:15] offset:16
	global_store_b128 v30, v[18:21], s[14:15] offset:32
	;; [unrolled: 1-line block ×3, first 2 shown]
	s_wait_xcnt 0x0
	s_and_saveexec_b32 s1, s0
	s_cbranch_execz .LBB1_182
; %bb.175:                              ;   in Loop: Header=BB1_117 Depth=1
	s_clause 0x1
	global_load_b64 v[18:19], v11, s[2:3] offset:32 scope:SCOPE_SYS
	global_load_b64 v[6:7], v11, s[2:3] offset:40
	s_mov_b32 s14, exec_lo
	v_dual_mov_b32 v16, s12 :: v_dual_mov_b32 v17, s13
	s_wait_loadcnt 0x0
	v_and_b32_e32 v7, s13, v7
	v_and_b32_e32 v6, s12, v6
	s_delay_alu instid0(VALU_DEP_1) | instskip(NEXT) | instid1(VALU_DEP_1)
	v_mul_u64_e32 v[6:7], 24, v[6:7]
	v_add_nc_u64_e32 v[14:15], v[26:27], v[6:7]
	global_store_b64 v[14:15], v[18:19], off
	global_wb scope:SCOPE_SYS
	s_wait_storecnt 0x0
	s_wait_xcnt 0x0
	global_atomic_cmpswap_b64 v[8:9], v11, v[16:19], s[2:3] offset:32 th:TH_ATOMIC_RETURN scope:SCOPE_SYS
	s_wait_loadcnt 0x0
	v_cmpx_ne_u64_e64 v[8:9], v[18:19]
	s_cbranch_execz .LBB1_178
; %bb.176:                              ;   in Loop: Header=BB1_117 Depth=1
	s_mov_b32 s15, 0
.LBB1_177:                              ;   Parent Loop BB1_117 Depth=1
                                        ; =>  This Inner Loop Header: Depth=2
	v_dual_mov_b32 v6, s12 :: v_dual_mov_b32 v7, s13
	s_sleep 1
	global_store_b64 v[14:15], v[8:9], off
	global_wb scope:SCOPE_SYS
	s_wait_storecnt 0x0
	s_wait_xcnt 0x0
	global_atomic_cmpswap_b64 v[6:7], v11, v[6:9], s[2:3] offset:32 th:TH_ATOMIC_RETURN scope:SCOPE_SYS
	s_wait_loadcnt 0x0
	v_cmp_eq_u64_e32 vcc_lo, v[6:7], v[8:9]
	v_mov_b64_e32 v[8:9], v[6:7]
	s_or_b32 s15, vcc_lo, s15
	s_delay_alu instid0(SALU_CYCLE_1)
	s_and_not1_b32 exec_lo, exec_lo, s15
	s_cbranch_execnz .LBB1_177
.LBB1_178:                              ;   in Loop: Header=BB1_117 Depth=1
	s_or_b32 exec_lo, exec_lo, s14
	global_load_b64 v[6:7], v11, s[2:3] offset:16
	s_mov_b32 s15, exec_lo
	s_mov_b32 s14, exec_lo
	v_mbcnt_lo_u32_b32 v3, s15, 0
	s_wait_xcnt 0x0
	s_delay_alu instid0(VALU_DEP_1)
	v_cmpx_eq_u32_e32 0, v3
	s_cbranch_execz .LBB1_180
; %bb.179:                              ;   in Loop: Header=BB1_117 Depth=1
	s_bcnt1_i32_b32 s15, s15
	s_delay_alu instid0(SALU_CYCLE_1)
	v_mov_b32_e32 v10, s15
	global_wb scope:SCOPE_SYS
	s_wait_loadcnt 0x0
	s_wait_storecnt 0x0
	global_atomic_add_u64 v[6:7], v[10:11], off offset:8 scope:SCOPE_SYS
.LBB1_180:                              ;   in Loop: Header=BB1_117 Depth=1
	s_wait_xcnt 0x0
	s_or_b32 exec_lo, exec_lo, s14
	s_wait_loadcnt 0x0
	global_load_b64 v[8:9], v[6:7], off offset:16
	s_wait_loadcnt 0x0
	v_cmp_eq_u64_e32 vcc_lo, 0, v[8:9]
	s_cbranch_vccnz .LBB1_182
; %bb.181:                              ;   in Loop: Header=BB1_117 Depth=1
	global_load_b32 v10, v[6:7], off offset:24
	s_wait_loadcnt 0x0
	v_readfirstlane_b32 s14, v10
	global_wb scope:SCOPE_SYS
	s_wait_storecnt 0x0
	s_wait_xcnt 0x0
	global_store_b64 v[8:9], v[10:11], off scope:SCOPE_SYS
	s_and_b32 m0, s14, 0xffffff
	s_sendmsg sendmsg(MSG_INTERRUPT)
.LBB1_182:                              ;   in Loop: Header=BB1_117 Depth=1
	s_wait_xcnt 0x0
	s_or_b32 exec_lo, exec_lo, s1
	v_mov_b32_e32 v31, v11
	s_delay_alu instid0(VALU_DEP_1)
	v_add_nc_u64_e32 v[6:7], v[28:29], v[30:31]
	s_branch .LBB1_186
.LBB1_183:                              ;   in Loop: Header=BB1_186 Depth=2
	s_wait_xcnt 0x0
	s_or_b32 exec_lo, exec_lo, s1
	s_delay_alu instid0(VALU_DEP_1)
	v_readfirstlane_b32 s1, v3
	s_cmp_eq_u32 s1, 0
	s_cbranch_scc1 .LBB1_185
; %bb.184:                              ;   in Loop: Header=BB1_186 Depth=2
	s_sleep 1
	s_cbranch_execnz .LBB1_186
	s_branch .LBB1_188
.LBB1_185:                              ;   in Loop: Header=BB1_117 Depth=1
	s_branch .LBB1_188
.LBB1_186:                              ;   Parent Loop BB1_117 Depth=1
                                        ; =>  This Inner Loop Header: Depth=2
	v_mov_b32_e32 v3, 1
	s_and_saveexec_b32 s1, s0
	s_cbranch_execz .LBB1_183
; %bb.187:                              ;   in Loop: Header=BB1_186 Depth=2
	global_load_b32 v3, v[32:33], off offset:20 scope:SCOPE_SYS
	s_wait_loadcnt 0x0
	global_inv scope:SCOPE_SYS
	v_and_b32_e32 v3, 1, v3
	s_branch .LBB1_183
.LBB1_188:                              ;   in Loop: Header=BB1_117 Depth=1
	global_load_b64 v[6:7], v[6:7], off
	s_wait_xcnt 0x0
	s_and_saveexec_b32 s14, s0
	s_cbranch_execz .LBB1_116
; %bb.189:                              ;   in Loop: Header=BB1_117 Depth=1
	s_clause 0x2
	global_load_b64 v[8:9], v11, s[2:3] offset:40
	global_load_b64 v[18:19], v11, s[2:3] offset:24 scope:SCOPE_SYS
	global_load_b64 v[14:15], v11, s[2:3]
	s_wait_loadcnt 0x2
	v_readfirstlane_b32 s16, v8
	v_readfirstlane_b32 s17, v9
	s_add_nc_u64 s[0:1], s[16:17], 1
	s_delay_alu instid0(SALU_CYCLE_1) | instskip(NEXT) | instid1(SALU_CYCLE_1)
	s_add_nc_u64 s[12:13], s[0:1], s[12:13]
	s_cmp_eq_u64 s[12:13], 0
	s_cselect_b32 s1, s1, s13
	s_cselect_b32 s0, s0, s12
	s_delay_alu instid0(SALU_CYCLE_1) | instskip(SKIP_1) | instid1(SALU_CYCLE_1)
	v_dual_mov_b32 v17, s1 :: v_dual_mov_b32 v16, s0
	s_and_b64 s[12:13], s[0:1], s[16:17]
	s_mul_u64 s[12:13], s[12:13], 24
	s_wait_loadcnt 0x0
	v_add_nc_u64_e32 v[8:9], s[12:13], v[14:15]
	global_store_b64 v[8:9], v[18:19], off
	global_wb scope:SCOPE_SYS
	s_wait_storecnt 0x0
	s_wait_xcnt 0x0
	global_atomic_cmpswap_b64 v[16:17], v11, v[16:19], s[2:3] offset:24 th:TH_ATOMIC_RETURN scope:SCOPE_SYS
	s_wait_loadcnt 0x0
	v_cmp_ne_u64_e32 vcc_lo, v[16:17], v[18:19]
	s_and_b32 exec_lo, exec_lo, vcc_lo
	s_cbranch_execz .LBB1_116
; %bb.190:                              ;   in Loop: Header=BB1_117 Depth=1
	s_mov_b32 s12, 0
.LBB1_191:                              ;   Parent Loop BB1_117 Depth=1
                                        ; =>  This Inner Loop Header: Depth=2
	v_dual_mov_b32 v14, s0 :: v_dual_mov_b32 v15, s1
	s_sleep 1
	global_store_b64 v[8:9], v[16:17], off
	global_wb scope:SCOPE_SYS
	s_wait_storecnt 0x0
	s_wait_xcnt 0x0
	global_atomic_cmpswap_b64 v[14:15], v11, v[14:17], s[2:3] offset:24 th:TH_ATOMIC_RETURN scope:SCOPE_SYS
	s_wait_loadcnt 0x0
	v_cmp_eq_u64_e32 vcc_lo, v[14:15], v[16:17]
	v_mov_b64_e32 v[16:17], v[14:15]
	s_or_b32 s12, vcc_lo, s12
	s_delay_alu instid0(SALU_CYCLE_1)
	s_and_not1_b32 exec_lo, exec_lo, s12
	s_cbranch_execnz .LBB1_191
	s_branch .LBB1_116
.LBB1_192:
	s_or_b32 exec_lo, exec_lo, s6
	s_branch .LBB1_114
.LBB1_193:
	v_readfirstlane_b32 s0, v48
	v_mov_b64_e32 v[8:9], 0
	s_delay_alu instid0(VALU_DEP_2)
	v_cmp_eq_u32_e64 s0, s0, v48
	s_and_saveexec_b32 s1, s0
	s_cbranch_execz .LBB1_199
; %bb.194:
	s_wait_loadcnt 0x0
	v_mov_b32_e32 v0, 0
	s_mov_b32 s4, exec_lo
	global_load_b64 v[10:11], v0, s[2:3] offset:24 scope:SCOPE_SYS
	s_wait_loadcnt 0x0
	global_inv scope:SCOPE_SYS
	s_clause 0x1
	global_load_b64 v[2:3], v0, s[2:3] offset:40
	global_load_b64 v[8:9], v0, s[2:3]
	s_wait_loadcnt 0x1
	v_and_b32_e32 v2, v2, v10
	v_and_b32_e32 v3, v3, v11
	s_delay_alu instid0(VALU_DEP_1) | instskip(SKIP_1) | instid1(VALU_DEP_1)
	v_mul_u64_e32 v[2:3], 24, v[2:3]
	s_wait_loadcnt 0x0
	v_add_nc_u64_e32 v[2:3], v[8:9], v[2:3]
	global_load_b64 v[8:9], v[2:3], off scope:SCOPE_SYS
	s_wait_xcnt 0x0
	s_wait_loadcnt 0x0
	global_atomic_cmpswap_b64 v[8:9], v0, v[8:11], s[2:3] offset:24 th:TH_ATOMIC_RETURN scope:SCOPE_SYS
	s_wait_loadcnt 0x0
	global_inv scope:SCOPE_SYS
	s_wait_xcnt 0x0
	v_cmpx_ne_u64_e64 v[8:9], v[10:11]
	s_cbranch_execz .LBB1_198
; %bb.195:
	s_mov_b32 s5, 0
.LBB1_196:                              ; =>This Inner Loop Header: Depth=1
	s_sleep 1
	s_clause 0x1
	global_load_b64 v[2:3], v0, s[2:3] offset:40
	global_load_b64 v[12:13], v0, s[2:3]
	v_mov_b64_e32 v[10:11], v[8:9]
	s_wait_loadcnt 0x1
	s_delay_alu instid0(VALU_DEP_1) | instskip(SKIP_1) | instid1(VALU_DEP_1)
	v_and_b32_e32 v1, v2, v10
	s_wait_loadcnt 0x0
	v_mad_nc_u64_u32 v[8:9], v1, 24, v[12:13]
	s_delay_alu instid0(VALU_DEP_3) | instskip(NEXT) | instid1(VALU_DEP_1)
	v_and_b32_e32 v1, v3, v11
	v_mad_u32 v9, v1, 24, v9
	global_load_b64 v[8:9], v[8:9], off scope:SCOPE_SYS
	s_wait_xcnt 0x0
	s_wait_loadcnt 0x0
	global_atomic_cmpswap_b64 v[8:9], v0, v[8:11], s[2:3] offset:24 th:TH_ATOMIC_RETURN scope:SCOPE_SYS
	s_wait_loadcnt 0x0
	global_inv scope:SCOPE_SYS
	v_cmp_eq_u64_e32 vcc_lo, v[8:9], v[10:11]
	s_or_b32 s5, vcc_lo, s5
	s_wait_xcnt 0x0
	s_and_not1_b32 exec_lo, exec_lo, s5
	s_cbranch_execnz .LBB1_196
; %bb.197:
	s_or_b32 exec_lo, exec_lo, s5
.LBB1_198:
	s_delay_alu instid0(SALU_CYCLE_1)
	s_or_b32 exec_lo, exec_lo, s4
.LBB1_199:
	s_delay_alu instid0(SALU_CYCLE_1)
	s_or_b32 exec_lo, exec_lo, s1
	v_readfirstlane_b32 s4, v8
	v_mov_b32_e32 v31, 0
	v_readfirstlane_b32 s5, v9
	s_mov_b32 s1, exec_lo
	global_load_b64 v[10:11], v31, s[2:3] offset:40
	s_wait_loadcnt 0x1
	global_load_b128 v[0:3], v31, s[2:3]
	s_wait_loadcnt 0x1
	v_and_b32_e32 v8, s4, v10
	v_and_b32_e32 v9, s5, v11
	s_delay_alu instid0(VALU_DEP_1) | instskip(SKIP_1) | instid1(VALU_DEP_1)
	v_mul_u64_e32 v[10:11], 24, v[8:9]
	s_wait_loadcnt 0x0
	v_add_nc_u64_e32 v[10:11], v[0:1], v[10:11]
	s_wait_xcnt 0x0
	s_and_saveexec_b32 s6, s0
	s_cbranch_execz .LBB1_201
; %bb.200:
	v_mov_b64_e32 v[14:15], 0x100000002
	v_dual_mov_b32 v12, s1 :: v_dual_mov_b32 v13, v31
	global_store_b128 v[10:11], v[12:15], off offset:8
.LBB1_201:
	s_wait_xcnt 0x0
	s_or_b32 exec_lo, exec_lo, s6
	v_lshlrev_b64_e32 v[8:9], 12, v[8:9]
	s_mov_b32 s12, 0
	v_and_or_b32 v6, 0xffffff1f, v6, 32
	s_mov_b32 s14, s12
	s_mov_b32 s15, s12
	;; [unrolled: 1-line block ×3, first 2 shown]
	v_mov_b64_e32 v[16:17], s[14:15]
	v_add_nc_u64_e32 v[12:13], v[2:3], v[8:9]
	v_mov_b64_e32 v[14:15], s[12:13]
	v_dual_mov_b32 v8, v31 :: v_dual_mov_b32 v9, v31
	s_delay_alu instid0(VALU_DEP_3) | instskip(NEXT) | instid1(VALU_DEP_4)
	v_readfirstlane_b32 s6, v12
	v_readfirstlane_b32 s7, v13
	s_clause 0x3
	global_store_b128 v30, v[6:9], s[6:7]
	global_store_b128 v30, v[14:17], s[6:7] offset:16
	global_store_b128 v30, v[14:17], s[6:7] offset:32
	;; [unrolled: 1-line block ×3, first 2 shown]
	s_wait_xcnt 0x0
	s_and_saveexec_b32 s1, s0
	s_cbranch_execz .LBB1_209
; %bb.202:
	v_dual_mov_b32 v8, 0 :: v_dual_mov_b32 v15, s5
	s_mov_b32 s6, exec_lo
	s_clause 0x1
	global_load_b64 v[16:17], v8, s[2:3] offset:32 scope:SCOPE_SYS
	global_load_b64 v[2:3], v8, s[2:3] offset:40
	s_wait_loadcnt 0x0
	v_dual_mov_b32 v14, s4 :: v_dual_bitop2_b32 v3, s5, v3 bitop3:0x40
	v_and_b32_e32 v2, s4, v2
	s_delay_alu instid0(VALU_DEP_1) | instskip(NEXT) | instid1(VALU_DEP_1)
	v_mul_u64_e32 v[2:3], 24, v[2:3]
	v_add_nc_u64_e32 v[6:7], v[0:1], v[2:3]
	global_store_b64 v[6:7], v[16:17], off
	global_wb scope:SCOPE_SYS
	s_wait_storecnt 0x0
	s_wait_xcnt 0x0
	global_atomic_cmpswap_b64 v[2:3], v8, v[14:17], s[2:3] offset:32 th:TH_ATOMIC_RETURN scope:SCOPE_SYS
	s_wait_loadcnt 0x0
	v_cmpx_ne_u64_e64 v[2:3], v[16:17]
	s_cbranch_execz .LBB1_205
; %bb.203:
	s_mov_b32 s7, 0
.LBB1_204:                              ; =>This Inner Loop Header: Depth=1
	v_dual_mov_b32 v0, s4 :: v_dual_mov_b32 v1, s5
	s_sleep 1
	global_store_b64 v[6:7], v[2:3], off
	global_wb scope:SCOPE_SYS
	s_wait_storecnt 0x0
	s_wait_xcnt 0x0
	global_atomic_cmpswap_b64 v[0:1], v8, v[0:3], s[2:3] offset:32 th:TH_ATOMIC_RETURN scope:SCOPE_SYS
	s_wait_loadcnt 0x0
	v_cmp_eq_u64_e32 vcc_lo, v[0:1], v[2:3]
	v_mov_b64_e32 v[2:3], v[0:1]
	s_or_b32 s7, vcc_lo, s7
	s_delay_alu instid0(SALU_CYCLE_1)
	s_and_not1_b32 exec_lo, exec_lo, s7
	s_cbranch_execnz .LBB1_204
.LBB1_205:
	s_or_b32 exec_lo, exec_lo, s6
	v_mov_b32_e32 v3, 0
	s_mov_b32 s7, exec_lo
	s_mov_b32 s6, exec_lo
	v_mbcnt_lo_u32_b32 v2, s7, 0
	global_load_b64 v[0:1], v3, s[2:3] offset:16
	s_wait_xcnt 0x0
	v_cmpx_eq_u32_e32 0, v2
	s_cbranch_execz .LBB1_207
; %bb.206:
	s_bcnt1_i32_b32 s7, s7
	s_delay_alu instid0(SALU_CYCLE_1)
	v_mov_b32_e32 v2, s7
	global_wb scope:SCOPE_SYS
	s_wait_loadcnt 0x0
	s_wait_storecnt 0x0
	global_atomic_add_u64 v[0:1], v[2:3], off offset:8 scope:SCOPE_SYS
.LBB1_207:
	s_wait_xcnt 0x0
	s_or_b32 exec_lo, exec_lo, s6
	s_wait_loadcnt 0x0
	global_load_b64 v[2:3], v[0:1], off offset:16
	s_wait_loadcnt 0x0
	v_cmp_eq_u64_e32 vcc_lo, 0, v[2:3]
	s_cbranch_vccnz .LBB1_209
; %bb.208:
	global_load_b32 v0, v[0:1], off offset:24
	s_wait_xcnt 0x0
	v_mov_b32_e32 v1, 0
	s_wait_loadcnt 0x0
	v_readfirstlane_b32 s6, v0
	global_wb scope:SCOPE_SYS
	s_wait_storecnt 0x0
	global_store_b64 v[2:3], v[0:1], off scope:SCOPE_SYS
	s_and_b32 m0, s6, 0xffffff
	s_sendmsg sendmsg(MSG_INTERRUPT)
.LBB1_209:
	s_wait_xcnt 0x0
	s_or_b32 exec_lo, exec_lo, s1
	v_add_nc_u64_e32 v[0:1], v[12:13], v[30:31]
	s_branch .LBB1_213
.LBB1_210:                              ;   in Loop: Header=BB1_213 Depth=1
	s_wait_xcnt 0x0
	s_or_b32 exec_lo, exec_lo, s1
	s_delay_alu instid0(VALU_DEP_1)
	v_readfirstlane_b32 s1, v2
	s_cmp_eq_u32 s1, 0
	s_cbranch_scc1 .LBB1_212
; %bb.211:                              ;   in Loop: Header=BB1_213 Depth=1
	s_sleep 1
	s_cbranch_execnz .LBB1_213
	s_branch .LBB1_216
.LBB1_212:
	s_branch .LBB1_216
.LBB1_213:                              ; =>This Inner Loop Header: Depth=1
	v_mov_b32_e32 v2, 1
	s_and_saveexec_b32 s1, s0
	s_cbranch_execz .LBB1_210
; %bb.214:                              ;   in Loop: Header=BB1_213 Depth=1
	global_load_b32 v2, v[10:11], off offset:20 scope:SCOPE_SYS
	s_wait_loadcnt 0x0
	global_inv scope:SCOPE_SYS
	v_and_b32_e32 v2, 1, v2
	s_branch .LBB1_210
.LBB1_215:
	s_branch .LBB1_249
.LBB1_216:
	global_load_b64 v[0:1], v[0:1], off
	s_wait_xcnt 0x0
	s_and_saveexec_b32 s6, s0
	s_cbranch_execz .LBB1_220
; %bb.217:
	v_mov_b32_e32 v10, 0
	s_clause 0x2
	global_load_b64 v[2:3], v10, s[2:3] offset:40
	global_load_b64 v[14:15], v10, s[2:3] offset:24 scope:SCOPE_SYS
	global_load_b64 v[6:7], v10, s[2:3]
	s_wait_loadcnt 0x2
	v_readfirstlane_b32 s10, v2
	v_readfirstlane_b32 s11, v3
	s_add_nc_u64 s[0:1], s[10:11], 1
	s_delay_alu instid0(SALU_CYCLE_1) | instskip(NEXT) | instid1(SALU_CYCLE_1)
	s_add_nc_u64 s[4:5], s[0:1], s[4:5]
	s_cmp_eq_u64 s[4:5], 0
	s_cselect_b32 s1, s1, s5
	s_cselect_b32 s0, s0, s4
	v_mov_b32_e32 v13, s1
	s_and_b64 s[4:5], s[0:1], s[10:11]
	v_mov_b32_e32 v12, s0
	s_mul_u64 s[4:5], s[4:5], 24
	s_wait_loadcnt 0x0
	v_add_nc_u64_e32 v[2:3], s[4:5], v[6:7]
	global_store_b64 v[2:3], v[14:15], off
	global_wb scope:SCOPE_SYS
	s_wait_storecnt 0x0
	s_wait_xcnt 0x0
	global_atomic_cmpswap_b64 v[8:9], v10, v[12:15], s[2:3] offset:24 th:TH_ATOMIC_RETURN scope:SCOPE_SYS
	s_wait_loadcnt 0x0
	v_cmp_ne_u64_e32 vcc_lo, v[8:9], v[14:15]
	s_and_b32 exec_lo, exec_lo, vcc_lo
	s_cbranch_execz .LBB1_220
; %bb.218:
	s_mov_b32 s4, 0
.LBB1_219:                              ; =>This Inner Loop Header: Depth=1
	v_dual_mov_b32 v6, s0 :: v_dual_mov_b32 v7, s1
	s_sleep 1
	global_store_b64 v[2:3], v[8:9], off
	global_wb scope:SCOPE_SYS
	s_wait_storecnt 0x0
	s_wait_xcnt 0x0
	global_atomic_cmpswap_b64 v[6:7], v10, v[6:9], s[2:3] offset:24 th:TH_ATOMIC_RETURN scope:SCOPE_SYS
	s_wait_loadcnt 0x0
	v_cmp_eq_u64_e32 vcc_lo, v[6:7], v[8:9]
	v_mov_b64_e32 v[8:9], v[6:7]
	s_or_b32 s4, vcc_lo, s4
	s_delay_alu instid0(SALU_CYCLE_1)
	s_and_not1_b32 exec_lo, exec_lo, s4
	s_cbranch_execnz .LBB1_219
.LBB1_220:
	s_or_b32 exec_lo, exec_lo, s6
	s_get_pc_i64 s[4:5]
	s_add_nc_u64 s[4:5], s[4:5], .str.4@rel64+4
	s_delay_alu instid0(SALU_CYCLE_1)
	s_cmp_lg_u64 s[4:5], 0
	s_cbranch_scc1 .LBB1_115
.LBB1_221:
                                        ; implicit-def: $vgpr6_vgpr7
	s_cbranch_execz .LBB1_249
; %bb.222:
	v_readfirstlane_b32 s0, v48
	v_mov_b64_e32 v[2:3], 0
	s_delay_alu instid0(VALU_DEP_2)
	v_cmp_eq_u32_e64 s0, s0, v48
	s_and_saveexec_b32 s1, s0
	s_cbranch_execz .LBB1_228
; %bb.223:
	s_wait_loadcnt 0x0
	v_mov_b32_e32 v6, 0
	s_mov_b32 s4, exec_lo
	global_load_b64 v[10:11], v6, s[2:3] offset:24 scope:SCOPE_SYS
	s_wait_loadcnt 0x0
	global_inv scope:SCOPE_SYS
	s_clause 0x1
	global_load_b64 v[2:3], v6, s[2:3] offset:40
	global_load_b64 v[8:9], v6, s[2:3]
	s_wait_loadcnt 0x1
	v_and_b32_e32 v2, v2, v10
	v_and_b32_e32 v3, v3, v11
	s_delay_alu instid0(VALU_DEP_1) | instskip(SKIP_1) | instid1(VALU_DEP_1)
	v_mul_u64_e32 v[2:3], 24, v[2:3]
	s_wait_loadcnt 0x0
	v_add_nc_u64_e32 v[2:3], v[8:9], v[2:3]
	global_load_b64 v[8:9], v[2:3], off scope:SCOPE_SYS
	s_wait_xcnt 0x0
	s_wait_loadcnt 0x0
	global_atomic_cmpswap_b64 v[2:3], v6, v[8:11], s[2:3] offset:24 th:TH_ATOMIC_RETURN scope:SCOPE_SYS
	s_wait_loadcnt 0x0
	global_inv scope:SCOPE_SYS
	s_wait_xcnt 0x0
	v_cmpx_ne_u64_e64 v[2:3], v[10:11]
	s_cbranch_execz .LBB1_227
; %bb.224:
	s_mov_b32 s5, 0
.LBB1_225:                              ; =>This Inner Loop Header: Depth=1
	s_sleep 1
	s_clause 0x1
	global_load_b64 v[8:9], v6, s[2:3] offset:40
	global_load_b64 v[12:13], v6, s[2:3]
	v_mov_b64_e32 v[10:11], v[2:3]
	s_wait_loadcnt 0x1
	s_delay_alu instid0(VALU_DEP_1) | instskip(NEXT) | instid1(VALU_DEP_2)
	v_and_b32_e32 v2, v8, v10
	v_and_b32_e32 v7, v9, v11
	s_wait_loadcnt 0x0
	s_delay_alu instid0(VALU_DEP_2) | instskip(NEXT) | instid1(VALU_DEP_1)
	v_mad_nc_u64_u32 v[2:3], v2, 24, v[12:13]
	v_mad_u32 v3, v7, 24, v3
	global_load_b64 v[8:9], v[2:3], off scope:SCOPE_SYS
	s_wait_xcnt 0x0
	s_wait_loadcnt 0x0
	global_atomic_cmpswap_b64 v[2:3], v6, v[8:11], s[2:3] offset:24 th:TH_ATOMIC_RETURN scope:SCOPE_SYS
	s_wait_loadcnt 0x0
	global_inv scope:SCOPE_SYS
	v_cmp_eq_u64_e32 vcc_lo, v[2:3], v[10:11]
	s_or_b32 s5, vcc_lo, s5
	s_wait_xcnt 0x0
	s_and_not1_b32 exec_lo, exec_lo, s5
	s_cbranch_execnz .LBB1_225
; %bb.226:
	s_or_b32 exec_lo, exec_lo, s5
.LBB1_227:
	s_delay_alu instid0(SALU_CYCLE_1)
	s_or_b32 exec_lo, exec_lo, s4
.LBB1_228:
	s_delay_alu instid0(SALU_CYCLE_1)
	s_or_b32 exec_lo, exec_lo, s1
	v_readfirstlane_b32 s4, v2
	v_mov_b32_e32 v31, 0
	v_readfirstlane_b32 s5, v3
	s_mov_b32 s1, exec_lo
	global_load_b64 v[10:11], v31, s[2:3] offset:40
	s_wait_loadcnt 0x1
	global_load_b128 v[6:9], v31, s[2:3]
	s_wait_loadcnt 0x1
	v_and_b32_e32 v2, s4, v10
	v_and_b32_e32 v3, s5, v11
	s_delay_alu instid0(VALU_DEP_1) | instskip(SKIP_1) | instid1(VALU_DEP_1)
	v_mul_u64_e32 v[10:11], 24, v[2:3]
	s_wait_loadcnt 0x0
	v_add_nc_u64_e32 v[10:11], v[6:7], v[10:11]
	s_wait_xcnt 0x0
	s_and_saveexec_b32 s6, s0
	s_cbranch_execz .LBB1_230
; %bb.229:
	v_mov_b64_e32 v[14:15], 0x100000002
	v_dual_mov_b32 v12, s1 :: v_dual_mov_b32 v13, v31
	global_store_b128 v[10:11], v[12:15], off offset:8
.LBB1_230:
	s_wait_xcnt 0x0
	s_or_b32 exec_lo, exec_lo, s6
	v_lshlrev_b64_e32 v[2:3], 12, v[2:3]
	s_mov_b32 s12, 0
	v_and_or_b32 v0, 0xffffff1f, v0, 32
	s_mov_b32 s13, s12
	s_mov_b32 s14, s12
	;; [unrolled: 1-line block ×3, first 2 shown]
	v_mov_b64_e32 v[12:13], s[12:13]
	v_add_nc_u64_e32 v[8:9], v[8:9], v[2:3]
	v_mov_b64_e32 v[14:15], s[14:15]
	v_dual_mov_b32 v2, v31 :: v_dual_mov_b32 v3, v31
	s_delay_alu instid0(VALU_DEP_3) | instskip(NEXT) | instid1(VALU_DEP_4)
	v_readfirstlane_b32 s6, v8
	v_readfirstlane_b32 s7, v9
	s_clause 0x3
	global_store_b128 v30, v[0:3], s[6:7]
	global_store_b128 v30, v[12:15], s[6:7] offset:16
	global_store_b128 v30, v[12:15], s[6:7] offset:32
	;; [unrolled: 1-line block ×3, first 2 shown]
	s_wait_xcnt 0x0
	s_and_saveexec_b32 s1, s0
	s_cbranch_execz .LBB1_238
; %bb.231:
	v_dual_mov_b32 v12, 0 :: v_dual_mov_b32 v15, s5
	s_mov_b32 s6, exec_lo
	s_clause 0x1
	global_load_b64 v[16:17], v12, s[2:3] offset:32 scope:SCOPE_SYS
	global_load_b64 v[0:1], v12, s[2:3] offset:40
	s_wait_loadcnt 0x0
	v_dual_mov_b32 v14, s4 :: v_dual_bitop2_b32 v1, s5, v1 bitop3:0x40
	v_and_b32_e32 v0, s4, v0
	s_delay_alu instid0(VALU_DEP_1) | instskip(NEXT) | instid1(VALU_DEP_1)
	v_mul_u64_e32 v[0:1], 24, v[0:1]
	v_add_nc_u64_e32 v[6:7], v[6:7], v[0:1]
	global_store_b64 v[6:7], v[16:17], off
	global_wb scope:SCOPE_SYS
	s_wait_storecnt 0x0
	s_wait_xcnt 0x0
	global_atomic_cmpswap_b64 v[2:3], v12, v[14:17], s[2:3] offset:32 th:TH_ATOMIC_RETURN scope:SCOPE_SYS
	s_wait_loadcnt 0x0
	v_cmpx_ne_u64_e64 v[2:3], v[16:17]
	s_cbranch_execz .LBB1_234
; %bb.232:
	s_mov_b32 s7, 0
.LBB1_233:                              ; =>This Inner Loop Header: Depth=1
	v_dual_mov_b32 v0, s4 :: v_dual_mov_b32 v1, s5
	s_sleep 1
	global_store_b64 v[6:7], v[2:3], off
	global_wb scope:SCOPE_SYS
	s_wait_storecnt 0x0
	s_wait_xcnt 0x0
	global_atomic_cmpswap_b64 v[0:1], v12, v[0:3], s[2:3] offset:32 th:TH_ATOMIC_RETURN scope:SCOPE_SYS
	s_wait_loadcnt 0x0
	v_cmp_eq_u64_e32 vcc_lo, v[0:1], v[2:3]
	v_mov_b64_e32 v[2:3], v[0:1]
	s_or_b32 s7, vcc_lo, s7
	s_delay_alu instid0(SALU_CYCLE_1)
	s_and_not1_b32 exec_lo, exec_lo, s7
	s_cbranch_execnz .LBB1_233
.LBB1_234:
	s_or_b32 exec_lo, exec_lo, s6
	v_mov_b32_e32 v3, 0
	s_mov_b32 s7, exec_lo
	s_mov_b32 s6, exec_lo
	v_mbcnt_lo_u32_b32 v2, s7, 0
	global_load_b64 v[0:1], v3, s[2:3] offset:16
	s_wait_xcnt 0x0
	v_cmpx_eq_u32_e32 0, v2
	s_cbranch_execz .LBB1_236
; %bb.235:
	s_bcnt1_i32_b32 s7, s7
	s_delay_alu instid0(SALU_CYCLE_1)
	v_mov_b32_e32 v2, s7
	global_wb scope:SCOPE_SYS
	s_wait_loadcnt 0x0
	s_wait_storecnt 0x0
	global_atomic_add_u64 v[0:1], v[2:3], off offset:8 scope:SCOPE_SYS
.LBB1_236:
	s_wait_xcnt 0x0
	s_or_b32 exec_lo, exec_lo, s6
	s_wait_loadcnt 0x0
	global_load_b64 v[2:3], v[0:1], off offset:16
	s_wait_loadcnt 0x0
	v_cmp_eq_u64_e32 vcc_lo, 0, v[2:3]
	s_cbranch_vccnz .LBB1_238
; %bb.237:
	global_load_b32 v0, v[0:1], off offset:24
	s_wait_xcnt 0x0
	v_mov_b32_e32 v1, 0
	s_wait_loadcnt 0x0
	v_readfirstlane_b32 s6, v0
	global_wb scope:SCOPE_SYS
	s_wait_storecnt 0x0
	global_store_b64 v[2:3], v[0:1], off scope:SCOPE_SYS
	s_and_b32 m0, s6, 0xffffff
	s_sendmsg sendmsg(MSG_INTERRUPT)
.LBB1_238:
	s_wait_xcnt 0x0
	s_or_b32 exec_lo, exec_lo, s1
	v_add_nc_u64_e32 v[0:1], v[8:9], v[30:31]
	s_branch .LBB1_242
.LBB1_239:                              ;   in Loop: Header=BB1_242 Depth=1
	s_wait_xcnt 0x0
	s_or_b32 exec_lo, exec_lo, s1
	s_delay_alu instid0(VALU_DEP_1)
	v_readfirstlane_b32 s1, v2
	s_cmp_eq_u32 s1, 0
	s_cbranch_scc1 .LBB1_241
; %bb.240:                              ;   in Loop: Header=BB1_242 Depth=1
	s_sleep 1
	s_cbranch_execnz .LBB1_242
	s_branch .LBB1_244
.LBB1_241:
	s_branch .LBB1_244
.LBB1_242:                              ; =>This Inner Loop Header: Depth=1
	v_mov_b32_e32 v2, 1
	s_and_saveexec_b32 s1, s0
	s_cbranch_execz .LBB1_239
; %bb.243:                              ;   in Loop: Header=BB1_242 Depth=1
	global_load_b32 v2, v[10:11], off offset:20 scope:SCOPE_SYS
	s_wait_loadcnt 0x0
	global_inv scope:SCOPE_SYS
	v_and_b32_e32 v2, 1, v2
	s_branch .LBB1_239
.LBB1_244:
	global_load_b64 v[6:7], v[0:1], off
	s_wait_xcnt 0x0
	s_and_saveexec_b32 s6, s0
	s_cbranch_execz .LBB1_248
; %bb.245:
	v_mov_b32_e32 v10, 0
	s_clause 0x2
	global_load_b64 v[0:1], v10, s[2:3] offset:40
	global_load_b64 v[14:15], v10, s[2:3] offset:24 scope:SCOPE_SYS
	global_load_b64 v[2:3], v10, s[2:3]
	s_wait_loadcnt 0x2
	v_readfirstlane_b32 s10, v0
	v_readfirstlane_b32 s11, v1
	s_add_nc_u64 s[0:1], s[10:11], 1
	s_delay_alu instid0(SALU_CYCLE_1) | instskip(NEXT) | instid1(SALU_CYCLE_1)
	s_add_nc_u64 s[4:5], s[0:1], s[4:5]
	s_cmp_eq_u64 s[4:5], 0
	s_cselect_b32 s1, s1, s5
	s_cselect_b32 s0, s0, s4
	v_mov_b32_e32 v13, s1
	s_and_b64 s[4:5], s[0:1], s[10:11]
	v_mov_b32_e32 v12, s0
	s_mul_u64 s[4:5], s[4:5], 24
	s_wait_loadcnt 0x0
	v_add_nc_u64_e32 v[8:9], s[4:5], v[2:3]
	global_store_b64 v[8:9], v[14:15], off
	global_wb scope:SCOPE_SYS
	s_wait_storecnt 0x0
	s_wait_xcnt 0x0
	global_atomic_cmpswap_b64 v[2:3], v10, v[12:15], s[2:3] offset:24 th:TH_ATOMIC_RETURN scope:SCOPE_SYS
	s_wait_loadcnt 0x0
	v_cmp_ne_u64_e32 vcc_lo, v[2:3], v[14:15]
	s_and_b32 exec_lo, exec_lo, vcc_lo
	s_cbranch_execz .LBB1_248
; %bb.246:
	s_mov_b32 s4, 0
.LBB1_247:                              ; =>This Inner Loop Header: Depth=1
	v_dual_mov_b32 v0, s0 :: v_dual_mov_b32 v1, s1
	s_sleep 1
	global_store_b64 v[8:9], v[2:3], off
	global_wb scope:SCOPE_SYS
	s_wait_storecnt 0x0
	s_wait_xcnt 0x0
	global_atomic_cmpswap_b64 v[0:1], v10, v[0:3], s[2:3] offset:24 th:TH_ATOMIC_RETURN scope:SCOPE_SYS
	s_wait_loadcnt 0x0
	v_cmp_eq_u64_e32 vcc_lo, v[0:1], v[2:3]
	v_mov_b64_e32 v[2:3], v[0:1]
	s_or_b32 s4, vcc_lo, s4
	s_delay_alu instid0(SALU_CYCLE_1)
	s_and_not1_b32 exec_lo, exec_lo, s4
	s_cbranch_execnz .LBB1_247
.LBB1_248:
	s_or_b32 exec_lo, exec_lo, s6
.LBB1_249:
	v_readfirstlane_b32 s0, v48
	v_mov_b64_e32 v[8:9], 0
	s_delay_alu instid0(VALU_DEP_2)
	v_cmp_eq_u32_e64 s0, s0, v48
	s_and_saveexec_b32 s1, s0
	s_cbranch_execz .LBB1_255
; %bb.250:
	s_wait_loadcnt 0x0
	v_mov_b32_e32 v0, 0
	s_mov_b32 s4, exec_lo
	global_load_b64 v[10:11], v0, s[2:3] offset:24 scope:SCOPE_SYS
	s_wait_loadcnt 0x0
	global_inv scope:SCOPE_SYS
	s_clause 0x1
	global_load_b64 v[2:3], v0, s[2:3] offset:40
	global_load_b64 v[8:9], v0, s[2:3]
	s_wait_loadcnt 0x1
	v_and_b32_e32 v2, v2, v10
	v_and_b32_e32 v3, v3, v11
	s_delay_alu instid0(VALU_DEP_1) | instskip(SKIP_1) | instid1(VALU_DEP_1)
	v_mul_u64_e32 v[2:3], 24, v[2:3]
	s_wait_loadcnt 0x0
	v_add_nc_u64_e32 v[2:3], v[8:9], v[2:3]
	global_load_b64 v[8:9], v[2:3], off scope:SCOPE_SYS
	s_wait_xcnt 0x0
	s_wait_loadcnt 0x0
	global_atomic_cmpswap_b64 v[8:9], v0, v[8:11], s[2:3] offset:24 th:TH_ATOMIC_RETURN scope:SCOPE_SYS
	s_wait_loadcnt 0x0
	global_inv scope:SCOPE_SYS
	s_wait_xcnt 0x0
	v_cmpx_ne_u64_e64 v[8:9], v[10:11]
	s_cbranch_execz .LBB1_254
; %bb.251:
	s_mov_b32 s5, 0
.LBB1_252:                              ; =>This Inner Loop Header: Depth=1
	s_sleep 1
	s_clause 0x1
	global_load_b64 v[2:3], v0, s[2:3] offset:40
	global_load_b64 v[12:13], v0, s[2:3]
	v_mov_b64_e32 v[10:11], v[8:9]
	s_wait_loadcnt 0x1
	s_delay_alu instid0(VALU_DEP_1) | instskip(SKIP_1) | instid1(VALU_DEP_1)
	v_and_b32_e32 v1, v2, v10
	s_wait_loadcnt 0x0
	v_mad_nc_u64_u32 v[8:9], v1, 24, v[12:13]
	s_delay_alu instid0(VALU_DEP_3) | instskip(NEXT) | instid1(VALU_DEP_1)
	v_and_b32_e32 v1, v3, v11
	v_mad_u32 v9, v1, 24, v9
	global_load_b64 v[8:9], v[8:9], off scope:SCOPE_SYS
	s_wait_xcnt 0x0
	s_wait_loadcnt 0x0
	global_atomic_cmpswap_b64 v[8:9], v0, v[8:11], s[2:3] offset:24 th:TH_ATOMIC_RETURN scope:SCOPE_SYS
	s_wait_loadcnt 0x0
	global_inv scope:SCOPE_SYS
	v_cmp_eq_u64_e32 vcc_lo, v[8:9], v[10:11]
	s_or_b32 s5, vcc_lo, s5
	s_wait_xcnt 0x0
	s_and_not1_b32 exec_lo, exec_lo, s5
	s_cbranch_execnz .LBB1_252
; %bb.253:
	s_or_b32 exec_lo, exec_lo, s5
.LBB1_254:
	s_delay_alu instid0(SALU_CYCLE_1)
	s_or_b32 exec_lo, exec_lo, s4
.LBB1_255:
	s_delay_alu instid0(SALU_CYCLE_1)
	s_or_b32 exec_lo, exec_lo, s1
	v_readfirstlane_b32 s4, v8
	v_mov_b32_e32 v31, 0
	v_readfirstlane_b32 s5, v9
	s_mov_b32 s1, exec_lo
	global_load_b64 v[10:11], v31, s[2:3] offset:40
	s_wait_loadcnt 0x1
	global_load_b128 v[0:3], v31, s[2:3]
	s_wait_loadcnt 0x1
	v_and_b32_e32 v8, s4, v10
	v_and_b32_e32 v9, s5, v11
	s_delay_alu instid0(VALU_DEP_1) | instskip(SKIP_1) | instid1(VALU_DEP_1)
	v_mul_u64_e32 v[10:11], 24, v[8:9]
	s_wait_loadcnt 0x0
	v_add_nc_u64_e32 v[10:11], v[0:1], v[10:11]
	s_wait_xcnt 0x0
	s_and_saveexec_b32 s6, s0
	s_cbranch_execz .LBB1_257
; %bb.256:
	v_mov_b64_e32 v[14:15], 0x100000002
	v_dual_mov_b32 v12, s1 :: v_dual_mov_b32 v13, v31
	global_store_b128 v[10:11], v[12:15], off offset:8
.LBB1_257:
	s_wait_xcnt 0x0
	s_or_b32 exec_lo, exec_lo, s6
	v_lshlrev_b64_e32 v[8:9], 12, v[8:9]
	s_mov_b32 s12, 0
	v_and_or_b32 v6, 0xffffff1f, v6, 32
	s_mov_b32 s14, s12
	s_mov_b32 s15, s12
	s_mov_b32 s13, s12
	v_mov_b64_e32 v[16:17], s[14:15]
	v_add_nc_u64_e32 v[12:13], v[2:3], v[8:9]
	v_mov_b64_e32 v[14:15], s[12:13]
	v_dual_mov_b32 v8, 0x331 :: v_dual_mov_b32 v9, v31
	s_delay_alu instid0(VALU_DEP_3) | instskip(NEXT) | instid1(VALU_DEP_4)
	v_readfirstlane_b32 s6, v12
	v_readfirstlane_b32 s7, v13
	s_clause 0x3
	global_store_b128 v30, v[6:9], s[6:7]
	global_store_b128 v30, v[14:17], s[6:7] offset:16
	global_store_b128 v30, v[14:17], s[6:7] offset:32
	;; [unrolled: 1-line block ×3, first 2 shown]
	s_wait_xcnt 0x0
	s_and_saveexec_b32 s1, s0
	s_cbranch_execz .LBB1_265
; %bb.258:
	v_dual_mov_b32 v8, 0 :: v_dual_mov_b32 v15, s5
	s_mov_b32 s6, exec_lo
	s_clause 0x1
	global_load_b64 v[16:17], v8, s[2:3] offset:32 scope:SCOPE_SYS
	global_load_b64 v[2:3], v8, s[2:3] offset:40
	s_wait_loadcnt 0x0
	v_dual_mov_b32 v14, s4 :: v_dual_bitop2_b32 v3, s5, v3 bitop3:0x40
	v_and_b32_e32 v2, s4, v2
	s_delay_alu instid0(VALU_DEP_1) | instskip(NEXT) | instid1(VALU_DEP_1)
	v_mul_u64_e32 v[2:3], 24, v[2:3]
	v_add_nc_u64_e32 v[6:7], v[0:1], v[2:3]
	global_store_b64 v[6:7], v[16:17], off
	global_wb scope:SCOPE_SYS
	s_wait_storecnt 0x0
	s_wait_xcnt 0x0
	global_atomic_cmpswap_b64 v[2:3], v8, v[14:17], s[2:3] offset:32 th:TH_ATOMIC_RETURN scope:SCOPE_SYS
	s_wait_loadcnt 0x0
	v_cmpx_ne_u64_e64 v[2:3], v[16:17]
	s_cbranch_execz .LBB1_261
; %bb.259:
	s_mov_b32 s7, 0
.LBB1_260:                              ; =>This Inner Loop Header: Depth=1
	v_dual_mov_b32 v0, s4 :: v_dual_mov_b32 v1, s5
	s_sleep 1
	global_store_b64 v[6:7], v[2:3], off
	global_wb scope:SCOPE_SYS
	s_wait_storecnt 0x0
	s_wait_xcnt 0x0
	global_atomic_cmpswap_b64 v[0:1], v8, v[0:3], s[2:3] offset:32 th:TH_ATOMIC_RETURN scope:SCOPE_SYS
	s_wait_loadcnt 0x0
	v_cmp_eq_u64_e32 vcc_lo, v[0:1], v[2:3]
	v_mov_b64_e32 v[2:3], v[0:1]
	s_or_b32 s7, vcc_lo, s7
	s_delay_alu instid0(SALU_CYCLE_1)
	s_and_not1_b32 exec_lo, exec_lo, s7
	s_cbranch_execnz .LBB1_260
.LBB1_261:
	s_or_b32 exec_lo, exec_lo, s6
	v_mov_b32_e32 v3, 0
	s_mov_b32 s7, exec_lo
	s_mov_b32 s6, exec_lo
	v_mbcnt_lo_u32_b32 v2, s7, 0
	global_load_b64 v[0:1], v3, s[2:3] offset:16
	s_wait_xcnt 0x0
	v_cmpx_eq_u32_e32 0, v2
	s_cbranch_execz .LBB1_263
; %bb.262:
	s_bcnt1_i32_b32 s7, s7
	s_delay_alu instid0(SALU_CYCLE_1)
	v_mov_b32_e32 v2, s7
	global_wb scope:SCOPE_SYS
	s_wait_loadcnt 0x0
	s_wait_storecnt 0x0
	global_atomic_add_u64 v[0:1], v[2:3], off offset:8 scope:SCOPE_SYS
.LBB1_263:
	s_wait_xcnt 0x0
	s_or_b32 exec_lo, exec_lo, s6
	s_wait_loadcnt 0x0
	global_load_b64 v[2:3], v[0:1], off offset:16
	s_wait_loadcnt 0x0
	v_cmp_eq_u64_e32 vcc_lo, 0, v[2:3]
	s_cbranch_vccnz .LBB1_265
; %bb.264:
	global_load_b32 v0, v[0:1], off offset:24
	s_wait_xcnt 0x0
	v_mov_b32_e32 v1, 0
	s_wait_loadcnt 0x0
	v_readfirstlane_b32 s6, v0
	global_wb scope:SCOPE_SYS
	s_wait_storecnt 0x0
	global_store_b64 v[2:3], v[0:1], off scope:SCOPE_SYS
	s_and_b32 m0, s6, 0xffffff
	s_sendmsg sendmsg(MSG_INTERRUPT)
.LBB1_265:
	s_wait_xcnt 0x0
	s_or_b32 exec_lo, exec_lo, s1
	v_add_nc_u64_e32 v[0:1], v[12:13], v[30:31]
	s_branch .LBB1_269
.LBB1_266:                              ;   in Loop: Header=BB1_269 Depth=1
	s_wait_xcnt 0x0
	s_or_b32 exec_lo, exec_lo, s1
	s_delay_alu instid0(VALU_DEP_1)
	v_readfirstlane_b32 s1, v2
	s_cmp_eq_u32 s1, 0
	s_cbranch_scc1 .LBB1_268
; %bb.267:                              ;   in Loop: Header=BB1_269 Depth=1
	s_sleep 1
	s_cbranch_execnz .LBB1_269
	s_branch .LBB1_271
.LBB1_268:
	s_branch .LBB1_271
.LBB1_269:                              ; =>This Inner Loop Header: Depth=1
	v_mov_b32_e32 v2, 1
	s_and_saveexec_b32 s1, s0
	s_cbranch_execz .LBB1_266
; %bb.270:                              ;   in Loop: Header=BB1_269 Depth=1
	global_load_b32 v2, v[10:11], off offset:20 scope:SCOPE_SYS
	s_wait_loadcnt 0x0
	global_inv scope:SCOPE_SYS
	v_and_b32_e32 v2, 1, v2
	s_branch .LBB1_266
.LBB1_271:
	global_load_b64 v[0:1], v[0:1], off
	s_wait_xcnt 0x0
	s_and_saveexec_b32 s6, s0
	s_cbranch_execz .LBB1_275
; %bb.272:
	v_mov_b32_e32 v10, 0
	s_clause 0x2
	global_load_b64 v[2:3], v10, s[2:3] offset:40
	global_load_b64 v[14:15], v10, s[2:3] offset:24 scope:SCOPE_SYS
	global_load_b64 v[6:7], v10, s[2:3]
	s_wait_loadcnt 0x2
	v_readfirstlane_b32 s10, v2
	v_readfirstlane_b32 s11, v3
	s_add_nc_u64 s[0:1], s[10:11], 1
	s_delay_alu instid0(SALU_CYCLE_1) | instskip(NEXT) | instid1(SALU_CYCLE_1)
	s_add_nc_u64 s[4:5], s[0:1], s[4:5]
	s_cmp_eq_u64 s[4:5], 0
	s_cselect_b32 s1, s1, s5
	s_cselect_b32 s0, s0, s4
	v_mov_b32_e32 v13, s1
	s_and_b64 s[4:5], s[0:1], s[10:11]
	v_mov_b32_e32 v12, s0
	s_mul_u64 s[4:5], s[4:5], 24
	s_wait_loadcnt 0x0
	v_add_nc_u64_e32 v[2:3], s[4:5], v[6:7]
	global_store_b64 v[2:3], v[14:15], off
	global_wb scope:SCOPE_SYS
	s_wait_storecnt 0x0
	s_wait_xcnt 0x0
	global_atomic_cmpswap_b64 v[8:9], v10, v[12:15], s[2:3] offset:24 th:TH_ATOMIC_RETURN scope:SCOPE_SYS
	s_wait_loadcnt 0x0
	v_cmp_ne_u64_e32 vcc_lo, v[8:9], v[14:15]
	s_and_b32 exec_lo, exec_lo, vcc_lo
	s_cbranch_execz .LBB1_275
; %bb.273:
	s_mov_b32 s4, 0
.LBB1_274:                              ; =>This Inner Loop Header: Depth=1
	v_dual_mov_b32 v6, s0 :: v_dual_mov_b32 v7, s1
	s_sleep 1
	global_store_b64 v[2:3], v[8:9], off
	global_wb scope:SCOPE_SYS
	s_wait_storecnt 0x0
	s_wait_xcnt 0x0
	global_atomic_cmpswap_b64 v[6:7], v10, v[6:9], s[2:3] offset:24 th:TH_ATOMIC_RETURN scope:SCOPE_SYS
	s_wait_loadcnt 0x0
	v_cmp_eq_u64_e32 vcc_lo, v[6:7], v[8:9]
	v_mov_b64_e32 v[8:9], v[6:7]
	s_or_b32 s4, vcc_lo, s4
	s_delay_alu instid0(SALU_CYCLE_1)
	s_and_not1_b32 exec_lo, exec_lo, s4
	s_cbranch_execnz .LBB1_274
.LBB1_275:
	s_or_b32 exec_lo, exec_lo, s6
	v_mov_b64_e32 v[2:3], v[4:5]
	s_mov_b32 s0, 0
.LBB1_276:                              ; =>This Inner Loop Header: Depth=1
	global_load_u8 v6, v[2:3], off
	s_wait_xcnt 0x0
	v_add_nc_u64_e32 v[2:3], 1, v[2:3]
	s_wait_loadcnt 0x0
	v_cmp_eq_u16_e32 vcc_lo, 0, v6
	s_or_b32 s0, vcc_lo, s0
	s_delay_alu instid0(SALU_CYCLE_1)
	s_and_not1_b32 exec_lo, exec_lo, s0
	s_cbranch_execnz .LBB1_276
; %bb.277:
	s_or_b32 exec_lo, exec_lo, s0
	s_delay_alu instid0(SALU_CYCLE_1)
	s_mov_b32 s0, exec_lo
	v_cmpx_ne_u64_e32 0, v[4:5]
	s_xor_b32 s6, exec_lo, s0
	s_cbranch_execz .LBB1_363
; %bb.278:
	v_dual_mov_b32 v31, 0 :: v_dual_sub_nc_u32 v26, v2, v4
	v_mov_b64_e32 v[8:9], 0x100000002
	v_and_b32_e32 v28, 2, v0
	s_delay_alu instid0(VALU_DEP_3)
	v_dual_ashrrev_i32 v27, 31, v26 :: v_dual_bitop2_b32 v0, -3, v0 bitop3:0x40
	s_mov_b32 s10, 0
	s_mov_b32 s7, 0
	s_branch .LBB1_280
.LBB1_279:                              ;   in Loop: Header=BB1_280 Depth=1
	s_or_b32 exec_lo, exec_lo, s11
	v_sub_nc_u64_e32 v[26:27], v[26:27], v[32:33]
	v_add_nc_u64_e32 v[4:5], v[4:5], v[32:33]
	s_delay_alu instid0(VALU_DEP_2) | instskip(SKIP_1) | instid1(SALU_CYCLE_1)
	v_cmp_eq_u64_e32 vcc_lo, 0, v[26:27]
	s_or_b32 s7, vcc_lo, s7
	s_and_not1_b32 exec_lo, exec_lo, s7
	s_cbranch_execz .LBB1_362
.LBB1_280:                              ; =>This Loop Header: Depth=1
                                        ;     Child Loop BB1_283 Depth 2
                                        ;     Child Loop BB1_291 Depth 2
	;; [unrolled: 1-line block ×11, first 2 shown]
	s_delay_alu instid0(VALU_DEP_1) | instskip(NEXT) | instid1(VALU_DEP_3)
	v_min_u64 v[32:33], v[26:27], 56
	v_add_nc_u64_e32 v[12:13], 8, v[4:5]
	s_mov_b32 s0, exec_lo
	v_cmpx_gt_u64_e32 8, v[26:27]
	s_xor_b32 s4, exec_lo, s0
	s_cbranch_execz .LBB1_286
; %bb.281:                              ;   in Loop: Header=BB1_280 Depth=1
	v_mov_b64_e32 v[2:3], 0
	s_mov_b32 s5, exec_lo
	v_cmpx_ne_u64_e32 0, v[26:27]
	s_cbranch_execz .LBB1_285
; %bb.282:                              ;   in Loop: Header=BB1_280 Depth=1
	v_mov_b64_e32 v[2:3], 0
	v_mov_b64_e32 v[10:11], v[4:5]
	v_lshlrev_b32_e32 v6, 3, v32
	s_mov_b64 s[0:1], 0
	s_mov_b32 s11, 0
.LBB1_283:                              ;   Parent Loop BB1_280 Depth=1
                                        ; =>  This Inner Loop Header: Depth=2
	global_load_u8 v7, v[10:11], off
	v_mov_b32_e32 v13, s10
	s_wait_xcnt 0x0
	v_add_nc_u64_e32 v[10:11], 1, v[10:11]
	s_wait_loadcnt 0x0
	v_and_b32_e32 v12, 0xffff, v7
	s_delay_alu instid0(VALU_DEP_1) | instskip(SKIP_1) | instid1(SALU_CYCLE_1)
	v_lshlrev_b64_e32 v[12:13], s0, v[12:13]
	s_add_nc_u64 s[0:1], s[0:1], 8
	v_cmp_eq_u32_e32 vcc_lo, s0, v6
	s_delay_alu instid0(VALU_DEP_2) | instskip(NEXT) | instid1(VALU_DEP_3)
	v_or_b32_e32 v3, v13, v3
	v_or_b32_e32 v2, v12, v2
	s_or_b32 s11, vcc_lo, s11
	s_delay_alu instid0(SALU_CYCLE_1)
	s_and_not1_b32 exec_lo, exec_lo, s11
	s_cbranch_execnz .LBB1_283
; %bb.284:                              ;   in Loop: Header=BB1_280 Depth=1
	s_or_b32 exec_lo, exec_lo, s11
.LBB1_285:                              ;   in Loop: Header=BB1_280 Depth=1
	s_delay_alu instid0(SALU_CYCLE_1)
	s_or_b32 exec_lo, exec_lo, s5
	v_mov_b64_e32 v[12:13], v[4:5]
.LBB1_286:                              ;   in Loop: Header=BB1_280 Depth=1
	s_or_saveexec_b32 s0, s4
	v_mov_b32_e32 v14, 0
	s_xor_b32 exec_lo, exec_lo, s0
	s_cbranch_execz .LBB1_288
; %bb.287:                              ;   in Loop: Header=BB1_280 Depth=1
	global_load_b64 v[2:3], v[4:5], off
	v_add_nc_u32_e32 v14, -8, v32
.LBB1_288:                              ;   in Loop: Header=BB1_280 Depth=1
	s_wait_xcnt 0x0
	s_or_b32 exec_lo, exec_lo, s0
	v_add_nc_u64_e32 v[6:7], 8, v[12:13]
                                        ; implicit-def: $vgpr10_vgpr11
	s_mov_b32 s0, exec_lo
	v_cmpx_gt_u32_e32 8, v14
	s_xor_b32 s11, exec_lo, s0
	s_cbranch_execz .LBB1_294
; %bb.289:                              ;   in Loop: Header=BB1_280 Depth=1
	v_mov_b64_e32 v[10:11], 0
	s_mov_b32 s12, exec_lo
	v_cmpx_ne_u32_e32 0, v14
	s_cbranch_execz .LBB1_293
; %bb.290:                              ;   in Loop: Header=BB1_280 Depth=1
	v_mov_b64_e32 v[10:11], 0
	s_mov_b64 s[0:1], 0
	s_mov_b32 s13, 0
	s_mov_b64 s[4:5], 0
.LBB1_291:                              ;   Parent Loop BB1_280 Depth=1
                                        ; =>  This Inner Loop Header: Depth=2
	s_delay_alu instid0(SALU_CYCLE_1) | instskip(SKIP_1) | instid1(SALU_CYCLE_1)
	v_add_nc_u64_e32 v[6:7], s[4:5], v[12:13]
	s_add_nc_u64 s[4:5], s[4:5], 1
	v_cmp_eq_u32_e32 vcc_lo, s4, v14
	global_load_u8 v6, v[6:7], off
	s_wait_xcnt 0x0
	v_mov_b32_e32 v7, s10
	s_or_b32 s13, vcc_lo, s13
	s_wait_loadcnt 0x0
	v_and_b32_e32 v6, 0xffff, v6
	s_delay_alu instid0(VALU_DEP_1) | instskip(SKIP_1) | instid1(VALU_DEP_1)
	v_lshlrev_b64_e32 v[6:7], s0, v[6:7]
	s_add_nc_u64 s[0:1], s[0:1], 8
	v_or_b32_e32 v11, v7, v11
	s_delay_alu instid0(VALU_DEP_2)
	v_or_b32_e32 v10, v6, v10
	s_and_not1_b32 exec_lo, exec_lo, s13
	s_cbranch_execnz .LBB1_291
; %bb.292:                              ;   in Loop: Header=BB1_280 Depth=1
	s_or_b32 exec_lo, exec_lo, s13
.LBB1_293:                              ;   in Loop: Header=BB1_280 Depth=1
	s_delay_alu instid0(SALU_CYCLE_1)
	s_or_b32 exec_lo, exec_lo, s12
	v_mov_b64_e32 v[6:7], v[12:13]
                                        ; implicit-def: $vgpr14
.LBB1_294:                              ;   in Loop: Header=BB1_280 Depth=1
	s_or_saveexec_b32 s0, s11
	v_mov_b32_e32 v15, 0
	s_xor_b32 exec_lo, exec_lo, s0
	s_cbranch_execz .LBB1_296
; %bb.295:                              ;   in Loop: Header=BB1_280 Depth=1
	global_load_b64 v[10:11], v[12:13], off
	v_add_nc_u32_e32 v15, -8, v14
.LBB1_296:                              ;   in Loop: Header=BB1_280 Depth=1
	s_wait_xcnt 0x0
	s_or_b32 exec_lo, exec_lo, s0
	v_add_nc_u64_e32 v[16:17], 8, v[6:7]
	s_mov_b32 s0, exec_lo
	v_cmpx_gt_u32_e32 8, v15
	s_xor_b32 s11, exec_lo, s0
	s_cbranch_execz .LBB1_302
; %bb.297:                              ;   in Loop: Header=BB1_280 Depth=1
	v_mov_b64_e32 v[12:13], 0
	s_mov_b32 s12, exec_lo
	v_cmpx_ne_u32_e32 0, v15
	s_cbranch_execz .LBB1_301
; %bb.298:                              ;   in Loop: Header=BB1_280 Depth=1
	v_mov_b64_e32 v[12:13], 0
	s_mov_b64 s[0:1], 0
	s_mov_b32 s13, 0
	s_mov_b64 s[4:5], 0
.LBB1_299:                              ;   Parent Loop BB1_280 Depth=1
                                        ; =>  This Inner Loop Header: Depth=2
	s_delay_alu instid0(SALU_CYCLE_1) | instskip(SKIP_1) | instid1(SALU_CYCLE_1)
	v_add_nc_u64_e32 v[16:17], s[4:5], v[6:7]
	s_add_nc_u64 s[4:5], s[4:5], 1
	v_cmp_eq_u32_e32 vcc_lo, s4, v15
	global_load_u8 v14, v[16:17], off
	s_wait_xcnt 0x0
	v_mov_b32_e32 v17, s10
	s_or_b32 s13, vcc_lo, s13
	s_wait_loadcnt 0x0
	v_and_b32_e32 v16, 0xffff, v14
	s_delay_alu instid0(VALU_DEP_1) | instskip(SKIP_1) | instid1(VALU_DEP_1)
	v_lshlrev_b64_e32 v[16:17], s0, v[16:17]
	s_add_nc_u64 s[0:1], s[0:1], 8
	v_or_b32_e32 v13, v17, v13
	s_delay_alu instid0(VALU_DEP_2)
	v_or_b32_e32 v12, v16, v12
	s_and_not1_b32 exec_lo, exec_lo, s13
	s_cbranch_execnz .LBB1_299
; %bb.300:                              ;   in Loop: Header=BB1_280 Depth=1
	s_or_b32 exec_lo, exec_lo, s13
.LBB1_301:                              ;   in Loop: Header=BB1_280 Depth=1
	s_delay_alu instid0(SALU_CYCLE_1)
	s_or_b32 exec_lo, exec_lo, s12
	v_mov_b64_e32 v[16:17], v[6:7]
                                        ; implicit-def: $vgpr15
.LBB1_302:                              ;   in Loop: Header=BB1_280 Depth=1
	s_or_saveexec_b32 s0, s11
	v_mov_b32_e32 v18, 0
	s_xor_b32 exec_lo, exec_lo, s0
	s_cbranch_execz .LBB1_304
; %bb.303:                              ;   in Loop: Header=BB1_280 Depth=1
	global_load_b64 v[12:13], v[6:7], off
	v_add_nc_u32_e32 v18, -8, v15
.LBB1_304:                              ;   in Loop: Header=BB1_280 Depth=1
	s_wait_xcnt 0x0
	s_or_b32 exec_lo, exec_lo, s0
	v_add_nc_u64_e32 v[6:7], 8, v[16:17]
                                        ; implicit-def: $vgpr14_vgpr15
	s_mov_b32 s0, exec_lo
	v_cmpx_gt_u32_e32 8, v18
	s_xor_b32 s11, exec_lo, s0
	s_cbranch_execz .LBB1_310
; %bb.305:                              ;   in Loop: Header=BB1_280 Depth=1
	v_mov_b64_e32 v[14:15], 0
	s_mov_b32 s12, exec_lo
	v_cmpx_ne_u32_e32 0, v18
	s_cbranch_execz .LBB1_309
; %bb.306:                              ;   in Loop: Header=BB1_280 Depth=1
	v_mov_b64_e32 v[14:15], 0
	s_mov_b64 s[0:1], 0
	s_mov_b32 s13, 0
	s_mov_b64 s[4:5], 0
.LBB1_307:                              ;   Parent Loop BB1_280 Depth=1
                                        ; =>  This Inner Loop Header: Depth=2
	s_delay_alu instid0(SALU_CYCLE_1) | instskip(SKIP_1) | instid1(SALU_CYCLE_1)
	v_add_nc_u64_e32 v[6:7], s[4:5], v[16:17]
	s_add_nc_u64 s[4:5], s[4:5], 1
	v_cmp_eq_u32_e32 vcc_lo, s4, v18
	global_load_u8 v6, v[6:7], off
	s_wait_xcnt 0x0
	v_mov_b32_e32 v7, s10
	s_or_b32 s13, vcc_lo, s13
	s_wait_loadcnt 0x0
	v_and_b32_e32 v6, 0xffff, v6
	s_delay_alu instid0(VALU_DEP_1) | instskip(SKIP_1) | instid1(VALU_DEP_1)
	v_lshlrev_b64_e32 v[6:7], s0, v[6:7]
	s_add_nc_u64 s[0:1], s[0:1], 8
	v_or_b32_e32 v15, v7, v15
	s_delay_alu instid0(VALU_DEP_2)
	v_or_b32_e32 v14, v6, v14
	s_and_not1_b32 exec_lo, exec_lo, s13
	s_cbranch_execnz .LBB1_307
; %bb.308:                              ;   in Loop: Header=BB1_280 Depth=1
	s_or_b32 exec_lo, exec_lo, s13
.LBB1_309:                              ;   in Loop: Header=BB1_280 Depth=1
	s_delay_alu instid0(SALU_CYCLE_1)
	s_or_b32 exec_lo, exec_lo, s12
	v_mov_b64_e32 v[6:7], v[16:17]
                                        ; implicit-def: $vgpr18
.LBB1_310:                              ;   in Loop: Header=BB1_280 Depth=1
	s_or_saveexec_b32 s0, s11
	v_mov_b32_e32 v19, 0
	s_xor_b32 exec_lo, exec_lo, s0
	s_cbranch_execz .LBB1_312
; %bb.311:                              ;   in Loop: Header=BB1_280 Depth=1
	global_load_b64 v[14:15], v[16:17], off
	v_add_nc_u32_e32 v19, -8, v18
.LBB1_312:                              ;   in Loop: Header=BB1_280 Depth=1
	s_wait_xcnt 0x0
	s_or_b32 exec_lo, exec_lo, s0
	v_add_nc_u64_e32 v[20:21], 8, v[6:7]
	s_mov_b32 s0, exec_lo
	v_cmpx_gt_u32_e32 8, v19
	s_xor_b32 s11, exec_lo, s0
	s_cbranch_execz .LBB1_318
; %bb.313:                              ;   in Loop: Header=BB1_280 Depth=1
	v_mov_b64_e32 v[16:17], 0
	s_mov_b32 s12, exec_lo
	v_cmpx_ne_u32_e32 0, v19
	s_cbranch_execz .LBB1_317
; %bb.314:                              ;   in Loop: Header=BB1_280 Depth=1
	v_mov_b64_e32 v[16:17], 0
	s_mov_b64 s[0:1], 0
	s_mov_b32 s13, 0
	s_mov_b64 s[4:5], 0
.LBB1_315:                              ;   Parent Loop BB1_280 Depth=1
                                        ; =>  This Inner Loop Header: Depth=2
	s_delay_alu instid0(SALU_CYCLE_1) | instskip(SKIP_1) | instid1(SALU_CYCLE_1)
	v_add_nc_u64_e32 v[20:21], s[4:5], v[6:7]
	s_add_nc_u64 s[4:5], s[4:5], 1
	v_cmp_eq_u32_e32 vcc_lo, s4, v19
	global_load_u8 v18, v[20:21], off
	s_wait_xcnt 0x0
	v_mov_b32_e32 v21, s10
	s_or_b32 s13, vcc_lo, s13
	s_wait_loadcnt 0x0
	v_and_b32_e32 v20, 0xffff, v18
	s_delay_alu instid0(VALU_DEP_1) | instskip(SKIP_1) | instid1(VALU_DEP_1)
	v_lshlrev_b64_e32 v[20:21], s0, v[20:21]
	s_add_nc_u64 s[0:1], s[0:1], 8
	v_or_b32_e32 v17, v21, v17
	s_delay_alu instid0(VALU_DEP_2)
	v_or_b32_e32 v16, v20, v16
	s_and_not1_b32 exec_lo, exec_lo, s13
	s_cbranch_execnz .LBB1_315
; %bb.316:                              ;   in Loop: Header=BB1_280 Depth=1
	s_or_b32 exec_lo, exec_lo, s13
.LBB1_317:                              ;   in Loop: Header=BB1_280 Depth=1
	s_delay_alu instid0(SALU_CYCLE_1)
	s_or_b32 exec_lo, exec_lo, s12
	v_mov_b64_e32 v[20:21], v[6:7]
                                        ; implicit-def: $vgpr19
.LBB1_318:                              ;   in Loop: Header=BB1_280 Depth=1
	s_or_saveexec_b32 s0, s11
	v_mov_b32_e32 v22, 0
	s_xor_b32 exec_lo, exec_lo, s0
	s_cbranch_execz .LBB1_320
; %bb.319:                              ;   in Loop: Header=BB1_280 Depth=1
	global_load_b64 v[16:17], v[6:7], off
	v_add_nc_u32_e32 v22, -8, v19
.LBB1_320:                              ;   in Loop: Header=BB1_280 Depth=1
	s_wait_xcnt 0x0
	s_or_b32 exec_lo, exec_lo, s0
	v_add_nc_u64_e32 v[6:7], 8, v[20:21]
                                        ; implicit-def: $vgpr18_vgpr19
	s_mov_b32 s0, exec_lo
	v_cmpx_gt_u32_e32 8, v22
	s_xor_b32 s11, exec_lo, s0
	s_cbranch_execz .LBB1_326
; %bb.321:                              ;   in Loop: Header=BB1_280 Depth=1
	v_mov_b64_e32 v[18:19], 0
	s_mov_b32 s12, exec_lo
	v_cmpx_ne_u32_e32 0, v22
	s_cbranch_execz .LBB1_325
; %bb.322:                              ;   in Loop: Header=BB1_280 Depth=1
	v_mov_b64_e32 v[18:19], 0
	s_mov_b64 s[0:1], 0
	s_mov_b32 s13, 0
	s_mov_b64 s[4:5], 0
.LBB1_323:                              ;   Parent Loop BB1_280 Depth=1
                                        ; =>  This Inner Loop Header: Depth=2
	s_delay_alu instid0(SALU_CYCLE_1) | instskip(SKIP_1) | instid1(SALU_CYCLE_1)
	v_add_nc_u64_e32 v[6:7], s[4:5], v[20:21]
	s_add_nc_u64 s[4:5], s[4:5], 1
	v_cmp_eq_u32_e32 vcc_lo, s4, v22
	global_load_u8 v6, v[6:7], off
	s_wait_xcnt 0x0
	v_mov_b32_e32 v7, s10
	s_or_b32 s13, vcc_lo, s13
	s_wait_loadcnt 0x0
	v_and_b32_e32 v6, 0xffff, v6
	s_delay_alu instid0(VALU_DEP_1) | instskip(SKIP_1) | instid1(VALU_DEP_1)
	v_lshlrev_b64_e32 v[6:7], s0, v[6:7]
	s_add_nc_u64 s[0:1], s[0:1], 8
	v_or_b32_e32 v19, v7, v19
	s_delay_alu instid0(VALU_DEP_2)
	v_or_b32_e32 v18, v6, v18
	s_and_not1_b32 exec_lo, exec_lo, s13
	s_cbranch_execnz .LBB1_323
; %bb.324:                              ;   in Loop: Header=BB1_280 Depth=1
	s_or_b32 exec_lo, exec_lo, s13
.LBB1_325:                              ;   in Loop: Header=BB1_280 Depth=1
	s_delay_alu instid0(SALU_CYCLE_1)
	s_or_b32 exec_lo, exec_lo, s12
	v_mov_b64_e32 v[6:7], v[20:21]
                                        ; implicit-def: $vgpr22
.LBB1_326:                              ;   in Loop: Header=BB1_280 Depth=1
	s_or_saveexec_b32 s0, s11
	v_mov_b32_e32 v23, 0
	s_xor_b32 exec_lo, exec_lo, s0
	s_cbranch_execz .LBB1_328
; %bb.327:                              ;   in Loop: Header=BB1_280 Depth=1
	global_load_b64 v[18:19], v[20:21], off
	v_add_nc_u32_e32 v23, -8, v22
.LBB1_328:                              ;   in Loop: Header=BB1_280 Depth=1
	s_wait_xcnt 0x0
	s_or_b32 exec_lo, exec_lo, s0
	s_delay_alu instid0(SALU_CYCLE_1) | instskip(NEXT) | instid1(VALU_DEP_1)
	s_mov_b32 s0, exec_lo
	v_cmpx_gt_u32_e32 8, v23
	s_xor_b32 s4, exec_lo, s0
	s_cbranch_execz .LBB1_334
; %bb.329:                              ;   in Loop: Header=BB1_280 Depth=1
	v_mov_b64_e32 v[20:21], 0
	s_mov_b32 s5, exec_lo
	v_cmpx_ne_u32_e32 0, v23
	s_cbranch_execz .LBB1_333
; %bb.330:                              ;   in Loop: Header=BB1_280 Depth=1
	v_mov_b64_e32 v[20:21], 0
	s_mov_b64 s[0:1], 0
	s_mov_b32 s11, 0
.LBB1_331:                              ;   Parent Loop BB1_280 Depth=1
                                        ; =>  This Inner Loop Header: Depth=2
	global_load_u8 v22, v[6:7], off
	v_dual_mov_b32 v25, s10 :: v_dual_add_nc_u32 v23, -1, v23
	s_wait_xcnt 0x0
	v_add_nc_u64_e32 v[6:7], 1, v[6:7]
	s_delay_alu instid0(VALU_DEP_2) | instskip(SKIP_3) | instid1(VALU_DEP_1)
	v_cmp_eq_u32_e32 vcc_lo, 0, v23
	s_or_b32 s11, vcc_lo, s11
	s_wait_loadcnt 0x0
	v_and_b32_e32 v24, 0xffff, v22
	v_lshlrev_b64_e32 v[24:25], s0, v[24:25]
	s_add_nc_u64 s[0:1], s[0:1], 8
	s_delay_alu instid0(VALU_DEP_1) | instskip(NEXT) | instid1(VALU_DEP_2)
	v_or_b32_e32 v21, v25, v21
	v_or_b32_e32 v20, v24, v20
	s_and_not1_b32 exec_lo, exec_lo, s11
	s_cbranch_execnz .LBB1_331
; %bb.332:                              ;   in Loop: Header=BB1_280 Depth=1
	s_or_b32 exec_lo, exec_lo, s11
.LBB1_333:                              ;   in Loop: Header=BB1_280 Depth=1
	s_delay_alu instid0(SALU_CYCLE_1)
	s_or_b32 exec_lo, exec_lo, s5
                                        ; implicit-def: $vgpr6_vgpr7
.LBB1_334:                              ;   in Loop: Header=BB1_280 Depth=1
	s_and_not1_saveexec_b32 s0, s4
	s_cbranch_execz .LBB1_336
; %bb.335:                              ;   in Loop: Header=BB1_280 Depth=1
	global_load_b64 v[20:21], v[6:7], off
.LBB1_336:                              ;   in Loop: Header=BB1_280 Depth=1
	s_wait_xcnt 0x0
	s_or_b32 exec_lo, exec_lo, s0
	v_readfirstlane_b32 s0, v48
	v_mov_b64_e32 v[6:7], 0
	s_delay_alu instid0(VALU_DEP_2)
	v_cmp_eq_u32_e64 s0, s0, v48
	s_and_saveexec_b32 s1, s0
	s_cbranch_execz .LBB1_342
; %bb.337:                              ;   in Loop: Header=BB1_280 Depth=1
	global_load_b64 v[24:25], v31, s[2:3] offset:24 scope:SCOPE_SYS
	s_wait_loadcnt 0x0
	global_inv scope:SCOPE_SYS
	s_clause 0x1
	global_load_b64 v[6:7], v31, s[2:3] offset:40
	global_load_b64 v[22:23], v31, s[2:3]
	s_mov_b32 s4, exec_lo
	s_wait_loadcnt 0x1
	v_and_b32_e32 v6, v6, v24
	v_and_b32_e32 v7, v7, v25
	s_delay_alu instid0(VALU_DEP_1) | instskip(SKIP_1) | instid1(VALU_DEP_1)
	v_mul_u64_e32 v[6:7], 24, v[6:7]
	s_wait_loadcnt 0x0
	v_add_nc_u64_e32 v[6:7], v[22:23], v[6:7]
	global_load_b64 v[22:23], v[6:7], off scope:SCOPE_SYS
	s_wait_xcnt 0x0
	s_wait_loadcnt 0x0
	global_atomic_cmpswap_b64 v[6:7], v31, v[22:25], s[2:3] offset:24 th:TH_ATOMIC_RETURN scope:SCOPE_SYS
	s_wait_loadcnt 0x0
	global_inv scope:SCOPE_SYS
	s_wait_xcnt 0x0
	v_cmpx_ne_u64_e64 v[6:7], v[24:25]
	s_cbranch_execz .LBB1_341
; %bb.338:                              ;   in Loop: Header=BB1_280 Depth=1
	s_mov_b32 s5, 0
.LBB1_339:                              ;   Parent Loop BB1_280 Depth=1
                                        ; =>  This Inner Loop Header: Depth=2
	s_sleep 1
	s_clause 0x1
	global_load_b64 v[22:23], v31, s[2:3] offset:40
	global_load_b64 v[34:35], v31, s[2:3]
	v_mov_b64_e32 v[24:25], v[6:7]
	s_wait_loadcnt 0x1
	s_delay_alu instid0(VALU_DEP_1) | instskip(NEXT) | instid1(VALU_DEP_2)
	v_and_b32_e32 v6, v22, v24
	v_and_b32_e32 v22, v23, v25
	s_wait_loadcnt 0x0
	s_delay_alu instid0(VALU_DEP_2) | instskip(NEXT) | instid1(VALU_DEP_1)
	v_mad_nc_u64_u32 v[6:7], v6, 24, v[34:35]
	v_mad_u32 v7, v22, 24, v7
	global_load_b64 v[22:23], v[6:7], off scope:SCOPE_SYS
	s_wait_xcnt 0x0
	s_wait_loadcnt 0x0
	global_atomic_cmpswap_b64 v[6:7], v31, v[22:25], s[2:3] offset:24 th:TH_ATOMIC_RETURN scope:SCOPE_SYS
	s_wait_loadcnt 0x0
	global_inv scope:SCOPE_SYS
	v_cmp_eq_u64_e32 vcc_lo, v[6:7], v[24:25]
	s_or_b32 s5, vcc_lo, s5
	s_wait_xcnt 0x0
	s_and_not1_b32 exec_lo, exec_lo, s5
	s_cbranch_execnz .LBB1_339
; %bb.340:                              ;   in Loop: Header=BB1_280 Depth=1
	s_or_b32 exec_lo, exec_lo, s5
.LBB1_341:                              ;   in Loop: Header=BB1_280 Depth=1
	s_delay_alu instid0(SALU_CYCLE_1)
	s_or_b32 exec_lo, exec_lo, s4
.LBB1_342:                              ;   in Loop: Header=BB1_280 Depth=1
	s_delay_alu instid0(SALU_CYCLE_1)
	s_or_b32 exec_lo, exec_lo, s1
	s_clause 0x1
	global_load_b64 v[34:35], v31, s[2:3] offset:40
	global_load_b128 v[22:25], v31, s[2:3]
	v_readfirstlane_b32 s4, v6
	v_readfirstlane_b32 s5, v7
	s_mov_b32 s1, exec_lo
	s_wait_loadcnt 0x1
	v_and_b32_e32 v36, s4, v34
	v_and_b32_e32 v37, s5, v35
	s_delay_alu instid0(VALU_DEP_1) | instskip(SKIP_1) | instid1(VALU_DEP_1)
	v_mul_u64_e32 v[6:7], 24, v[36:37]
	s_wait_loadcnt 0x0
	v_add_nc_u64_e32 v[34:35], v[22:23], v[6:7]
	s_wait_xcnt 0x0
	s_and_saveexec_b32 s11, s0
	s_cbranch_execz .LBB1_344
; %bb.343:                              ;   in Loop: Header=BB1_280 Depth=1
	v_dual_mov_b32 v6, s1 :: v_dual_mov_b32 v7, v31
	global_store_b128 v[34:35], v[6:9], off offset:8
.LBB1_344:                              ;   in Loop: Header=BB1_280 Depth=1
	s_wait_xcnt 0x0
	s_or_b32 exec_lo, exec_lo, s11
	v_cmp_gt_u64_e32 vcc_lo, 57, v[26:27]
	v_lshlrev_b64_e32 v[6:7], 12, v[36:37]
	v_and_b32_e32 v0, 0xffffff1f, v0
	v_lshl_add_u32 v36, v32, 2, 28
	v_cndmask_b32_e32 v29, 0, v28, vcc_lo
	s_delay_alu instid0(VALU_DEP_4) | instskip(NEXT) | instid1(VALU_DEP_2)
	v_add_nc_u64_e32 v[6:7], v[24:25], v[6:7]
	v_or_b32_e32 v0, v0, v29
	s_delay_alu instid0(VALU_DEP_2) | instskip(NEXT) | instid1(VALU_DEP_3)
	v_readfirstlane_b32 s12, v6
	v_readfirstlane_b32 s13, v7
	s_delay_alu instid0(VALU_DEP_3)
	v_and_or_b32 v0, 0x1e0, v36, v0
	s_clause 0x3
	global_store_b128 v30, v[0:3], s[12:13]
	global_store_b128 v30, v[10:13], s[12:13] offset:16
	global_store_b128 v30, v[14:17], s[12:13] offset:32
	;; [unrolled: 1-line block ×3, first 2 shown]
	s_wait_xcnt 0x0
	s_and_saveexec_b32 s1, s0
	s_cbranch_execz .LBB1_352
; %bb.345:                              ;   in Loop: Header=BB1_280 Depth=1
	s_clause 0x1
	global_load_b64 v[14:15], v31, s[2:3] offset:32 scope:SCOPE_SYS
	global_load_b64 v[0:1], v31, s[2:3] offset:40
	s_mov_b32 s11, exec_lo
	v_dual_mov_b32 v12, s4 :: v_dual_mov_b32 v13, s5
	s_wait_loadcnt 0x0
	v_and_b32_e32 v1, s5, v1
	v_and_b32_e32 v0, s4, v0
	s_delay_alu instid0(VALU_DEP_1) | instskip(NEXT) | instid1(VALU_DEP_1)
	v_mul_u64_e32 v[0:1], 24, v[0:1]
	v_add_nc_u64_e32 v[10:11], v[22:23], v[0:1]
	global_store_b64 v[10:11], v[14:15], off
	global_wb scope:SCOPE_SYS
	s_wait_storecnt 0x0
	s_wait_xcnt 0x0
	global_atomic_cmpswap_b64 v[2:3], v31, v[12:15], s[2:3] offset:32 th:TH_ATOMIC_RETURN scope:SCOPE_SYS
	s_wait_loadcnt 0x0
	v_cmpx_ne_u64_e64 v[2:3], v[14:15]
	s_cbranch_execz .LBB1_348
; %bb.346:                              ;   in Loop: Header=BB1_280 Depth=1
	s_mov_b32 s12, 0
.LBB1_347:                              ;   Parent Loop BB1_280 Depth=1
                                        ; =>  This Inner Loop Header: Depth=2
	v_dual_mov_b32 v0, s4 :: v_dual_mov_b32 v1, s5
	s_sleep 1
	global_store_b64 v[10:11], v[2:3], off
	global_wb scope:SCOPE_SYS
	s_wait_storecnt 0x0
	s_wait_xcnt 0x0
	global_atomic_cmpswap_b64 v[0:1], v31, v[0:3], s[2:3] offset:32 th:TH_ATOMIC_RETURN scope:SCOPE_SYS
	s_wait_loadcnt 0x0
	v_cmp_eq_u64_e32 vcc_lo, v[0:1], v[2:3]
	v_mov_b64_e32 v[2:3], v[0:1]
	s_or_b32 s12, vcc_lo, s12
	s_delay_alu instid0(SALU_CYCLE_1)
	s_and_not1_b32 exec_lo, exec_lo, s12
	s_cbranch_execnz .LBB1_347
.LBB1_348:                              ;   in Loop: Header=BB1_280 Depth=1
	s_or_b32 exec_lo, exec_lo, s11
	global_load_b64 v[0:1], v31, s[2:3] offset:16
	s_mov_b32 s12, exec_lo
	s_mov_b32 s11, exec_lo
	v_mbcnt_lo_u32_b32 v2, s12, 0
	s_wait_xcnt 0x0
	s_delay_alu instid0(VALU_DEP_1)
	v_cmpx_eq_u32_e32 0, v2
	s_cbranch_execz .LBB1_350
; %bb.349:                              ;   in Loop: Header=BB1_280 Depth=1
	s_bcnt1_i32_b32 s12, s12
	s_delay_alu instid0(SALU_CYCLE_1)
	v_dual_mov_b32 v3, v31 :: v_dual_mov_b32 v2, s12
	global_wb scope:SCOPE_SYS
	s_wait_loadcnt 0x0
	s_wait_storecnt 0x0
	global_atomic_add_u64 v[0:1], v[2:3], off offset:8 scope:SCOPE_SYS
.LBB1_350:                              ;   in Loop: Header=BB1_280 Depth=1
	s_wait_xcnt 0x0
	s_or_b32 exec_lo, exec_lo, s11
	s_wait_loadcnt 0x0
	global_load_b64 v[2:3], v[0:1], off offset:16
	s_wait_loadcnt 0x0
	v_cmp_eq_u64_e32 vcc_lo, 0, v[2:3]
	s_cbranch_vccnz .LBB1_352
; %bb.351:                              ;   in Loop: Header=BB1_280 Depth=1
	global_load_b32 v0, v[0:1], off offset:24
	s_wait_xcnt 0x0
	v_mov_b32_e32 v1, v31
	s_wait_loadcnt 0x0
	v_readfirstlane_b32 s11, v0
	global_wb scope:SCOPE_SYS
	s_wait_storecnt 0x0
	global_store_b64 v[2:3], v[0:1], off scope:SCOPE_SYS
	s_and_b32 m0, s11, 0xffffff
	s_sendmsg sendmsg(MSG_INTERRUPT)
.LBB1_352:                              ;   in Loop: Header=BB1_280 Depth=1
	s_wait_xcnt 0x0
	s_or_b32 exec_lo, exec_lo, s1
	v_add_nc_u64_e32 v[0:1], v[6:7], v[30:31]
	s_branch .LBB1_356
.LBB1_353:                              ;   in Loop: Header=BB1_356 Depth=2
	s_wait_xcnt 0x0
	s_or_b32 exec_lo, exec_lo, s1
	s_delay_alu instid0(VALU_DEP_1)
	v_readfirstlane_b32 s1, v2
	s_cmp_eq_u32 s1, 0
	s_cbranch_scc1 .LBB1_355
; %bb.354:                              ;   in Loop: Header=BB1_356 Depth=2
	s_sleep 1
	s_cbranch_execnz .LBB1_356
	s_branch .LBB1_358
.LBB1_355:                              ;   in Loop: Header=BB1_280 Depth=1
	s_branch .LBB1_358
.LBB1_356:                              ;   Parent Loop BB1_280 Depth=1
                                        ; =>  This Inner Loop Header: Depth=2
	v_mov_b32_e32 v2, 1
	s_and_saveexec_b32 s1, s0
	s_cbranch_execz .LBB1_353
; %bb.357:                              ;   in Loop: Header=BB1_356 Depth=2
	global_load_b32 v2, v[34:35], off offset:20 scope:SCOPE_SYS
	s_wait_loadcnt 0x0
	global_inv scope:SCOPE_SYS
	v_and_b32_e32 v2, 1, v2
	s_branch .LBB1_353
.LBB1_358:                              ;   in Loop: Header=BB1_280 Depth=1
	global_load_b64 v[0:1], v[0:1], off
	s_wait_xcnt 0x0
	s_and_saveexec_b32 s11, s0
	s_cbranch_execz .LBB1_279
; %bb.359:                              ;   in Loop: Header=BB1_280 Depth=1
	s_clause 0x2
	global_load_b64 v[2:3], v31, s[2:3] offset:40
	global_load_b64 v[14:15], v31, s[2:3] offset:24 scope:SCOPE_SYS
	global_load_b64 v[6:7], v31, s[2:3]
	s_wait_loadcnt 0x2
	v_readfirstlane_b32 s12, v2
	v_readfirstlane_b32 s13, v3
	s_add_nc_u64 s[0:1], s[12:13], 1
	s_delay_alu instid0(SALU_CYCLE_1) | instskip(NEXT) | instid1(SALU_CYCLE_1)
	s_add_nc_u64 s[4:5], s[0:1], s[4:5]
	s_cmp_eq_u64 s[4:5], 0
	s_cselect_b32 s1, s1, s5
	s_cselect_b32 s0, s0, s4
	s_delay_alu instid0(SALU_CYCLE_1) | instskip(SKIP_1) | instid1(SALU_CYCLE_1)
	v_dual_mov_b32 v13, s1 :: v_dual_mov_b32 v12, s0
	s_and_b64 s[4:5], s[0:1], s[12:13]
	s_mul_u64 s[4:5], s[4:5], 24
	s_wait_loadcnt 0x0
	v_add_nc_u64_e32 v[2:3], s[4:5], v[6:7]
	global_store_b64 v[2:3], v[14:15], off
	global_wb scope:SCOPE_SYS
	s_wait_storecnt 0x0
	s_wait_xcnt 0x0
	global_atomic_cmpswap_b64 v[12:13], v31, v[12:15], s[2:3] offset:24 th:TH_ATOMIC_RETURN scope:SCOPE_SYS
	s_wait_loadcnt 0x0
	v_cmp_ne_u64_e32 vcc_lo, v[12:13], v[14:15]
	s_and_b32 exec_lo, exec_lo, vcc_lo
	s_cbranch_execz .LBB1_279
; %bb.360:                              ;   in Loop: Header=BB1_280 Depth=1
	s_mov_b32 s4, 0
.LBB1_361:                              ;   Parent Loop BB1_280 Depth=1
                                        ; =>  This Inner Loop Header: Depth=2
	v_dual_mov_b32 v10, s0 :: v_dual_mov_b32 v11, s1
	s_sleep 1
	global_store_b64 v[2:3], v[12:13], off
	global_wb scope:SCOPE_SYS
	s_wait_storecnt 0x0
	s_wait_xcnt 0x0
	global_atomic_cmpswap_b64 v[6:7], v31, v[10:13], s[2:3] offset:24 th:TH_ATOMIC_RETURN scope:SCOPE_SYS
	s_wait_loadcnt 0x0
	v_cmp_eq_u64_e32 vcc_lo, v[6:7], v[12:13]
	v_mov_b64_e32 v[12:13], v[6:7]
	s_or_b32 s4, vcc_lo, s4
	s_delay_alu instid0(SALU_CYCLE_1)
	s_and_not1_b32 exec_lo, exec_lo, s4
	s_cbranch_execnz .LBB1_361
	s_branch .LBB1_279
.LBB1_362:
	s_or_b32 exec_lo, exec_lo, s7
                                        ; implicit-def: $vgpr30
                                        ; implicit-def: $vgpr48
.LBB1_363:
	s_and_not1_saveexec_b32 s6, s6
	s_cbranch_execz .LBB1_391
; %bb.364:
	v_readfirstlane_b32 s0, v48
	v_mov_b64_e32 v[2:3], 0
	s_delay_alu instid0(VALU_DEP_2)
	v_cmp_eq_u32_e64 s0, s0, v48
	s_and_saveexec_b32 s1, s0
	s_cbranch_execz .LBB1_370
; %bb.365:
	v_mov_b32_e32 v4, 0
	s_mov_b32 s4, exec_lo
	global_load_b64 v[8:9], v4, s[2:3] offset:24 scope:SCOPE_SYS
	s_wait_loadcnt 0x0
	global_inv scope:SCOPE_SYS
	s_clause 0x1
	global_load_b64 v[2:3], v4, s[2:3] offset:40
	global_load_b64 v[6:7], v4, s[2:3]
	s_wait_loadcnt 0x1
	v_and_b32_e32 v2, v2, v8
	v_and_b32_e32 v3, v3, v9
	s_delay_alu instid0(VALU_DEP_1) | instskip(SKIP_1) | instid1(VALU_DEP_1)
	v_mul_u64_e32 v[2:3], 24, v[2:3]
	s_wait_loadcnt 0x0
	v_add_nc_u64_e32 v[2:3], v[6:7], v[2:3]
	global_load_b64 v[6:7], v[2:3], off scope:SCOPE_SYS
	s_wait_xcnt 0x0
	s_wait_loadcnt 0x0
	global_atomic_cmpswap_b64 v[2:3], v4, v[6:9], s[2:3] offset:24 th:TH_ATOMIC_RETURN scope:SCOPE_SYS
	s_wait_loadcnt 0x0
	global_inv scope:SCOPE_SYS
	s_wait_xcnt 0x0
	v_cmpx_ne_u64_e64 v[2:3], v[8:9]
	s_cbranch_execz .LBB1_369
; %bb.366:
	s_mov_b32 s5, 0
.LBB1_367:                              ; =>This Inner Loop Header: Depth=1
	s_sleep 1
	s_clause 0x1
	global_load_b64 v[6:7], v4, s[2:3] offset:40
	global_load_b64 v[10:11], v4, s[2:3]
	v_mov_b64_e32 v[8:9], v[2:3]
	s_wait_loadcnt 0x1
	s_delay_alu instid0(VALU_DEP_1) | instskip(NEXT) | instid1(VALU_DEP_2)
	v_and_b32_e32 v2, v6, v8
	v_and_b32_e32 v5, v7, v9
	s_wait_loadcnt 0x0
	s_delay_alu instid0(VALU_DEP_2) | instskip(NEXT) | instid1(VALU_DEP_1)
	v_mad_nc_u64_u32 v[2:3], v2, 24, v[10:11]
	v_mad_u32 v3, v5, 24, v3
	global_load_b64 v[6:7], v[2:3], off scope:SCOPE_SYS
	s_wait_xcnt 0x0
	s_wait_loadcnt 0x0
	global_atomic_cmpswap_b64 v[2:3], v4, v[6:9], s[2:3] offset:24 th:TH_ATOMIC_RETURN scope:SCOPE_SYS
	s_wait_loadcnt 0x0
	global_inv scope:SCOPE_SYS
	v_cmp_eq_u64_e32 vcc_lo, v[2:3], v[8:9]
	s_or_b32 s5, vcc_lo, s5
	s_wait_xcnt 0x0
	s_and_not1_b32 exec_lo, exec_lo, s5
	s_cbranch_execnz .LBB1_367
; %bb.368:
	s_or_b32 exec_lo, exec_lo, s5
.LBB1_369:
	s_delay_alu instid0(SALU_CYCLE_1)
	s_or_b32 exec_lo, exec_lo, s4
.LBB1_370:
	s_delay_alu instid0(SALU_CYCLE_1)
	s_or_b32 exec_lo, exec_lo, s1
	v_readfirstlane_b32 s4, v2
	v_mov_b32_e32 v31, 0
	v_readfirstlane_b32 s5, v3
	s_mov_b32 s1, exec_lo
	s_clause 0x1
	global_load_b64 v[8:9], v31, s[2:3] offset:40
	global_load_b128 v[4:7], v31, s[2:3]
	s_wait_loadcnt 0x1
	v_and_b32_e32 v2, s4, v8
	v_and_b32_e32 v3, s5, v9
	s_delay_alu instid0(VALU_DEP_1) | instskip(SKIP_1) | instid1(VALU_DEP_1)
	v_mul_u64_e32 v[8:9], 24, v[2:3]
	s_wait_loadcnt 0x0
	v_add_nc_u64_e32 v[8:9], v[4:5], v[8:9]
	s_wait_xcnt 0x0
	s_and_saveexec_b32 s7, s0
	s_cbranch_execz .LBB1_372
; %bb.371:
	v_mov_b64_e32 v[12:13], 0x100000002
	v_dual_mov_b32 v10, s1 :: v_dual_mov_b32 v11, v31
	global_store_b128 v[8:9], v[10:13], off offset:8
.LBB1_372:
	s_wait_xcnt 0x0
	s_or_b32 exec_lo, exec_lo, s7
	v_lshlrev_b64_e32 v[2:3], 12, v[2:3]
	s_mov_b32 s12, 0
	v_and_or_b32 v0, 0xffffff1f, v0, 32
	s_mov_b32 s13, s12
	s_mov_b32 s14, s12
	;; [unrolled: 1-line block ×3, first 2 shown]
	v_mov_b64_e32 v[10:11], s[12:13]
	v_add_nc_u64_e32 v[6:7], v[6:7], v[2:3]
	v_mov_b64_e32 v[12:13], s[14:15]
	v_dual_mov_b32 v2, v31 :: v_dual_mov_b32 v3, v31
	s_delay_alu instid0(VALU_DEP_3) | instskip(NEXT) | instid1(VALU_DEP_4)
	v_readfirstlane_b32 s10, v6
	v_readfirstlane_b32 s11, v7
	s_clause 0x3
	global_store_b128 v30, v[0:3], s[10:11]
	global_store_b128 v30, v[10:13], s[10:11] offset:16
	global_store_b128 v30, v[10:13], s[10:11] offset:32
	global_store_b128 v30, v[10:13], s[10:11] offset:48
	s_wait_xcnt 0x0
	s_and_saveexec_b32 s1, s0
	s_cbranch_execz .LBB1_380
; %bb.373:
	v_dual_mov_b32 v10, 0 :: v_dual_mov_b32 v13, s5
	s_mov_b32 s7, exec_lo
	s_clause 0x1
	global_load_b64 v[14:15], v10, s[2:3] offset:32 scope:SCOPE_SYS
	global_load_b64 v[0:1], v10, s[2:3] offset:40
	s_wait_loadcnt 0x0
	v_dual_mov_b32 v12, s4 :: v_dual_bitop2_b32 v1, s5, v1 bitop3:0x40
	v_and_b32_e32 v0, s4, v0
	s_delay_alu instid0(VALU_DEP_1) | instskip(NEXT) | instid1(VALU_DEP_1)
	v_mul_u64_e32 v[0:1], 24, v[0:1]
	v_add_nc_u64_e32 v[4:5], v[4:5], v[0:1]
	global_store_b64 v[4:5], v[14:15], off
	global_wb scope:SCOPE_SYS
	s_wait_storecnt 0x0
	s_wait_xcnt 0x0
	global_atomic_cmpswap_b64 v[2:3], v10, v[12:15], s[2:3] offset:32 th:TH_ATOMIC_RETURN scope:SCOPE_SYS
	s_wait_loadcnt 0x0
	v_cmpx_ne_u64_e64 v[2:3], v[14:15]
	s_cbranch_execz .LBB1_376
; %bb.374:
	s_mov_b32 s10, 0
.LBB1_375:                              ; =>This Inner Loop Header: Depth=1
	v_dual_mov_b32 v0, s4 :: v_dual_mov_b32 v1, s5
	s_sleep 1
	global_store_b64 v[4:5], v[2:3], off
	global_wb scope:SCOPE_SYS
	s_wait_storecnt 0x0
	s_wait_xcnt 0x0
	global_atomic_cmpswap_b64 v[0:1], v10, v[0:3], s[2:3] offset:32 th:TH_ATOMIC_RETURN scope:SCOPE_SYS
	s_wait_loadcnt 0x0
	v_cmp_eq_u64_e32 vcc_lo, v[0:1], v[2:3]
	v_mov_b64_e32 v[2:3], v[0:1]
	s_or_b32 s10, vcc_lo, s10
	s_delay_alu instid0(SALU_CYCLE_1)
	s_and_not1_b32 exec_lo, exec_lo, s10
	s_cbranch_execnz .LBB1_375
.LBB1_376:
	s_or_b32 exec_lo, exec_lo, s7
	v_mov_b32_e32 v3, 0
	s_mov_b32 s10, exec_lo
	s_mov_b32 s7, exec_lo
	v_mbcnt_lo_u32_b32 v2, s10, 0
	global_load_b64 v[0:1], v3, s[2:3] offset:16
	s_wait_xcnt 0x0
	v_cmpx_eq_u32_e32 0, v2
	s_cbranch_execz .LBB1_378
; %bb.377:
	s_bcnt1_i32_b32 s10, s10
	s_delay_alu instid0(SALU_CYCLE_1)
	v_mov_b32_e32 v2, s10
	global_wb scope:SCOPE_SYS
	s_wait_loadcnt 0x0
	s_wait_storecnt 0x0
	global_atomic_add_u64 v[0:1], v[2:3], off offset:8 scope:SCOPE_SYS
.LBB1_378:
	s_wait_xcnt 0x0
	s_or_b32 exec_lo, exec_lo, s7
	s_wait_loadcnt 0x0
	global_load_b64 v[2:3], v[0:1], off offset:16
	s_wait_loadcnt 0x0
	v_cmp_eq_u64_e32 vcc_lo, 0, v[2:3]
	s_cbranch_vccnz .LBB1_380
; %bb.379:
	global_load_b32 v0, v[0:1], off offset:24
	s_wait_xcnt 0x0
	v_mov_b32_e32 v1, 0
	s_wait_loadcnt 0x0
	v_readfirstlane_b32 s7, v0
	global_wb scope:SCOPE_SYS
	s_wait_storecnt 0x0
	global_store_b64 v[2:3], v[0:1], off scope:SCOPE_SYS
	s_and_b32 m0, s7, 0xffffff
	s_sendmsg sendmsg(MSG_INTERRUPT)
.LBB1_380:
	s_wait_xcnt 0x0
	s_or_b32 exec_lo, exec_lo, s1
	v_add_nc_u64_e32 v[0:1], v[6:7], v[30:31]
	s_branch .LBB1_384
.LBB1_381:                              ;   in Loop: Header=BB1_384 Depth=1
	s_wait_xcnt 0x0
	s_or_b32 exec_lo, exec_lo, s1
	s_delay_alu instid0(VALU_DEP_1)
	v_readfirstlane_b32 s1, v2
	s_cmp_eq_u32 s1, 0
	s_cbranch_scc1 .LBB1_383
; %bb.382:                              ;   in Loop: Header=BB1_384 Depth=1
	s_sleep 1
	s_cbranch_execnz .LBB1_384
	s_branch .LBB1_386
.LBB1_383:
	s_branch .LBB1_386
.LBB1_384:                              ; =>This Inner Loop Header: Depth=1
	v_mov_b32_e32 v2, 1
	s_and_saveexec_b32 s1, s0
	s_cbranch_execz .LBB1_381
; %bb.385:                              ;   in Loop: Header=BB1_384 Depth=1
	global_load_b32 v2, v[8:9], off offset:20 scope:SCOPE_SYS
	s_wait_loadcnt 0x0
	global_inv scope:SCOPE_SYS
	v_and_b32_e32 v2, 1, v2
	s_branch .LBB1_381
.LBB1_386:
	global_load_b64 v[0:1], v[0:1], off
	s_wait_xcnt 0x0
	s_and_saveexec_b32 s7, s0
	s_cbranch_execz .LBB1_390
; %bb.387:
	v_mov_b32_e32 v8, 0
	s_clause 0x2
	global_load_b64 v[2:3], v8, s[2:3] offset:40
	global_load_b64 v[12:13], v8, s[2:3] offset:24 scope:SCOPE_SYS
	global_load_b64 v[4:5], v8, s[2:3]
	s_wait_loadcnt 0x2
	v_readfirstlane_b32 s10, v2
	v_readfirstlane_b32 s11, v3
	s_add_nc_u64 s[0:1], s[10:11], 1
	s_delay_alu instid0(SALU_CYCLE_1) | instskip(NEXT) | instid1(SALU_CYCLE_1)
	s_add_nc_u64 s[4:5], s[0:1], s[4:5]
	s_cmp_eq_u64 s[4:5], 0
	s_cselect_b32 s1, s1, s5
	s_cselect_b32 s0, s0, s4
	v_mov_b32_e32 v11, s1
	s_and_b64 s[4:5], s[0:1], s[10:11]
	v_mov_b32_e32 v10, s0
	s_mul_u64 s[4:5], s[4:5], 24
	s_wait_loadcnt 0x0
	v_add_nc_u64_e32 v[6:7], s[4:5], v[4:5]
	global_store_b64 v[6:7], v[12:13], off
	global_wb scope:SCOPE_SYS
	s_wait_storecnt 0x0
	s_wait_xcnt 0x0
	global_atomic_cmpswap_b64 v[4:5], v8, v[10:13], s[2:3] offset:24 th:TH_ATOMIC_RETURN scope:SCOPE_SYS
	s_wait_loadcnt 0x0
	v_cmp_ne_u64_e32 vcc_lo, v[4:5], v[12:13]
	s_and_b32 exec_lo, exec_lo, vcc_lo
	s_cbranch_execz .LBB1_390
; %bb.388:
	s_mov_b32 s4, 0
.LBB1_389:                              ; =>This Inner Loop Header: Depth=1
	v_dual_mov_b32 v2, s0 :: v_dual_mov_b32 v3, s1
	s_sleep 1
	global_store_b64 v[6:7], v[4:5], off
	global_wb scope:SCOPE_SYS
	s_wait_storecnt 0x0
	s_wait_xcnt 0x0
	global_atomic_cmpswap_b64 v[2:3], v8, v[2:5], s[2:3] offset:24 th:TH_ATOMIC_RETURN scope:SCOPE_SYS
	s_wait_loadcnt 0x0
	v_cmp_eq_u64_e32 vcc_lo, v[2:3], v[4:5]
	v_mov_b64_e32 v[4:5], v[2:3]
	s_or_b32 s4, vcc_lo, s4
	s_delay_alu instid0(SALU_CYCLE_1)
	s_and_not1_b32 exec_lo, exec_lo, s4
	s_cbranch_execnz .LBB1_389
.LBB1_390:
	s_or_b32 exec_lo, exec_lo, s7
.LBB1_391:
	s_delay_alu instid0(SALU_CYCLE_1)
	s_or_b32 exec_lo, exec_lo, s6
	s_get_pc_i64 s[0:1]
	s_add_nc_u64 s[0:1], s[0:1], .str.3@rel64+4
	s_get_pc_i64 s[2:3]
	s_add_nc_u64 s[2:3], s[2:3], .str.3@rel64+32
	v_dual_mov_b32 v2, s0 :: v_dual_mov_b32 v3, s1
	s_sub_co_i32 s4, s2, s0
	v_mov_b32_e32 v6, 1
	s_ashr_i32 s5, s4, 31
	s_delay_alu instid0(SALU_CYCLE_1) | instskip(SKIP_2) | instid1(SALU_CYCLE_1)
	v_dual_mov_b32 v4, s4 :: v_dual_mov_b32 v5, s5
	s_get_pc_i64 s[2:3]
	s_add_nc_u64 s[2:3], s[2:3], __ockl_fprintf_append_string_n@rel64+4
	s_swap_pc_i64 s[30:31], s[2:3]
	s_trap 2
.Lfunc_end1:
	.size	__assert_fail, .Lfunc_end1-__assert_fail
                                        ; -- End function
	.set .L__assert_fail.num_vgpr, max(49, .L__ockl_fprintf_append_string_n.num_vgpr)
	.set .L__assert_fail.num_agpr, max(0, .L__ockl_fprintf_append_string_n.num_agpr)
	.set .L__assert_fail.numbered_sgpr, max(34, .L__ockl_fprintf_append_string_n.numbered_sgpr)
	.set .L__assert_fail.num_named_barrier, max(0, .L__ockl_fprintf_append_string_n.num_named_barrier)
	.set .L__assert_fail.private_seg_size, 64+max(.L__ockl_fprintf_append_string_n.private_seg_size)
	.set .L__assert_fail.uses_vcc, or(1, .L__ockl_fprintf_append_string_n.uses_vcc)
	.set .L__assert_fail.uses_flat_scratch, or(1, .L__ockl_fprintf_append_string_n.uses_flat_scratch)
	.set .L__assert_fail.has_dyn_sized_stack, or(0, .L__ockl_fprintf_append_string_n.has_dyn_sized_stack)
	.set .L__assert_fail.has_recursion, or(0, .L__ockl_fprintf_append_string_n.has_recursion)
	.set .L__assert_fail.has_indirect_call, or(0, .L__ockl_fprintf_append_string_n.has_indirect_call)
	.section	.AMDGPU.csdata,"",@progbits
; Function info:
; codeLenInByte = 15740
; TotalNumSgprs: 36
; NumVgprs: 49
; ScratchSize: 64
; MemoryBound: 0
	.text
	.p2align	2                               ; -- Begin function _ZN12_GLOBAL__N_17runRingI14__hip_fp8_e5m210FuncMinMaxIS1_E11ProtoSimpleILi1ELi1ELi0ELi1ELi0ELi0EELi0ELi1ELi0EEEviiP15ncclDevWorkColl
	.type	_ZN12_GLOBAL__N_17runRingI14__hip_fp8_e5m210FuncMinMaxIS1_E11ProtoSimpleILi1ELi1ELi0ELi1ELi0ELi0EELi0ELi1ELi0EEEviiP15ncclDevWorkColl,@function
_ZN12_GLOBAL__N_17runRingI14__hip_fp8_e5m210FuncMinMaxIS1_E11ProtoSimpleILi1ELi1ELi0ELi1ELi0ELi0EELi0ELi1ELi0EEEviiP15ncclDevWorkColl: ; @_ZN12_GLOBAL__N_17runRingI14__hip_fp8_e5m210FuncMinMaxIS1_E11ProtoSimpleILi1ELi1ELi0ELi1ELi0ELi0EELi0ELi1ELi0EEEviiP15ncclDevWorkColl
; %bb.0:
	s_wait_loadcnt_dscnt 0x0
	s_wait_kmcnt 0x0
	s_mov_b32 s57, s33
	s_mov_b32 s33, s32
	s_or_saveexec_b32 s0, -1
	scratch_store_b32 off, v78, s33 offset:88 ; 4-byte Folded Spill
	s_wait_xcnt 0x0
	s_mov_b32 exec_lo, s0
	s_addk_co_i32 s32, 0x60
	s_clause 0x15
	scratch_store_b32 off, v40, s33 offset:84
	; meta instruction
	scratch_store_b32 off, v41, s33 offset:80
	; meta instruction
	;; [unrolled: 2-line block ×21, first 2 shown]
	scratch_store_b32 off, v77, s33
	v_writelane_b32 v78, s30, 0
	v_writelane_b32 v78, s31, 1
	s_trap 2
	ds_load_b64 v[14:15], v0
	ds_load_b32 v9, v0
	flat_load_b64 v[6:7], v[2:3]
                                        ; implicit-def: $vgpr28_vgpr29
                                        ; implicit-def: $vgpr4_vgpr5
                                        ; implicit-def: $vgpr18_vgpr19
	s_wait_dscnt 0x2
	v_readfirstlane_b32 s0, v14
	v_readfirstlane_b32 s1, v15
	flat_load_u16 v17, v[2:3] offset:8
	flat_load_b32 v25, v15, s[0:1] offset:-4 scale_offset
	s_wait_xcnt 0x0
	s_mov_b32 s0, exec_lo
	s_wait_loadcnt_dscnt 0x202
	v_and_b32_e32 v8, 0xff, v6
	v_mov_b32_e32 v16, v7
	s_delay_alu instid0(VALU_DEP_2)
	v_cmpx_ne_u32_e64 v9, v8
	s_xor_b32 s0, exec_lo, s0
	s_cbranch_execz .LBB2_6
; %bb.1:
	v_bfe_u32 v10, v6, 8, 8
	v_not_b32_e32 v8, v8
	s_mov_b32 s1, exec_lo
                                        ; implicit-def: $vgpr28_vgpr29
                                        ; implicit-def: $vgpr4_vgpr5
                                        ; implicit-def: $vgpr18_vgpr19
	s_delay_alu instid0(VALU_DEP_2)
	v_cmpx_ne_u32_e64 v9, v10
	s_xor_b32 s1, exec_lo, s1
	s_cbranch_execz .LBB2_3
; %bb.2:
	s_clause 0x1
	flat_load_b128 v[4:7], v[2:3] offset:72
	flat_load_b64 v[10:11], v[2:3] offset:96
	v_add_nc_u32_e32 v8, v9, v8
	s_wait_loadcnt_dscnt 0x101
	s_delay_alu instid0(VALU_DEP_1) | instskip(SKIP_3) | instid1(VALU_DEP_3)
	v_mad_nc_u64_u32 v[18:19], v6, v8, v[4:5]
	v_ashrrev_i32_e32 v5, 31, v8
	s_wait_loadcnt_dscnt 0x0
	v_lshrrev_b64 v[28:29], 12, v[10:11]
                                        ; implicit-def: $vgpr10
	v_mad_u32 v4, v7, v8, v19
                                        ; implicit-def: $vgpr8
	s_delay_alu instid0(VALU_DEP_1)
	v_mad_u32 v19, v6, v5, v4
	v_mov_b64_e32 v[4:5], v[6:7]
.LBB2_3:
	s_wait_xcnt 0x0
	s_and_not1_saveexec_b32 s1, s1
	s_cbranch_execz .LBB2_5
; %bb.4:
	s_clause 0x1
	flat_load_b128 v[18:21], v[2:3] offset:72
	flat_load_b128 v[4:7], v[2:3] offset:88
	s_wait_loadcnt_dscnt 0x0
	v_dual_add_nc_u32 v6, v10, v8 :: v_dual_lshrrev_b32 v28, 1, v7
	s_delay_alu instid0(VALU_DEP_1) | instskip(NEXT) | instid1(VALU_DEP_1)
	v_mad_nc_u64_u32 v[18:19], v20, v6, v[18:19]
	v_mad_u32 v8, v21, v6, v19
	v_ashrrev_i32_e32 v6, 31, v6
	s_delay_alu instid0(VALU_DEP_1)
	v_mad_u32 v19, v20, v6, v8
.LBB2_5:
	s_wait_xcnt 0x0
	s_or_b32 exec_lo, exec_lo, s1
.LBB2_6:
	s_and_not1_saveexec_b32 s0, s0
	s_cbranch_execz .LBB2_8
; %bb.7:
	s_clause 0x1
	flat_load_b64 v[6:7], v[2:3] offset:96
	flat_load_b64 v[4:5], v[2:3] offset:72
	v_mov_b64_e32 v[18:19], 0
	s_wait_loadcnt_dscnt 0x101
	v_lshlrev_b64_e32 v[28:29], 9, v[6:7]
.LBB2_8:
	s_wait_xcnt 0x0
	s_or_b32 exec_lo, exec_lo, s0
	s_trap 2
	ds_load_b64 v[6:7], v0
	s_mov_b32 s1, 0
	s_mov_b32 s2, exec_lo
	s_wait_dscnt 0x0
	v_cmp_ne_u32_e32 vcc_lo, -1, v6
	v_cndmask_b32_e64 v15, 0, 1, vcc_lo
	v_cmp_ne_u32_e32 vcc_lo, -1, v7
	s_delay_alu instid0(VALU_DEP_2) | instskip(NEXT) | instid1(VALU_DEP_1)
	v_add_co_ci_u32_e64 v6, null, 0, v15, vcc_lo
	v_lshlrev_b32_e32 v7, 1, v6
	s_delay_alu instid0(VALU_DEP_1)
	v_cmpx_le_u32_e64 v7, v1
	s_xor_b32 s20, exec_lo, s2
	s_cbranch_execnz .LBB2_9
; %bb.5410:
	s_add_pc_i64 .LBB2_5407-.Lpost_addpc0
.Lpost_addpc0:
.LBB2_9:
	s_clause 0x1
	flat_load_b128 v[10:13], v[2:3] offset:16
	flat_load_b64 v[34:35], v[2:3] offset:104
	s_trap 2
	s_load_b32 s0, s[8:9], 0x0
	s_bfe_u32 s2, ttmp6, 0x4000c
	s_and_b32 s3, ttmp6, 15
	s_add_co_i32 s2, s2, 1
	s_getreg_b32 s4, hwreg(HW_REG_IB_STS2, 6, 4)
	s_mul_i32 s2, ttmp9, s2
	v_dual_mov_b32 v2, 0 :: v_dual_mov_b32 v56, 4
	s_add_co_i32 s3, s3, s2
	s_cmp_eq_u32 s4, 0
	s_cselect_b32 s2, ttmp9, s3
	s_wait_kmcnt 0x0
	s_cmp_lt_u32 s2, s0
	s_cselect_b32 s0, 12, 18
	s_delay_alu instid0(SALU_CYCLE_1)
	s_add_nc_u64 s[0:1], s[8:9], s[0:1]
	global_load_u16 v29, v2, s[0:1]
	s_wait_xcnt 0x0
	ds_load_b32 v2, v0
	s_mov_b32 s1, exec_lo
	s_wait_dscnt 0x0
	v_readfirstlane_b32 s21, v2
	v_cmpx_ge_u32_e64 v0, v15
	s_cbranch_execz .LBB2_19
; %bb.10:
	v_cmp_ge_u32_e64 s0, v0, v6
                                        ; implicit-def: $vgpr56
	s_and_saveexec_b32 s2, s0
	s_delay_alu instid0(SALU_CYCLE_1)
	s_xor_b32 s0, exec_lo, s2
	s_cbranch_execz .LBB2_16
; %bb.11:
	v_cndmask_b32_e64 v2, 0, 1, vcc_lo
	s_mov_b32 s2, exec_lo
	s_delay_alu instid0(VALU_DEP_1) | instskip(NEXT) | instid1(VALU_DEP_1)
	v_sub_nc_u32_e32 v2, v1, v2
	v_cmpx_ge_u32_e64 v0, v2
	s_xor_b32 s2, exec_lo, s2
; %bb.12:
                                        ; implicit-def: $vgpr6
; %bb.13:
	s_delay_alu instid0(SALU_CYCLE_1)
	s_or_saveexec_b32 s2, s2
	v_mov_b32_e32 v56, 16
	s_xor_b32 exec_lo, exec_lo, s2
; %bb.14:
	v_sub_nc_u32_e32 v2, v1, v6
	s_delay_alu instid0(VALU_DEP_1)
	v_cmp_lt_i32_e32 vcc_lo, v0, v2
	v_cndmask_b32_e64 v56, 32, 0, vcc_lo
; %bb.15:
	s_or_b32 exec_lo, exec_lo, s2
.LBB2_16:
	s_and_not1_saveexec_b32 s0, s0
; %bb.17:
	v_mov_b32_e32 v56, 8
; %bb.18:
	s_or_b32 exec_lo, exec_lo, s0
.LBB2_19:
	s_delay_alu instid0(SALU_CYCLE_1) | instskip(NEXT) | instid1(VALU_DEP_1)
	s_or_b32 exec_lo, exec_lo, s1
	v_dual_mov_b32 v30, -1 :: v_dual_bitop2_b32 v2, 36, v56 bitop3:0x40
	s_delay_alu instid0(VALU_DEP_1)
	v_cmp_ne_u32_e32 vcc_lo, 0, v2
	s_and_saveexec_b32 s0, vcc_lo
	s_cbranch_execz .LBB2_21
; %bb.20:
	s_trap 2
	ds_load_b32 v30, v0
.LBB2_21:
	s_or_b32 exec_lo, exec_lo, s0
	v_and_b32_e32 v2, 24, v56
	s_mov_b32 s1, exec_lo
	s_delay_alu instid0(VALU_DEP_1)
	v_cmpx_ne_u32_e32 0, v2
	s_cbranch_execz .LBB2_23
; %bb.22:
	s_trap 2
	s_wait_dscnt 0x0
	ds_load_b32 v30, v0
.LBB2_23:
	s_or_b32 exec_lo, exec_lo, s1
	s_wait_loadcnt 0x4
	v_lshrrev_b64 v[2:3], 31, v[16:17]
	v_mov_b64_e32 v[20:21], 0
	v_mov_b64_e32 v[6:7], 0
                                        ; implicit-def: $vgpr24
                                        ; implicit-def: $vgpr32_vgpr33
                                        ; implicit-def: $vgpr26_vgpr27
                                        ; implicit-def: $vgpr22_vgpr23
	s_delay_alu instid0(VALU_DEP_3) | instskip(NEXT) | instid1(VALU_DEP_1)
	v_and_b32_e32 v2, 3, v2
	v_and_b32_e32 v17, 0xffff, v2
                                        ; implicit-def: $vgpr2_vgpr3
	s_and_saveexec_b32 s0, vcc_lo
	s_cbranch_execz .LBB2_33
; %bb.24:
	s_trap 2
	ds_load_b64 v[2:3], v0
	s_wait_dscnt 0x0
	v_readfirstlane_b32 s2, v2
	v_readfirstlane_b32 s3, v3
	flat_load_b64 v[2:3], v30, s[2:3] scale_offset
	s_wait_loadcnt_dscnt 0x0
	v_mad_nc_u64_u32 v[36:37], 0xa8, v17, v[2:3]
	flat_load_b32 v2, v[36:37] offset:640
	s_wait_loadcnt_dscnt 0x0
	v_cmp_eq_u32_e32 vcc_lo, 1, v2
                                        ; implicit-def: $vgpr2_vgpr3
	s_wait_xcnt 0x0
	s_and_saveexec_b32 s1, vcc_lo
	s_cbranch_execz .LBB2_26
; %bb.25:
	flat_load_b64 v[2:3], v[36:37] offset:648
	v_or_b32_e32 v56, 0x2000, v56
	s_wait_loadcnt_dscnt 0x0
	flat_load_b64 v[6:7], v[2:3]
	s_trap 2
	s_wait_loadcnt_dscnt 0x0
	ds_store_b64 v0, v[6:7]
	flat_load_b64 v[6:7], v[2:3] offset:8
	s_wait_loadcnt_dscnt 0x0
	ds_store_b64 v0, v[6:7]
	flat_load_b64 v[6:7], v[2:3] offset:16
	s_wait_loadcnt_dscnt 0x0
	ds_store_b64 v0, v[6:7]
.LBB2_26:
	s_wait_xcnt 0x0
	s_or_b32 exec_lo, exec_lo, s1
	flat_load_b64 v[8:9], v[36:37] offset:608
	v_and_b32_e32 v6, 32, v56
	s_mov_b32 s1, exec_lo
                                        ; implicit-def: $vgpr22_vgpr23
	s_wait_xcnt 0x0
	s_delay_alu instid0(VALU_DEP_1)
	v_cmpx_ne_u32_e32 0, v6
	s_cbranch_execz .LBB2_28
; %bb.27:
	flat_load_b64 v[22:23], v[36:37] offset:560
	global_wb scope:SCOPE_SYS
	s_wait_storecnt 0x0
	s_wait_xcnt 0x0
	s_wait_loadcnt_dscnt 0x0
	flat_store_b64 v[22:23], v[8:9] scope:SCOPE_SYS
.LBB2_28:
	s_wait_xcnt 0x0
	s_or_b32 exec_lo, exec_lo, s1
	v_and_b32_e32 v24, 4, v56
	v_add_nc_u64_e32 v[20:21], 0x1f8, v[36:37]
	v_mov_b64_e32 v[6:7], 0
                                        ; implicit-def: $vgpr32_vgpr33
                                        ; implicit-def: $vgpr26_vgpr27
	s_delay_alu instid0(VALU_DEP_3)
	v_cmp_ne_u32_e32 vcc_lo, 0, v24
                                        ; implicit-def: $vgpr24
	s_and_saveexec_b32 s1, vcc_lo
	s_cbranch_execz .LBB2_32
; %bb.29:
	v_and_b32_e32 v6, 0x800, v56
	s_mov_b32 s2, exec_lo
	s_delay_alu instid0(VALU_DEP_1)
	v_cmpx_eq_u32_e32 0, v6
	s_cbranch_execz .LBB2_31
; %bb.30:
	s_trap 2
	ds_store_b64 v0, v[20:21]
.LBB2_31:
	s_or_b32 exec_lo, exec_lo, s2
	flat_load_b64 v[22:23], v[36:37] offset:552
	s_wait_loadcnt_dscnt 0x0
	flat_load_b64 v[32:33], v[22:23] scope:SCOPE_SYS
	s_clause 0x2
	flat_load_b64 v[6:7], v[36:37] offset:600
	flat_load_b32 v24, v[36:37] offset:576
	flat_load_b64 v[26:27], v[36:37] offset:520
	s_wait_xcnt 0x0
	v_or_b32_e32 v36, 0x100, v56
	s_wait_loadcnt_dscnt 0x202
	v_cmp_eq_u64_e32 vcc_lo, 0, v[6:7]
	s_delay_alu instid0(VALU_DEP_2)
	v_cndmask_b32_e32 v56, v36, v56, vcc_lo
.LBB2_32:
	s_or_b32 exec_lo, exec_lo, s1
.LBB2_33:
	s_delay_alu instid0(SALU_CYCLE_1) | instskip(NEXT) | instid1(VALU_DEP_1)
	s_or_b32 exec_lo, exec_lo, s0
	v_and_b32_e32 v36, 24, v56
	s_delay_alu instid0(VALU_DEP_1)
	v_cmp_ne_u32_e32 vcc_lo, 0, v36
                                        ; implicit-def: $vgpr36_vgpr37
	s_and_saveexec_b32 s0, vcc_lo
	s_cbranch_execz .LBB2_41
; %bb.34:
	s_trap 2
	ds_load_b64 v[6:7], v0
	s_mov_b32 s1, exec_lo
                                        ; implicit-def: $vgpr36_vgpr37
	s_wait_dscnt 0x0
	v_readfirstlane_b32 s2, v6
	v_readfirstlane_b32 s3, v7
	flat_load_b64 v[6:7], v30, s[2:3] scale_offset
	s_wait_loadcnt_dscnt 0x0
	v_mad_nc_u64_u32 v[20:21], 0xa8, v17, v[6:7]
	v_or_b32_e32 v17, 0x100, v56
	flat_load_b128 v[6:9], v[20:21] offset:96
	s_wait_loadcnt_dscnt 0x0
	v_cmp_eq_u64_e32 vcc_lo, 0, v[6:7]
	v_cndmask_b32_e32 v56, v17, v56, vcc_lo
	s_delay_alu instid0(VALU_DEP_1) | instskip(SKIP_1) | instid1(VALU_DEP_1)
	v_and_b32_e32 v17, 16, v56
	s_wait_xcnt 0x0
	v_cmpx_ne_u32_e32 0, v17
	s_cbranch_execz .LBB2_36
; %bb.35:
	s_clause 0x2
	flat_load_b64 v[22:23], v[20:21] offset:48
	flat_load_b64 v[36:37], v[20:21] offset:120
	;; [unrolled: 1-line block ×3, first 2 shown]
.LBB2_36:
	s_wait_xcnt 0x0
	s_or_b32 exec_lo, exec_lo, s1
	v_and_b32_e32 v17, 8, v56
	s_mov_b32 s1, exec_lo
	s_delay_alu instid0(VALU_DEP_1)
	v_cmpx_ne_u32_e32 0, v17
	s_cbranch_execz .LBB2_40
; %bb.37:
	v_and_b32_e32 v17, 0x800, v56
	s_mov_b32 s2, exec_lo
	s_delay_alu instid0(VALU_DEP_1)
	v_cmpx_eq_u32_e32 0, v17
	s_cbranch_execz .LBB2_39
; %bb.38:
	s_trap 2
	ds_store_b64 v0, v[20:21]
.LBB2_39:
	s_or_b32 exec_lo, exec_lo, s2
	s_wait_loadcnt_dscnt 0x202
	flat_load_b64 v[22:23], v[20:21] offset:56
	s_wait_loadcnt_dscnt 0x0
	flat_load_b64 v[32:33], v[22:23] scope:SCOPE_SYS
	s_clause 0x1
	flat_load_b32 v24, v[20:21] offset:72
	flat_load_b64 v[26:27], v[20:21] offset:16
.LBB2_40:
	s_wait_xcnt 0x0
	s_or_b32 exec_lo, exec_lo, s1
.LBB2_41:
	s_delay_alu instid0(SALU_CYCLE_1)
	s_or_b32 exec_lo, exec_lo, s0
	v_cmp_eq_u32_e64 s0, 0, v0
	s_and_saveexec_b32 s1, s0
	s_cbranch_execz .LBB2_43
; %bb.42:
	v_mov_b64_e32 v[38:39], 0
	s_wait_loadcnt 0x2
	ds_store_2addr_b64 v0, v[12:13], v[10:11] offset1:1
	s_trap 2
	ds_store_b64 v0, v[38:39]
	s_wait_loadcnt 0x1
	ds_store_b64 v0, v[34:35]
.LBB2_43:
	s_or_b32 exec_lo, exec_lo, s1
	s_wait_loadcnt 0x2
	v_bfe_u32 v10, v16, 1, 30
	s_wait_loadcnt 0x1
	v_and_b32_e32 v34, 0x3ffffe00, v28
	v_mov_b32_e32 v35, 0
	s_wait_loadcnt 0x0
	v_and_b32_e32 v57, 0xffff, v29
                                        ; implicit-def: $vgpr28_vgpr29
	s_mov_b32 s1, exec_lo
	v_cmpx_ne_u32_e64 v25, v10
	s_xor_b32 s22, exec_lo, s1
	s_cbranch_execnz .LBB2_44
; %bb.5412:
	s_add_pc_i64 .LBB2_5201-.Lpost_addpc1
.Lpost_addpc1:
.LBB2_44:
                                        ; implicit-def: $vgpr28_vgpr29
	s_mov_b32 s1, exec_lo
	v_cmpx_ne_u32_e64 v14, v10
	s_xor_b32 s23, exec_lo, s1
	s_cbranch_execz .LBB2_2628
; %bb.45:
	v_mov_b64_e32 v[28:29], 0
	s_mov_b32 s24, exec_lo
	v_cmpx_ne_u64_e32 0, v[4:5]
	s_cbranch_execz .LBB2_2627
; %bb.46:
	s_ashr_i32 s2, s21, 31
	s_wait_dscnt 0x1
	v_dual_ashrrev_i32 v25, 31, v24 :: v_dual_bitop2_b32 v10, 31, v31 bitop3:0x40
	v_dual_mov_b32 v39, 0 :: v_dual_bitop2_b32 v58, 31, v0 bitop3:0x40
	v_lshrrev_b32_e32 v48, 5, v1
	s_lshr_b32 s2, s2, 24
	v_cmp_eq_u32_e32 vcc_lo, 32, v1
	s_add_co_i32 s2, s21, s2
	v_mov_b64_e32 v[66:67], 0
	v_cmp_eq_u64_e64 s7, 0, v[36:37]
	v_mov_b64_e32 v[68:69], 0
	v_mov_b64_e32 v[28:29], 0
	v_cmp_ge_u32_e64 s1, v0, v1
	s_ashr_i32 s25, s2, 8
	v_cmp_ne_u32_e64 s2, 32, v1
	v_cmp_ne_u32_e64 s3, v1, v57
	v_cmp_eq_u32_e64 s4, 0, v10
	v_mov_b32_e32 v49, v39
	v_cmp_le_u32_e64 s5, v58, v15
	v_cmp_lt_u32_e64 s6, v58, v15
	v_dual_lshrrev_b32 v59, 5, v0 :: v_dual_lshlrev_b32 v50, 4, v0
	v_dual_mov_b32 v51, v39 :: v_dual_lshlrev_b32 v52, 9, v48
	v_dual_mov_b32 v53, v39 :: v_dual_lshlrev_b32 v54, 8, v48
	v_dual_mov_b32 v55, v39 :: v_dual_mov_b32 v65, v39
	v_and_b32_e32 v64, 0x1fe0, v1
	v_dual_mov_b32 v60, 1 :: v_dual_mov_b32 v61, 0x90
	v_mov_b32_e32 v62, 0x7f800000
	v_mov_b32_e32 v63, 0x7c
	s_mov_b64 s[16:17], 0x100000000000000
	s_mov_b64 s[18:19], 0xffffffffffffff
	s_mov_b32 s26, 0
	s_xor_b32 s27, vcc_lo, -1
	s_brev_b32 s28, 1
	s_trap 2
	s_branch .LBB2_49
.LBB2_47:                               ;   in Loop: Header=BB2_49 Depth=1
	s_wait_xcnt 0x0
	s_or_b32 exec_lo, exec_lo, s10
.LBB2_48:                               ;   in Loop: Header=BB2_49 Depth=1
	s_delay_alu instid0(SALU_CYCLE_1) | instskip(SKIP_1) | instid1(VALU_DEP_1)
	s_or_b32 exec_lo, exec_lo, s11
	v_add_nc_u64_e32 v[68:69], v[68:69], v[34:35]
	v_cmp_ge_u64_e32 vcc_lo, v[68:69], v[4:5]
	s_or_b32 s26, vcc_lo, s26
	s_delay_alu instid0(SALU_CYCLE_1)
	s_and_not1_b32 exec_lo, exec_lo, s26
	s_cbranch_execz .LBB2_2626
.LBB2_49:                               ; =>This Loop Header: Depth=1
                                        ;     Child Loop BB2_58 Depth 2
                                        ;     Child Loop BB2_86 Depth 2
	;; [unrolled: 1-line block ×10, first 2 shown]
	v_sub_nc_u64_e32 v[10:11], v[4:5], v[68:69]
	s_delay_alu instid0(VALU_DEP_1) | instskip(NEXT) | instid1(VALU_DEP_1)
	v_min_u64 v[70:71], v[34:35], v[10:11]
	v_add_nc_u32_e32 v10, 15, v70
	s_delay_alu instid0(VALU_DEP_2) | instskip(NEXT) | instid1(VALU_DEP_2)
	v_cmp_eq_u64_e32 vcc_lo, 0, v[70:71]
	v_and_b32_e32 v10, 0x7ffffff0, v10
	s_or_b32 s29, s1, vcc_lo
	s_delay_alu instid0(SALU_CYCLE_1) | instskip(NEXT) | instid1(VALU_DEP_1)
	s_xor_b32 s10, s29, -1
	v_dual_mov_b32 v10, v39 :: v_dual_max_i32 v80, s25, v10
	s_and_saveexec_b32 s40, s10
	s_cbranch_execz .LBB2_2574
; %bb.50:                               ;   in Loop: Header=BB2_49 Depth=1
	s_and_saveexec_b32 s10, s0
	s_cbranch_execz .LBB2_52
; %bb.51:                               ;   in Loop: Header=BB2_49 Depth=1
	s_trap 2
	ds_load_b64 v[10:11], v0
	s_wait_dscnt 0x0
	v_add_nc_u64_e32 v[10:11], v[10:11], v[18:19]
	s_delay_alu instid0(VALU_DEP_1)
	v_add_nc_u64_e32 v[10:11], v[10:11], v[68:69]
	ds_store_b64 v0, v[10:11]
	ds_store_b64 v0, v[66:67]
.LBB2_52:                               ;   in Loop: Header=BB2_49 Depth=1
	s_or_b32 exec_lo, exec_lo, s10
	v_and_b32_e32 v10, 12, v56
	v_min_u32_e32 v80, v80, v70
	s_mov_b32 s11, exec_lo
	s_delay_alu instid0(VALU_DEP_2)
	v_cmpx_ne_u32_e32 0, v10
	s_cbranch_execz .LBB2_78
; %bb.53:                               ;   in Loop: Header=BB2_49 Depth=1
	v_and_b32_e32 v38, 8, v56
	s_wait_dscnt 0x0
	v_add_nc_u64_e32 v[10:11], 1, v[8:9]
	s_mov_b32 s12, exec_lo
	s_wait_loadcnt 0x0
	v_add_nc_u64_e32 v[12:13], v[32:33], v[38:39]
	s_delay_alu instid0(VALU_DEP_1)
	v_cmpx_lt_u64_e64 v[12:13], v[10:11]
	s_cbranch_execz .LBB2_65
; %bb.54:                               ;   in Loop: Header=BB2_49 Depth=1
	v_and_b32_e32 v9, 64, v56
	s_mov_b32 s13, 0
	s_mov_b32 s42, 0
                                        ; implicit-def: $sgpr14
                                        ; implicit-def: $sgpr15
                                        ; implicit-def: $sgpr41
	s_delay_alu instid0(VALU_DEP_1)
	v_cmp_eq_u32_e32 vcc_lo, 0, v9
	s_branch .LBB2_58
.LBB2_55:                               ;   in Loop: Header=BB2_58 Depth=2
	s_wait_loadcnt_dscnt 0x0
	v_add_nc_u64_e32 v[12:13], v[32:33], v[38:39]
	s_or_b32 s45, s45, exec_lo
	s_delay_alu instid0(VALU_DEP_1)
	v_cmp_ge_u64_e64 s10, v[12:13], v[10:11]
	s_or_not1_b32 s44, s10, exec_lo
.LBB2_56:                               ;   in Loop: Header=BB2_58 Depth=2
	s_or_b32 exec_lo, exec_lo, s47
	s_delay_alu instid0(SALU_CYCLE_1)
	s_and_not1_b32 s10, s41, exec_lo
	s_and_b32 s41, s45, exec_lo
	s_and_not1_b32 s15, s15, exec_lo
	s_and_b32 s44, s44, exec_lo
	s_or_b32 s41, s10, s41
	s_or_b32 s15, s15, s44
.LBB2_57:                               ;   in Loop: Header=BB2_58 Depth=2
	s_or_b32 exec_lo, exec_lo, s43
	s_delay_alu instid0(SALU_CYCLE_1) | instskip(NEXT) | instid1(SALU_CYCLE_1)
	s_and_b32 s10, exec_lo, s15
	s_or_b32 s13, s10, s13
	s_and_not1_b32 s10, s14, exec_lo
	s_and_b32 s14, s41, exec_lo
	s_delay_alu instid0(SALU_CYCLE_1)
	s_or_b32 s14, s10, s14
	s_and_not1_b32 exec_lo, exec_lo, s13
	s_cbranch_execz .LBB2_62
.LBB2_58:                               ;   Parent Loop BB2_49 Depth=1
                                        ; =>  This Inner Loop Header: Depth=2
	s_sleep 1
	s_wait_loadcnt_dscnt 0x0
	flat_load_b64 v[32:33], v[22:23] scope:SCOPE_SYS
	s_or_b32 s41, s41, exec_lo
	s_or_b32 s15, s15, exec_lo
                                        ; implicit-def: $vgpr9
	s_wait_xcnt 0x0
	s_and_saveexec_b32 s43, vcc_lo
	s_cbranch_execz .LBB2_57
; %bb.59:                               ;   in Loop: Header=BB2_58 Depth=2
	s_cmp_lt_i32 s42, 0x270f
	s_mov_b32 s44, -1
	s_cselect_b32 s46, -1, 0
	s_cmp_gt_i32 s42, 0x270e
	s_cbranch_scc0 .LBB2_61
; %bb.60:                               ;   in Loop: Header=BB2_58 Depth=2
	s_trap 2
	ds_load_b64 v[12:13], v0
	s_and_not1_b32 s42, s46, exec_lo
	s_mov_b32 s45, 0
	s_wait_storecnt 0x0
	s_wait_loadcnt_dscnt 0x0
	flat_load_b32 v9, v[12:13] scope:SCOPE_SYS
	s_wait_loadcnt_dscnt 0x0
	global_inv scope:SCOPE_SYS
	v_cmp_eq_u32_e64 s10, 0, v9
	s_and_b32 s10, s10, exec_lo
	s_delay_alu instid0(SALU_CYCLE_1)
	s_or_b32 s46, s42, s10
	s_mov_b32 s42, 0
	s_and_saveexec_b32 s47, s46
	s_cbranch_execz .LBB2_56
	s_branch .LBB2_55
.LBB2_61:                               ;   in Loop: Header=BB2_58 Depth=2
	s_add_co_i32 s42, s42, 1
	s_mov_b32 s45, -1
                                        ; implicit-def: $vgpr9
	s_and_saveexec_b32 s47, s46
	s_cbranch_execz .LBB2_56
	s_branch .LBB2_55
.LBB2_62:                               ;   in Loop: Header=BB2_49 Depth=1
	s_or_b32 exec_lo, exec_lo, s13
	s_xor_b32 s10, s14, -1
	s_delay_alu instid0(SALU_CYCLE_1) | instskip(NEXT) | instid1(SALU_CYCLE_1)
	s_and_saveexec_b32 s13, s10
	s_xor_b32 s10, exec_lo, s13
	s_cbranch_execz .LBB2_64
; %bb.63:                               ;   in Loop: Header=BB2_49 Depth=1
	v_or_b32_e32 v56, 64, v56
	s_wait_storecnt 0x0
	s_wait_loadcnt_dscnt 0x0
	ds_store_b32 v0, v9
	s_trap 2
.LBB2_64:                               ;   in Loop: Header=BB2_49 Depth=1
	s_or_b32 exec_lo, exec_lo, s10
.LBB2_65:                               ;   in Loop: Header=BB2_49 Depth=1
	s_delay_alu instid0(SALU_CYCLE_1) | instskip(SKIP_2) | instid1(VALU_DEP_1)
	s_or_b32 exec_lo, exec_lo, s12
	v_and_b32_e32 v9, 0x108, v56
	;;#ASMSTART
	s_wakeup
	;;#ASMEND
	v_cmp_ne_u32_e32 vcc_lo, 0x108, v9
	v_and_b32_e32 v8, 7, v8
	s_and_saveexec_b32 s10, vcc_lo
	s_delay_alu instid0(SALU_CYCLE_1)
	s_xor_b32 s10, exec_lo, s10
; %bb.66:                               ;   in Loop: Header=BB2_49 Depth=1
	v_mov_b32_e32 v9, v39
; %bb.67:                               ;   in Loop: Header=BB2_49 Depth=1
	s_and_not1_saveexec_b32 s10, s10
	s_cbranch_execz .LBB2_69
; %bb.68:                               ;   in Loop: Header=BB2_49 Depth=1
	v_mad_nc_u64_u32 v[12:13], v8, 24, v[6:7]
	v_dual_mov_b32 v81, v39 :: v_dual_mov_b32 v9, v39
	flat_store_b64 v[12:13], v[80:81] offset:8
.LBB2_69:                               ;   in Loop: Header=BB2_49 Depth=1
	s_wait_xcnt 0x0
	s_or_b32 exec_lo, exec_lo, s10
	v_and_b32_e32 v12, 0x100, v56
	s_mov_b32 s10, -1
	s_delay_alu instid0(VALU_DEP_1)
	v_cmp_ne_u32_e32 vcc_lo, 0, v12
                                        ; implicit-def: $vgpr12_vgpr13
	s_and_saveexec_b32 s12, vcc_lo
	s_cbranch_execz .LBB2_73
; %bb.70:                               ;   in Loop: Header=BB2_49 Depth=1
	v_mad_nc_u64_u32 v[14:15], v8, 24, v[6:7]
	s_delay_alu instid0(VALU_DEP_1)
	v_mad_u32 v15, v9, 24, v15
	flat_load_b32 v12, v[14:15]
	s_wait_loadcnt_dscnt 0x0
	v_cmp_eq_u32_e64 s10, 1, v12
	v_cmp_ne_u32_e32 vcc_lo, 1, v12
                                        ; implicit-def: $vgpr12_vgpr13
	s_wait_xcnt 0x0
	s_and_saveexec_b32 s13, s10
	s_cbranch_execz .LBB2_72
; %bb.71:                               ;   in Loop: Header=BB2_49 Depth=1
	flat_load_b32 v12, v[14:15] offset:4 scope:SCOPE_SYS
	s_wait_loadcnt_dscnt 0x0
	v_ashrrev_i32_e32 v13, 31, v12
.LBB2_72:                               ;   in Loop: Header=BB2_49 Depth=1
	s_wait_xcnt 0x0
	s_or_b32 exec_lo, exec_lo, s13
	s_delay_alu instid0(SALU_CYCLE_1)
	s_or_not1_b32 s10, vcc_lo, exec_lo
.LBB2_73:                               ;   in Loop: Header=BB2_49 Depth=1
	s_or_b32 exec_lo, exec_lo, s12
	s_and_saveexec_b32 s12, s10
; %bb.74:                               ;   in Loop: Header=BB2_49 Depth=1
	v_mul_u64_e32 v[12:13], v[8:9], v[24:25]
; %bb.75:                               ;   in Loop: Header=BB2_49 Depth=1
	s_or_b32 exec_lo, exec_lo, s12
	v_cmp_eq_u32_e32 vcc_lo, 0, v38
	s_delay_alu instid0(VALU_DEP_2) | instskip(SKIP_3) | instid1(VALU_DEP_1)
	v_add_nc_u64_e32 v[8:9], v[26:27], v[12:13]
	v_and_b32_e32 v15, 0x2000, v56
	s_mov_b32 s10, exec_lo
	v_cndmask_b32_e32 v14, 0xc8, v61, vcc_lo
	v_add_nc_u32_e32 v12, v0, v14
	ds_store_b64 v12, v[8:9] offset:584
	v_cmpx_ne_u32_e32 0, v15
	s_cbranch_execz .LBB2_77
; %bb.76:                               ;   in Loop: Header=BB2_49 Depth=1
	ds_load_b64 v[8:9], v0 offset:872
	s_wait_dscnt 0x0
	v_add_nc_u64_e32 v[8:9], 1, v[8:9]
	ds_store_b64 v0, v[8:9] offset:872
.LBB2_77:                               ;   in Loop: Header=BB2_49 Depth=1
	s_or_b32 exec_lo, exec_lo, s10
	v_mov_b64_e32 v[8:9], v[10:11]
.LBB2_78:                               ;   in Loop: Header=BB2_49 Depth=1
	s_or_b32 exec_lo, exec_lo, s11
	s_and_saveexec_b32 s10, s2
	s_cbranch_execz .LBB2_97
; %bb.79:                               ;   in Loop: Header=BB2_49 Depth=1
	s_and_saveexec_b32 s11, s3
	s_delay_alu instid0(SALU_CYCLE_1)
	s_xor_b32 s11, exec_lo, s11
	s_cbranch_execz .LBB2_94
; %bb.80:                               ;   in Loop: Header=BB2_49 Depth=1
	s_and_saveexec_b32 s12, s4
	s_cbranch_execz .LBB2_93
; %bb.81:                               ;   in Loop: Header=BB2_49 Depth=1
	s_mov_b32 s14, exec_lo
	s_mov_b32 s13, exec_lo
	v_mbcnt_lo_u32_b32 v10, s14, 0
	global_wb scope:SCOPE_DEV
	s_wait_storecnt 0x0
	s_wait_loadcnt_dscnt 0x0
	global_inv scope:SCOPE_DEV
	v_cmpx_eq_u32_e32 0, v10
	s_cbranch_execz .LBB2_83
; %bb.82:                               ;   in Loop: Header=BB2_49 Depth=1
	s_bcnt1_i32_b32 s14, s14
	s_delay_alu instid0(SALU_CYCLE_1)
	v_mov_b32_e32 v38, s14
	s_wait_loadcnt 0x0
	ds_add_u64 v0, v[38:39]
	s_trap 2
.LBB2_83:                               ;   in Loop: Header=BB2_49 Depth=1
	s_or_b32 exec_lo, exec_lo, s13
	s_trap 2
	ds_load_b64 v[10:11], v0
	s_wait_dscnt 0x0
	v_add_nc_u64_e32 v[28:29], v[28:29], v[48:49]
	s_mov_b32 s13, exec_lo
	s_delay_alu instid0(VALU_DEP_1)
	v_cmpx_lt_u64_e64 v[10:11], v[28:29]
	s_cbranch_execz .LBB2_92
; %bb.84:                               ;   in Loop: Header=BB2_49 Depth=1
	s_mov_b32 s14, 0
	s_mov_b32 s42, 0
                                        ; implicit-def: $sgpr15
                                        ; implicit-def: $sgpr41
	s_branch .LBB2_86
.LBB2_85:                               ;   in Loop: Header=BB2_86 Depth=2
	s_or_b32 exec_lo, exec_lo, s44
	s_delay_alu instid0(SALU_CYCLE_1) | instskip(NEXT) | instid1(SALU_CYCLE_1)
	s_and_b32 s43, exec_lo, s45
	s_or_b32 s14, s43, s14
	s_and_not1_b32 s15, s15, exec_lo
	s_and_b32 s43, s41, exec_lo
	s_delay_alu instid0(SALU_CYCLE_1)
	s_or_b32 s15, s15, s43
	s_and_not1_b32 exec_lo, exec_lo, s14
	s_cbranch_execz .LBB2_90
.LBB2_86:                               ;   Parent Loop BB2_49 Depth=1
                                        ; =>  This Inner Loop Header: Depth=2
	s_add_co_i32 s42, s42, 1
	s_delay_alu instid0(SALU_CYCLE_1) | instskip(SKIP_1) | instid1(SALU_CYCLE_1)
	s_cmp_lg_u32 s42, 0x2710
	s_cselect_b32 s43, -1, 0
	s_and_b32 vcc_lo, exec_lo, s43
	s_cbranch_vccz .LBB2_88
; %bb.87:                               ;   in Loop: Header=BB2_86 Depth=2
	s_mov_b32 s45, -1
	s_or_b32 s41, s41, exec_lo
	s_and_saveexec_b32 s44, s43
	s_cbranch_execz .LBB2_85
	s_branch .LBB2_89
.LBB2_88:                               ;   in Loop: Header=BB2_86 Depth=2
	s_trap 2
	ds_load_b64 v[10:11], v0
	s_and_not1_b32 s43, s43, exec_lo
	s_mov_b32 s42, 0
	s_wait_loadcnt_dscnt 0x0
	flat_load_b32 v10, v[10:11] scope:SCOPE_SYS
	s_wait_loadcnt_dscnt 0x0
	global_inv scope:SCOPE_SYS
	v_cmp_eq_u32_e32 vcc_lo, 0, v10
	s_and_b32 s44, vcc_lo, exec_lo
	s_delay_alu instid0(SALU_CYCLE_1)
	s_or_b32 s43, s43, s44
	s_mov_b32 s45, -1
	s_or_b32 s41, s41, exec_lo
	s_and_saveexec_b32 s44, s43
	s_cbranch_execz .LBB2_85
.LBB2_89:                               ;   in Loop: Header=BB2_86 Depth=2
	s_sleep 1
	s_trap 2
	ds_load_b64 v[10:11], v0
	s_wait_dscnt 0x0
	s_and_not1_b32 s41, s41, exec_lo
	v_cmp_ge_u64_e32 vcc_lo, v[10:11], v[28:29]
	s_or_not1_b32 s45, vcc_lo, exec_lo
	s_branch .LBB2_85
.LBB2_90:                               ;   in Loop: Header=BB2_49 Depth=1
	s_or_b32 exec_lo, exec_lo, s14
	s_and_saveexec_b32 s14, s15
	s_delay_alu instid0(SALU_CYCLE_1)
	s_xor_b32 s14, exec_lo, s14
	s_cbranch_execz .LBB2_92
; %bb.91:                               ;   in Loop: Header=BB2_49 Depth=1
	ds_store_b32 v0, v60
	s_trap 2
.LBB2_92:                               ;   in Loop: Header=BB2_49 Depth=1
	s_or_b32 exec_lo, exec_lo, s13
	;;#ASMSTART
	s_wakeup
	;;#ASMEND
.LBB2_93:                               ;   in Loop: Header=BB2_49 Depth=1
	s_or_b32 exec_lo, exec_lo, s12
.LBB2_94:                               ;   in Loop: Header=BB2_49 Depth=1
	s_and_not1_saveexec_b32 s11, s11
	s_cbranch_execz .LBB2_96
; %bb.95:                               ;   in Loop: Header=BB2_49 Depth=1
	global_wb scope:SCOPE_DEV
	s_wait_storecnt 0x0
	s_wait_loadcnt_dscnt 0x0
	global_inv scope:SCOPE_DEV
	s_barrier_signal -1
	s_barrier_wait -1
.LBB2_96:                               ;   in Loop: Header=BB2_49 Depth=1
	s_or_b32 exec_lo, exec_lo, s11
.LBB2_97:                               ;   in Loop: Header=BB2_49 Depth=1
	s_delay_alu instid0(SALU_CYCLE_1) | instskip(SKIP_3) | instid1(VALU_DEP_1)
	s_or_b32 exec_lo, exec_lo, s10
	s_trap 2
	ds_load_b32 v10, v0
	v_and_b32_e32 v11, 0x4000, v56
	v_cmp_ne_u32_e32 vcc_lo, 0, v11
	s_and_b32 s11, s27, vcc_lo
	s_delay_alu instid0(SALU_CYCLE_1)
	s_and_saveexec_b32 s10, s11
	s_cbranch_execz .LBB2_116
; %bb.98:                               ;   in Loop: Header=BB2_49 Depth=1
	s_and_saveexec_b32 s11, s3
	s_delay_alu instid0(SALU_CYCLE_1)
	s_xor_b32 s11, exec_lo, s11
	s_cbranch_execz .LBB2_113
; %bb.99:                               ;   in Loop: Header=BB2_49 Depth=1
	s_and_saveexec_b32 s12, s4
	s_cbranch_execz .LBB2_112
; %bb.100:                              ;   in Loop: Header=BB2_49 Depth=1
	s_mov_b32 s14, exec_lo
	s_mov_b32 s13, exec_lo
	v_mbcnt_lo_u32_b32 v11, s14, 0
	global_wb scope:SCOPE_DEV
	s_wait_storecnt 0x0
	s_wait_loadcnt_dscnt 0x0
	global_inv scope:SCOPE_DEV
	v_cmpx_eq_u32_e32 0, v11
	s_cbranch_execz .LBB2_102
; %bb.101:                              ;   in Loop: Header=BB2_49 Depth=1
	s_bcnt1_i32_b32 s14, s14
	s_delay_alu instid0(SALU_CYCLE_1)
	v_mov_b32_e32 v38, s14
	s_wait_loadcnt 0x0
	ds_add_u64 v0, v[38:39]
	s_trap 2
.LBB2_102:                              ;   in Loop: Header=BB2_49 Depth=1
	s_or_b32 exec_lo, exec_lo, s13
	s_trap 2
	ds_load_b64 v[12:13], v0
	s_wait_dscnt 0x0
	v_add_nc_u64_e32 v[28:29], v[28:29], v[48:49]
	s_mov_b32 s13, exec_lo
	s_delay_alu instid0(VALU_DEP_1)
	v_cmpx_lt_u64_e64 v[12:13], v[28:29]
	s_cbranch_execz .LBB2_111
; %bb.103:                              ;   in Loop: Header=BB2_49 Depth=1
	s_mov_b32 s14, 0
	s_mov_b32 s42, 0
                                        ; implicit-def: $sgpr15
                                        ; implicit-def: $sgpr41
	s_branch .LBB2_105
.LBB2_104:                              ;   in Loop: Header=BB2_105 Depth=2
	s_or_b32 exec_lo, exec_lo, s44
	s_delay_alu instid0(SALU_CYCLE_1) | instskip(NEXT) | instid1(SALU_CYCLE_1)
	s_and_b32 s43, exec_lo, s45
	s_or_b32 s14, s43, s14
	s_and_not1_b32 s15, s15, exec_lo
	s_and_b32 s43, s41, exec_lo
	s_delay_alu instid0(SALU_CYCLE_1)
	s_or_b32 s15, s15, s43
	s_and_not1_b32 exec_lo, exec_lo, s14
	s_cbranch_execz .LBB2_109
.LBB2_105:                              ;   Parent Loop BB2_49 Depth=1
                                        ; =>  This Inner Loop Header: Depth=2
	s_add_co_i32 s42, s42, 1
	s_delay_alu instid0(SALU_CYCLE_1) | instskip(SKIP_1) | instid1(SALU_CYCLE_1)
	s_cmp_lg_u32 s42, 0x2710
	s_cselect_b32 s43, -1, 0
	s_and_b32 vcc_lo, exec_lo, s43
	s_cbranch_vccz .LBB2_107
; %bb.106:                              ;   in Loop: Header=BB2_105 Depth=2
	s_mov_b32 s45, -1
	s_or_b32 s41, s41, exec_lo
	s_and_saveexec_b32 s44, s43
	s_cbranch_execz .LBB2_104
	s_branch .LBB2_108
.LBB2_107:                              ;   in Loop: Header=BB2_105 Depth=2
	s_trap 2
	ds_load_b64 v[12:13], v0
	s_and_not1_b32 s43, s43, exec_lo
	s_mov_b32 s42, 0
	s_wait_loadcnt_dscnt 0x0
	flat_load_b32 v11, v[12:13] scope:SCOPE_SYS
	s_wait_loadcnt_dscnt 0x0
	global_inv scope:SCOPE_SYS
	v_cmp_eq_u32_e32 vcc_lo, 0, v11
	s_and_b32 s44, vcc_lo, exec_lo
	s_delay_alu instid0(SALU_CYCLE_1)
	s_or_b32 s43, s43, s44
	s_mov_b32 s45, -1
	s_or_b32 s41, s41, exec_lo
	s_and_saveexec_b32 s44, s43
	s_cbranch_execz .LBB2_104
.LBB2_108:                              ;   in Loop: Header=BB2_105 Depth=2
	s_sleep 1
	s_trap 2
	ds_load_b64 v[12:13], v0
	s_wait_dscnt 0x0
	s_and_not1_b32 s41, s41, exec_lo
	v_cmp_ge_u64_e32 vcc_lo, v[12:13], v[28:29]
	s_or_not1_b32 s45, vcc_lo, exec_lo
	s_branch .LBB2_104
.LBB2_109:                              ;   in Loop: Header=BB2_49 Depth=1
	s_or_b32 exec_lo, exec_lo, s14
	s_and_saveexec_b32 s14, s15
	s_delay_alu instid0(SALU_CYCLE_1)
	s_xor_b32 s14, exec_lo, s14
	s_cbranch_execz .LBB2_111
; %bb.110:                              ;   in Loop: Header=BB2_49 Depth=1
	ds_store_b32 v0, v60
	s_trap 2
.LBB2_111:                              ;   in Loop: Header=BB2_49 Depth=1
	s_or_b32 exec_lo, exec_lo, s13
	;;#ASMSTART
	s_wakeup
	;;#ASMEND
.LBB2_112:                              ;   in Loop: Header=BB2_49 Depth=1
	s_or_b32 exec_lo, exec_lo, s12
.LBB2_113:                              ;   in Loop: Header=BB2_49 Depth=1
	s_and_not1_saveexec_b32 s11, s11
	s_cbranch_execz .LBB2_115
; %bb.114:                              ;   in Loop: Header=BB2_49 Depth=1
	global_wb scope:SCOPE_DEV
	s_wait_storecnt 0x0
	s_wait_loadcnt_dscnt 0x0
	global_inv scope:SCOPE_DEV
	s_barrier_signal -1
	s_barrier_wait -1
.LBB2_115:                              ;   in Loop: Header=BB2_49 Depth=1
	s_or_b32 exec_lo, exec_lo, s11
.LBB2_116:                              ;   in Loop: Header=BB2_49 Depth=1
	s_delay_alu instid0(SALU_CYCLE_1)
	s_or_b32 exec_lo, exec_lo, s10
	s_trap 2
	ds_load_b64 v[82:83], v0
	s_wait_dscnt 0x0
	v_cmp_eq_u64_e32 vcc_lo, 0, v[82:83]
	s_cbranch_vccnz .LBB2_124
; %bb.117:                              ;   in Loop: Header=BB2_49 Depth=1
	s_trap 2
	ds_load_b64 v[84:85], v0
	s_wait_dscnt 0x0
	v_cmp_eq_u64_e32 vcc_lo, 0, v[84:85]
	s_cbranch_vccnz .LBB2_124
; %bb.118:                              ;   in Loop: Header=BB2_49 Depth=1
	s_trap 2
	ds_load_b64 v[12:13], v0
	s_mov_b32 s10, -1
	s_wait_dscnt 0x0
	v_readfirstlane_b32 s41, v12
	s_and_saveexec_b32 s11, s5
	s_cbranch_execz .LBB2_120
; %bb.119:                              ;   in Loop: Header=BB2_49 Depth=1
	ds_load_b32 v11, v0 offset:720
	s_wait_dscnt 0x0
	v_and_b32_e32 v11, 15, v11
	s_delay_alu instid0(VALU_DEP_1)
	v_cmp_eq_u32_e32 vcc_lo, 0, v11
	s_or_not1_b32 s10, vcc_lo, exec_lo
.LBB2_120:                              ;   in Loop: Header=BB2_49 Depth=1
	s_or_b32 exec_lo, exec_lo, s11
	s_and_saveexec_b32 s11, s6
	s_cbranch_execz .LBB2_122
; %bb.121:                              ;   in Loop: Header=BB2_49 Depth=1
	ds_load_b32 v11, v0 offset:784
	s_wait_dscnt 0x0
	v_and_b32_e32 v11, 15, v11
	s_delay_alu instid0(VALU_DEP_1) | instskip(SKIP_3) | instid1(SALU_CYCLE_1)
	v_cmp_eq_u32_e32 vcc_lo, 0, v11
	s_and_b32 s12, s10, vcc_lo
	s_and_not1_b32 s10, s10, exec_lo
	s_and_b32 s12, s12, exec_lo
	s_or_b32 s10, s10, s12
.LBB2_122:                              ;   in Loop: Header=BB2_49 Depth=1
	s_or_b32 exec_lo, exec_lo, s11
	v_cmp_eq_u32_e32 vcc_lo, 0, v10
	s_xor_b32 s10, s10, -1
	s_mov_b32 s11, -1
	v_cndmask_b32_e64 v11, 0, 1, s10
	v_dual_mov_b32 v81, 0 :: v_dual_cndmask_b32 v71, 0, v80, vcc_lo
	v_mov_b32_e32 v30, v0
	s_delay_alu instid0(VALU_DEP_3) | instskip(NEXT) | instid1(VALU_DEP_3)
	v_cmp_ne_u32_e32 vcc_lo, 0, v11
	v_mov_b32_e32 v72, v71
	s_cbranch_vccz .LBB2_125
; %bb.123:                              ;   in Loop: Header=BB2_49 Depth=1
	s_and_saveexec_b32 s13, s11
	s_cbranch_execnz .LBB2_1928
	s_branch .LBB2_2548
.LBB2_124:                              ;   in Loop: Header=BB2_49 Depth=1
	s_mov_b32 s10, 0
	s_and_saveexec_b32 s11, s2
	s_cbranch_execnz .LBB2_2549
	s_branch .LBB2_2567
.LBB2_125:                              ;   in Loop: Header=BB2_49 Depth=1
	v_dual_lshrrev_b32 v10, 9, v71 :: v_dual_sub_nc_u32 v115, v71, v50
	v_and_b32_e32 v81, 0x1ff, v71
	s_mov_b32 s42, exec_lo
	s_delay_alu instid0(VALU_DEP_2) | instskip(NEXT) | instid1(VALU_DEP_2)
	v_sub_nc_u32_e32 v10, v10, v59
	v_cmp_lt_u32_e64 s10, 15, v81
	s_delay_alu instid0(VALU_DEP_1)
	v_add_co_ci_u32_e64 v114, null, 0, v10, s10
	v_cmpx_lt_i32_e32 15, v115
	s_cbranch_execz .LBB2_1025
; %bb.126:                              ;   in Loop: Header=BB2_49 Depth=1
	s_trap 2
	ds_load_b64 v[10:11], v0
	v_add_nc_u64_e32 v[86:87], v[82:83], v[50:51]
	v_add_nc_u64_e32 v[98:99], v[84:85], v[50:51]
	s_bitcmp1_b32 s41, 0
	s_mov_b32 s43, 0
	s_cselect_b32 s44, -1, 0
	s_wait_dscnt 0x0
	v_add_nc_u64_e32 v[96:97], v[10:11], v[50:51]
	s_branch .LBB2_129
.LBB2_127:                              ;   in Loop: Header=BB2_129 Depth=2
	s_or_b32 exec_lo, exec_lo, s12
.LBB2_128:                              ;   in Loop: Header=BB2_129 Depth=2
	s_delay_alu instid0(SALU_CYCLE_1)
	s_or_b32 exec_lo, exec_lo, s11
	v_lshl_or_b32 v11, v112, 8, v40
	v_dual_lshlrev_b32 v12, 16, v102 :: v_dual_lshlrev_b32 v17, 24, v119
	v_dual_lshlrev_b32 v13, 24, v30 :: v_dual_lshlrev_b32 v38, 16, v41
	v_lshl_or_b32 v15, v117, 8, v116
	v_dual_lshlrev_b32 v16, 16, v118 :: v_dual_sub_nc_u32 v115, v115, v52
	v_lshl_or_b32 v30, v113, 8, v103
	v_dual_lshlrev_b32 v101, 24, v42 :: v_dual_sub_nc_u32 v114, v114, v48
	v_lshlrev_b32_e32 v102, 24, v10
	v_lshlrev_b32_e32 v14, 16, v14
	v_lshl_or_b32 v100, v100, 8, v43
	v_or3_b32 v11, v11, v12, v13
	v_or3_b32 v10, v15, v16, v17
	;; [unrolled: 1-line block ×3, first 2 shown]
	v_add_nc_u64_e32 v[86:87], v[86:87], v[52:53]
	v_or3_b32 v13, v100, v14, v102
	v_add_nc_u64_e32 v[96:97], v[96:97], v[52:53]
	v_cmp_gt_i32_e32 vcc_lo, 16, v115
	global_store_b128 v[98:99], v[10:13], off th:TH_STORE_NT
	s_wait_xcnt 0x0
	v_add_nc_u64_e32 v[98:99], v[98:99], v[52:53]
	s_or_b32 s43, vcc_lo, s43
	s_delay_alu instid0(SALU_CYCLE_1)
	s_and_not1_b32 exec_lo, exec_lo, s43
	s_cbranch_execz .LBB2_1024
.LBB2_129:                              ;   Parent Loop BB2_49 Depth=1
                                        ; =>  This Inner Loop Header: Depth=2
	global_load_b128 v[14:17], v[96:97], off th:TH_LOAD_NT
	global_load_b128 v[10:13], v[86:87], off th:TH_LOAD_NT
	s_mov_b32 s14, -1
	s_wait_loadcnt 0x1
	v_dual_lshlrev_b32 v101, 24, v14 :: v_dual_bitop2_b32 v30, 3, v14 bitop3:0x40
	v_bfe_i32 v112, v14, 0, 8
	v_and_b32_e32 v100, 0x7c, v14
	s_wait_loadcnt 0x0
	v_and_b32_e32 v103, 0xff, v10
	v_clz_i32_u32_e32 v38, v30
	v_bfe_i32 v113, v10, 0, 8
	v_cmp_lt_i16_e32 vcc_lo, -1, v112
	v_cmp_eq_u32_e64 s11, 0x7c, v100
	v_and_or_b32 v100, v101, s28, 0x38000000
	v_min_u32_e32 v102, 32, v38
	v_bfe_u32 v38, v14, 2, 5
	v_cndmask_b32_e32 v118, 0xff800000, v62, vcc_lo
	v_cmp_eq_u32_e32 vcc_lo, 0, v30
	v_cmp_ne_u16_e64 s13, 0, v103
	v_subrev_nc_u32_e32 v116, 29, v102
	v_cmp_eq_u32_e64 s12, 0, v38
	v_cndmask_b32_e32 v101, 0x7f800001, v118, vcc_lo
	s_and_b32 vcc_lo, exec_lo, s44
	v_lshlrev_b64_e32 v[116:117], v116, v[14:15]
	v_sub_nc_u32_e32 v102, 30, v102
                                        ; implicit-def: $vgpr117
	s_delay_alu instid0(VALU_DEP_2)
	v_and_b32_e32 v103, 3, v116
	s_cbranch_vccz .LBB2_147
; %bb.130:                              ;   in Loop: Header=BB2_129 Depth=2
	v_mov_b32_e32 v116, 0
	s_wait_xcnt 0x0
	s_and_saveexec_b32 s14, s13
	s_cbranch_execz .LBB2_140
; %bb.131:                              ;   in Loop: Header=BB2_129 Depth=2
	v_bfrev_b32_e32 v116, 1
	s_mov_b32 s15, exec_lo
	v_cmpx_ne_u16_e32 0xff80, v113
	s_cbranch_execz .LBB2_139
; %bb.132:                              ;   in Loop: Header=BB2_129 Depth=2
	v_and_b32_e32 v116, 0x7c, v10
	v_and_b32_e32 v117, 3, v10
	s_delay_alu instid0(VALU_DEP_2) | instskip(SKIP_1) | instid1(SALU_CYCLE_1)
	v_cmp_ne_u32_e32 vcc_lo, 0x7c, v116
                                        ; implicit-def: $vgpr116
	s_and_saveexec_b32 s45, vcc_lo
	s_xor_b32 s45, exec_lo, s45
	s_cbranch_execz .LBB2_136
; %bb.133:                              ;   in Loop: Header=BB2_129 Depth=2
	v_bfe_u32 v116, v10, 2, 5
	s_mov_b32 s46, exec_lo
	s_delay_alu instid0(VALU_DEP_1)
	v_cmpx_eq_u32_e32 0, v116
; %bb.134:                              ;   in Loop: Header=BB2_129 Depth=2
	v_clz_i32_u32_e32 v116, v117
	s_delay_alu instid0(VALU_DEP_1) | instskip(NEXT) | instid1(VALU_DEP_1)
	v_min_u32_e32 v116, 32, v116
	v_subrev_nc_u32_e32 v117, 29, v116
	s_delay_alu instid0(VALU_DEP_1) | instskip(NEXT) | instid1(VALU_DEP_1)
	v_lshlrev_b64_e32 v[118:119], v117, v[10:11]
	v_dual_sub_nc_u32 v116, 30, v116 :: v_dual_bitop2_b32 v117, 3, v118 bitop3:0x40
; %bb.135:                              ;   in Loop: Header=BB2_129 Depth=2
	s_or_b32 exec_lo, exec_lo, s46
	v_lshlrev_b32_e32 v118, 24, v10
	s_delay_alu instid0(VALU_DEP_1) | instskip(NEXT) | instid1(VALU_DEP_1)
	v_and_b32_e32 v118, 0x80000000, v118
	v_lshl_add_u32 v116, v116, 23, v118
	s_delay_alu instid0(VALU_DEP_1) | instskip(NEXT) | instid1(VALU_DEP_1)
	v_lshl_or_b32 v116, v117, 21, v116
                                        ; implicit-def: $vgpr117
	v_add_nc_u32_e32 v116, 0x38000000, v116
.LBB2_136:                              ;   in Loop: Header=BB2_129 Depth=2
	s_and_not1_saveexec_b32 s45, s45
; %bb.137:                              ;   in Loop: Header=BB2_129 Depth=2
	v_cmp_lt_i16_e32 vcc_lo, -1, v113
	v_cndmask_b32_e32 v116, 0xff800000, v62, vcc_lo
	v_cmp_eq_u32_e32 vcc_lo, 0, v117
	s_delay_alu instid0(VALU_DEP_2)
	v_cndmask_b32_e32 v116, 0x7f800001, v116, vcc_lo
; %bb.138:                              ;   in Loop: Header=BB2_129 Depth=2
	s_or_b32 exec_lo, exec_lo, s45
.LBB2_139:                              ;   in Loop: Header=BB2_129 Depth=2
	s_delay_alu instid0(SALU_CYCLE_1)
	s_or_b32 exec_lo, exec_lo, s15
.LBB2_140:                              ;   in Loop: Header=BB2_129 Depth=2
	s_delay_alu instid0(SALU_CYCLE_1) | instskip(SKIP_3) | instid1(VALU_DEP_1)
	s_or_b32 exec_lo, exec_lo, s14
	v_and_b32_e32 v118, 0xff, v112
	s_mov_b32 s14, 0
	s_mov_b32 s15, exec_lo
	v_cmpx_lt_i16_e32 0x7f, v118
	s_xor_b32 s15, exec_lo, s15
	s_cbranch_execz .LBB2_976
; %bb.141:                              ;   in Loop: Header=BB2_129 Depth=2
	s_mov_b32 s14, -1
	s_mov_b32 s45, exec_lo
	v_cmpx_eq_u16_e32 0x80, v118
; %bb.142:                              ;   in Loop: Header=BB2_129 Depth=2
	s_xor_b32 s14, exec_lo, -1
; %bb.143:                              ;   in Loop: Header=BB2_129 Depth=2
	s_or_b32 exec_lo, exec_lo, s45
	s_delay_alu instid0(SALU_CYCLE_1)
	s_and_b32 s14, s14, exec_lo
                                        ; implicit-def: $vgpr118
	s_or_saveexec_b32 s15, s15
	v_bfrev_b32_e32 v117, 1
	s_xor_b32 exec_lo, exec_lo, s15
	s_cbranch_execnz .LBB2_977
.LBB2_144:                              ;   in Loop: Header=BB2_129 Depth=2
	s_or_b32 exec_lo, exec_lo, s15
	s_and_saveexec_b32 s15, s14
.LBB2_145:                              ;   in Loop: Header=BB2_129 Depth=2
	v_cndmask_b32_e64 v117, v38, v102, s12
	v_cndmask_b32_e64 v118, v30, v103, s12
	s_delay_alu instid0(VALU_DEP_2) | instskip(NEXT) | instid1(VALU_DEP_1)
	v_lshl_add_u32 v117, v117, 23, v100
	v_lshl_or_b32 v117, v118, 21, v117
	s_delay_alu instid0(VALU_DEP_1)
	v_cndmask_b32_e64 v117, v117, v101, s11
.LBB2_146:                              ;   in Loop: Header=BB2_129 Depth=2
	s_or_b32 exec_lo, exec_lo, s15
	s_delay_alu instid0(VALU_DEP_1) | instskip(SKIP_1) | instid1(VALU_DEP_1)
	v_dual_max_num_f32 v117, v117, v117 :: v_dual_max_num_f32 v116, v116, v116
	s_mov_b32 s14, 0
	v_max_num_f32_e32 v117, v116, v117
.LBB2_147:                              ;   in Loop: Header=BB2_129 Depth=2
	s_and_b32 vcc_lo, exec_lo, s14
	s_cbranch_vccz .LBB2_165
; %bb.148:                              ;   in Loop: Header=BB2_129 Depth=2
	v_mov_b32_e32 v116, 0
	s_wait_xcnt 0x0
	s_and_saveexec_b32 s14, s13
	s_cbranch_execz .LBB2_158
; %bb.149:                              ;   in Loop: Header=BB2_129 Depth=2
	v_bfrev_b32_e32 v116, 1
	s_mov_b32 s13, exec_lo
	v_cmpx_ne_u16_e32 0xff80, v113
	s_cbranch_execz .LBB2_157
; %bb.150:                              ;   in Loop: Header=BB2_129 Depth=2
	v_and_b32_e32 v116, 0x7c, v10
	v_and_b32_e32 v117, 3, v10
	s_delay_alu instid0(VALU_DEP_2) | instskip(SKIP_1) | instid1(SALU_CYCLE_1)
	v_cmp_ne_u32_e32 vcc_lo, 0x7c, v116
                                        ; implicit-def: $vgpr116
	s_and_saveexec_b32 s15, vcc_lo
	s_xor_b32 s15, exec_lo, s15
	s_cbranch_execz .LBB2_154
; %bb.151:                              ;   in Loop: Header=BB2_129 Depth=2
	v_bfe_u32 v113, v10, 2, 5
	s_mov_b32 s45, exec_lo
	s_delay_alu instid0(VALU_DEP_1)
	v_cmpx_eq_u32_e32 0, v113
; %bb.152:                              ;   in Loop: Header=BB2_129 Depth=2
	v_clz_i32_u32_e32 v113, v117
	s_delay_alu instid0(VALU_DEP_1) | instskip(NEXT) | instid1(VALU_DEP_1)
	v_min_u32_e32 v113, 32, v113
	v_subrev_nc_u32_e32 v116, 29, v113
	s_delay_alu instid0(VALU_DEP_1) | instskip(NEXT) | instid1(VALU_DEP_1)
	v_lshlrev_b64_e32 v[116:117], v116, v[10:11]
	v_dual_sub_nc_u32 v113, 30, v113 :: v_dual_bitop2_b32 v117, 3, v116 bitop3:0x40
; %bb.153:                              ;   in Loop: Header=BB2_129 Depth=2
	s_or_b32 exec_lo, exec_lo, s45
	v_lshlrev_b32_e32 v116, 24, v10
	s_delay_alu instid0(VALU_DEP_1) | instskip(NEXT) | instid1(VALU_DEP_1)
	v_and_b32_e32 v116, 0x80000000, v116
	v_lshl_add_u32 v113, v113, 23, v116
	s_delay_alu instid0(VALU_DEP_1) | instskip(NEXT) | instid1(VALU_DEP_1)
	v_lshl_or_b32 v113, v117, 21, v113
                                        ; implicit-def: $vgpr117
	v_add_nc_u32_e32 v116, 0x38000000, v113
                                        ; implicit-def: $vgpr113
.LBB2_154:                              ;   in Loop: Header=BB2_129 Depth=2
	s_and_not1_saveexec_b32 s15, s15
; %bb.155:                              ;   in Loop: Header=BB2_129 Depth=2
	v_cmp_lt_i16_e32 vcc_lo, -1, v113
	v_cndmask_b32_e32 v113, 0xff800000, v62, vcc_lo
	v_cmp_eq_u32_e32 vcc_lo, 0, v117
	s_delay_alu instid0(VALU_DEP_2)
	v_cndmask_b32_e32 v116, 0x7f800001, v113, vcc_lo
; %bb.156:                              ;   in Loop: Header=BB2_129 Depth=2
	s_or_b32 exec_lo, exec_lo, s15
.LBB2_157:                              ;   in Loop: Header=BB2_129 Depth=2
	s_delay_alu instid0(SALU_CYCLE_1)
	s_or_b32 exec_lo, exec_lo, s13
.LBB2_158:                              ;   in Loop: Header=BB2_129 Depth=2
	s_delay_alu instid0(SALU_CYCLE_1) | instskip(SKIP_3) | instid1(VALU_DEP_1)
	s_or_b32 exec_lo, exec_lo, s14
	v_and_b32_e32 v113, 0xff, v112
	s_mov_b32 s13, 0
	s_mov_b32 s14, exec_lo
	v_cmpx_lt_i16_e32 0x7f, v113
	s_xor_b32 s14, exec_lo, s14
	s_cbranch_execz .LBB2_978
; %bb.159:                              ;   in Loop: Header=BB2_129 Depth=2
	s_mov_b32 s13, -1
	s_mov_b32 s15, exec_lo
	v_cmpx_eq_u16_e32 0x80, v113
; %bb.160:                              ;   in Loop: Header=BB2_129 Depth=2
	s_xor_b32 s13, exec_lo, -1
; %bb.161:                              ;   in Loop: Header=BB2_129 Depth=2
	s_or_b32 exec_lo, exec_lo, s15
	s_delay_alu instid0(SALU_CYCLE_1)
	s_and_b32 s13, s13, exec_lo
                                        ; implicit-def: $vgpr113
	s_or_saveexec_b32 s14, s14
	v_bfrev_b32_e32 v112, 1
	s_xor_b32 exec_lo, exec_lo, s14
	s_cbranch_execnz .LBB2_979
.LBB2_162:                              ;   in Loop: Header=BB2_129 Depth=2
	s_or_b32 exec_lo, exec_lo, s14
	s_and_saveexec_b32 s14, s13
.LBB2_163:                              ;   in Loop: Header=BB2_129 Depth=2
	v_cndmask_b32_e64 v38, v38, v102, s12
	v_cndmask_b32_e64 v30, v30, v103, s12
	s_delay_alu instid0(VALU_DEP_2) | instskip(NEXT) | instid1(VALU_DEP_1)
	v_lshl_add_u32 v38, v38, 23, v100
	v_lshl_or_b32 v30, v30, 21, v38
	s_delay_alu instid0(VALU_DEP_1)
	v_cndmask_b32_e64 v112, v30, v101, s11
.LBB2_164:                              ;   in Loop: Header=BB2_129 Depth=2
	s_or_b32 exec_lo, exec_lo, s14
	s_delay_alu instid0(VALU_DEP_1) | instskip(SKIP_1) | instid1(VALU_DEP_1)
	v_max_num_f32_e32 v30, v112, v112
	v_max_num_f32_e32 v38, v116, v116
	v_min_num_f32_e32 v117, v38, v30
.LBB2_165:                              ;   in Loop: Header=BB2_129 Depth=2
	s_delay_alu instid0(VALU_DEP_1) | instskip(SKIP_4) | instid1(VALU_DEP_2)
	v_and_b32_e32 v100, 0x7f800000, v117
	v_dual_mov_b32 v101, v39 :: v_dual_lshrrev_b32 v30, 24, v117
	v_and_b32_e32 v38, 0x7fffff, v117
                                        ; implicit-def: $vgpr116
	s_mov_b32 s11, exec_lo
	s_wait_xcnt 0x0
	v_cmpx_ne_u64_e32 0x7f800000, v[100:101]
	s_xor_b32 s12, exec_lo, s11
	s_cbranch_execz .LBB2_179
; %bb.166:                              ;   in Loop: Header=BB2_129 Depth=2
	v_and_b32_e32 v100, 0x7fffffff, v117
	v_mov_b32_e32 v101, v39
	v_and_b32_e32 v30, 0x80, v30
                                        ; implicit-def: $vgpr116
	s_mov_b32 s11, exec_lo
	s_delay_alu instid0(VALU_DEP_2)
	v_cmpx_gt_u64_e32 0x47600001, v[100:101]
	s_xor_b32 s13, exec_lo, s11
	s_cbranch_execz .LBB2_176
; %bb.167:                              ;   in Loop: Header=BB2_129 Depth=2
	v_mov_b32_e32 v116, 0
	s_mov_b32 s14, exec_lo
	v_cmpx_ne_u32_e32 0, v117
	s_cbranch_execz .LBB2_175
; %bb.168:                              ;   in Loop: Header=BB2_129 Depth=2
	v_bfe_u32 v112, v117, 23, 8
	v_or_b32_e32 v102, 0x800000, v38
	s_delay_alu instid0(VALU_DEP_2) | instskip(SKIP_1) | instid1(VALU_DEP_2)
	v_sub_nc_u32_e32 v100, 0x71, v112
	v_cmp_gt_u32_e32 vcc_lo, 0x72, v112
	v_cndmask_b32_e32 v100, 0, v100, vcc_lo
	v_cmp_eq_u32_e32 vcc_lo, 0, v112
	s_delay_alu instid0(VALU_DEP_2) | instskip(NEXT) | instid1(VALU_DEP_1)
	v_cndmask_b32_e64 v113, v100, 0x70, vcc_lo
	v_dual_cndmask_b32 v38, v102, v38, vcc_lo :: v_dual_add_nc_u32 v100, 21, v113
	v_add_nc_u32_e32 v103, 20, v113
	s_delay_alu instid0(VALU_DEP_2) | instskip(NEXT) | instid1(VALU_DEP_2)
	v_lshlrev_b64_e64 v[100:101], v100, -1
	v_lshlrev_b64_e64 v[102:103], v103, 1
	s_delay_alu instid0(VALU_DEP_2) | instskip(NEXT) | instid1(VALU_DEP_3)
	v_bfi_b32 v117, v101, 0, 0
	v_bfi_b32 v116, v100, 0, v38
	v_lshrrev_b64 v[100:101], v113, v[38:39]
	s_delay_alu instid0(VALU_DEP_2) | instskip(NEXT) | instid1(VALU_DEP_2)
	v_cmp_eq_u64_e64 s11, v[116:117], v[102:103]
	v_mov_b64_e32 v[102:103], v[100:101]
	s_and_saveexec_b32 s15, s11
; %bb.169:                              ;   in Loop: Header=BB2_129 Depth=2
	v_bfe_u32 v38, v100, 21, 1
	s_delay_alu instid0(VALU_DEP_1) | instskip(NEXT) | instid1(VALU_DEP_1)
	v_add_nc_u64_e32 v[102:103], v[100:101], v[38:39]
	v_add_nc_u64_e32 v[102:103], -1, v[102:103]
; %bb.170:                              ;   in Loop: Header=BB2_129 Depth=2
	s_or_b32 exec_lo, exec_lo, s15
	v_add_nc_u32_e32 v38, 0xffffff81, v112
	v_lshrrev_b32_e32 v101, 23, v100
	s_mov_b32 s11, exec_lo
	s_delay_alu instid0(VALU_DEP_2) | instskip(NEXT) | instid1(VALU_DEP_1)
	v_cndmask_b32_e64 v38, v38, 0xffffff82, vcc_lo
	v_add3_u32 v103, v113, v38, v101
	v_and_b32_e32 v38, 0x1fffff, v102
                                        ; implicit-def: $vgpr102
	s_delay_alu instid0(VALU_DEP_1) | instskip(NEXT) | instid1(VALU_DEP_1)
	v_dual_add_nc_u32 v112, 14, v103 :: v_dual_add_nc_u32 v38, v38, v100
                                        ; implicit-def: $vgpr100_vgpr101
	v_cmpx_ne_u32_e32 0, v112
	s_xor_b32 s11, exec_lo, s11
; %bb.171:                              ;   in Loop: Header=BB2_129 Depth=2
	s_delay_alu instid0(VALU_DEP_2) | instskip(SKIP_1) | instid1(VALU_DEP_1)
	v_cmp_lt_u64_e32 vcc_lo, 0xffffff, v[38:39]
	v_add_nc_u32_e32 v100, 15, v103
	v_cndmask_b32_e32 v102, v112, v100, vcc_lo
	v_cndmask_b32_e64 v100, 0, 1, vcc_lo
	s_delay_alu instid0(VALU_DEP_1)
	v_lshrrev_b64 v[100:101], v100, v[38:39]
; %bb.172:                              ;   in Loop: Header=BB2_129 Depth=2
	s_and_not1_saveexec_b32 s11, s11
; %bb.173:                              ;   in Loop: Header=BB2_129 Depth=2
	v_mov_b64_e32 v[100:101], v[38:39]
	v_bfe_u32 v102, v38, 23, 1
; %bb.174:                              ;   in Loop: Header=BB2_129 Depth=2
	s_or_b32 exec_lo, exec_lo, s11
	s_delay_alu instid0(VALU_DEP_2) | instskip(NEXT) | instid1(VALU_DEP_2)
	v_lshrrev_b64 v[100:101], 21, v[100:101]
	v_cmp_gt_i32_e32 vcc_lo, 32, v102
	v_min_i32_e32 v38, 31, v102
	v_cmp_eq_u32_e64 s11, 0, v102
	s_delay_alu instid0(VALU_DEP_2) | instskip(SKIP_1) | instid1(VALU_DEP_2)
	v_dual_cndmask_b32 v101, 0, v101 :: v_dual_lshlrev_b32 v38, 2, v38
	v_cndmask_b32_e32 v100, 3, v100, vcc_lo
	v_and_b32_e32 v38, 0xfc, v38
	s_delay_alu instid0(VALU_DEP_2) | instskip(NEXT) | instid1(VALU_DEP_2)
	v_cmp_eq_u64_e32 vcc_lo, 0, v[100:101]
	v_and_or_b32 v38, v100, 3, v38
	s_and_b32 s11, s11, vcc_lo
	s_delay_alu instid0(VALU_DEP_1) | instid1(SALU_CYCLE_1)
	v_cndmask_b32_e64 v38, v38, 0, s11
	s_delay_alu instid0(VALU_DEP_1)
	v_or_b32_e32 v116, v38, v30
.LBB2_175:                              ;   in Loop: Header=BB2_129 Depth=2
	s_or_b32 exec_lo, exec_lo, s14
                                        ; implicit-def: $vgpr30
.LBB2_176:                              ;   in Loop: Header=BB2_129 Depth=2
	s_and_not1_saveexec_b32 s11, s13
; %bb.177:                              ;   in Loop: Header=BB2_129 Depth=2
	v_or_b32_e32 v116, 0x7b, v30
; %bb.178:                              ;   in Loop: Header=BB2_129 Depth=2
	s_or_b32 exec_lo, exec_lo, s11
                                        ; implicit-def: $vgpr117
                                        ; implicit-def: $vgpr30
.LBB2_179:                              ;   in Loop: Header=BB2_129 Depth=2
	s_and_not1_saveexec_b32 s11, s12
	s_cbranch_execz .LBB2_185
; %bb.180:                              ;   in Loop: Header=BB2_129 Depth=2
	s_mov_b32 s12, exec_lo
                                        ; implicit-def: $vgpr116
	v_cmpx_ne_u64_e32 0, v[38:39]
	s_xor_b32 s12, exec_lo, s12
; %bb.181:                              ;   in Loop: Header=BB2_129 Depth=2
	v_or_b32_e32 v116, 0x7f, v30
                                        ; implicit-def: $vgpr117
; %bb.182:                              ;   in Loop: Header=BB2_129 Depth=2
	s_and_not1_saveexec_b32 s12, s12
; %bb.183:                              ;   in Loop: Header=BB2_129 Depth=2
	v_cmp_lt_i32_e32 vcc_lo, -1, v117
	v_cndmask_b32_e32 v116, 0xfc, v63, vcc_lo
; %bb.184:                              ;   in Loop: Header=BB2_129 Depth=2
	s_or_b32 exec_lo, exec_lo, s12
.LBB2_185:                              ;   in Loop: Header=BB2_129 Depth=2
	s_delay_alu instid0(SALU_CYCLE_1) | instskip(SKIP_3) | instid1(VALU_DEP_2)
	s_or_b32 exec_lo, exec_lo, s11
	v_lshrrev_b16 v38, 8, v14
	v_cmp_lt_i16_e32 vcc_lo, -1, v14
	s_mov_b32 s14, -1
	v_and_b32_e32 v101, 0xffff, v38
	s_delay_alu instid0(VALU_DEP_1) | instskip(SKIP_2) | instid1(VALU_DEP_3)
	v_dual_lshlrev_b32 v103, 24, v38 :: v_dual_bitop2_b32 v30, 3, v101 bitop3:0x40
	v_and_b32_e32 v119, 0x7c, v101
	v_bfe_u32 v102, v101, 2, 5
                                        ; implicit-def: $vgpr101
	v_and_or_b32 v103, v103, s28, 0x38000000
	s_delay_alu instid0(VALU_DEP_4) | instskip(NEXT) | instid1(VALU_DEP_4)
	v_clz_i32_u32_e32 v100, v30
	v_cmp_eq_u32_e64 s11, 0x7c, v119
	s_delay_alu instid0(VALU_DEP_4) | instskip(NEXT) | instid1(VALU_DEP_3)
	v_cmp_eq_u32_e64 s12, 0, v102
	v_min_u32_e32 v113, 32, v100
	v_lshrrev_b16 v100, 8, v10
	v_cndmask_b32_e32 v112, 0xff800000, v62, vcc_lo
	v_cmp_eq_u32_e32 vcc_lo, 0, v30
	s_delay_alu instid0(VALU_DEP_4) | instskip(NEXT) | instid1(VALU_DEP_4)
	v_subrev_nc_u32_e32 v117, 29, v113
	v_and_b32_e32 v118, 0xffff, v100
	v_cmp_ne_u16_e64 s13, 0, v100
	v_dual_cndmask_b32 v112, 0x7f800001, v112 :: v_dual_sub_nc_u32 v113, 30, v113
	s_delay_alu instid0(VALU_DEP_4) | instskip(SKIP_1) | instid1(VALU_DEP_1)
	v_lshlrev_b64_e32 v[40:41], v117, v[38:39]
	s_and_b32 vcc_lo, exec_lo, s44
	v_and_b32_e32 v117, 3, v40
	s_cbranch_vccz .LBB2_203
; %bb.186:                              ;   in Loop: Header=BB2_129 Depth=2
	v_mov_b32_e32 v101, 0
	s_and_saveexec_b32 s14, s13
	s_cbranch_execz .LBB2_196
; %bb.187:                              ;   in Loop: Header=BB2_129 Depth=2
	v_bfrev_b32_e32 v101, 1
	s_mov_b32 s15, exec_lo
	v_cmpx_ne_u16_e32 0x80, v100
	s_cbranch_execz .LBB2_195
; %bb.188:                              ;   in Loop: Header=BB2_129 Depth=2
	v_and_b32_e32 v101, 0x7c, v118
	v_and_b32_e32 v119, 3, v118
	s_delay_alu instid0(VALU_DEP_2) | instskip(SKIP_1) | instid1(SALU_CYCLE_1)
	v_cmp_ne_u32_e32 vcc_lo, 0x7c, v101
                                        ; implicit-def: $vgpr101
	s_and_saveexec_b32 s45, vcc_lo
	s_xor_b32 s45, exec_lo, s45
	s_cbranch_execz .LBB2_192
; %bb.189:                              ;   in Loop: Header=BB2_129 Depth=2
	v_bfe_u32 v101, v118, 2, 5
	s_mov_b32 s46, exec_lo
	s_delay_alu instid0(VALU_DEP_1)
	v_cmpx_eq_u32_e32 0, v101
; %bb.190:                              ;   in Loop: Header=BB2_129 Depth=2
	v_clz_i32_u32_e32 v101, v119
	s_delay_alu instid0(VALU_DEP_1) | instskip(SKIP_1) | instid1(VALU_DEP_2)
	v_min_u32_e32 v119, 32, v101
	v_mov_b32_e32 v101, v39
	v_subrev_nc_u32_e32 v40, 29, v119
	s_delay_alu instid0(VALU_DEP_1) | instskip(NEXT) | instid1(VALU_DEP_1)
	v_lshlrev_b64_e32 v[40:41], v40, v[100:101]
	v_dual_sub_nc_u32 v101, 30, v119 :: v_dual_bitop2_b32 v119, 3, v40 bitop3:0x40
; %bb.191:                              ;   in Loop: Header=BB2_129 Depth=2
	s_or_b32 exec_lo, exec_lo, s46
	v_lshlrev_b32_e32 v40, 16, v10
	s_delay_alu instid0(VALU_DEP_1) | instskip(NEXT) | instid1(VALU_DEP_1)
	v_and_b32_e32 v40, 0x80000000, v40
	v_lshl_add_u32 v101, v101, 23, v40
	s_delay_alu instid0(VALU_DEP_1) | instskip(NEXT) | instid1(VALU_DEP_1)
	v_lshl_or_b32 v101, v119, 21, v101
                                        ; implicit-def: $vgpr119
	v_add_nc_u32_e32 v101, 0x38000000, v101
.LBB2_192:                              ;   in Loop: Header=BB2_129 Depth=2
	s_and_not1_saveexec_b32 s45, s45
; %bb.193:                              ;   in Loop: Header=BB2_129 Depth=2
	v_cmp_lt_i16_e32 vcc_lo, -1, v10
	v_cndmask_b32_e32 v101, 0xff800000, v62, vcc_lo
	v_cmp_eq_u32_e32 vcc_lo, 0, v119
	s_delay_alu instid0(VALU_DEP_2)
	v_cndmask_b32_e32 v101, 0x7f800001, v101, vcc_lo
; %bb.194:                              ;   in Loop: Header=BB2_129 Depth=2
	s_or_b32 exec_lo, exec_lo, s45
.LBB2_195:                              ;   in Loop: Header=BB2_129 Depth=2
	s_delay_alu instid0(SALU_CYCLE_1)
	s_or_b32 exec_lo, exec_lo, s15
.LBB2_196:                              ;   in Loop: Header=BB2_129 Depth=2
	s_delay_alu instid0(SALU_CYCLE_1)
	s_or_b32 exec_lo, exec_lo, s14
	s_mov_b32 s14, 0
	s_mov_b32 s15, exec_lo
	v_cmpx_lt_i16_e32 0x7f, v38
	s_xor_b32 s15, exec_lo, s15
	s_cbranch_execz .LBB2_980
; %bb.197:                              ;   in Loop: Header=BB2_129 Depth=2
	s_mov_b32 s14, -1
	s_mov_b32 s45, exec_lo
	v_cmpx_eq_u16_e32 0x80, v38
; %bb.198:                              ;   in Loop: Header=BB2_129 Depth=2
	s_xor_b32 s14, exec_lo, -1
; %bb.199:                              ;   in Loop: Header=BB2_129 Depth=2
	s_or_b32 exec_lo, exec_lo, s45
	s_delay_alu instid0(SALU_CYCLE_1)
	s_and_b32 s14, s14, exec_lo
	s_or_saveexec_b32 s15, s15
	v_bfrev_b32_e32 v119, 1
	s_xor_b32 exec_lo, exec_lo, s15
	s_cbranch_execnz .LBB2_981
.LBB2_200:                              ;   in Loop: Header=BB2_129 Depth=2
	s_or_b32 exec_lo, exec_lo, s15
	s_and_saveexec_b32 s15, s14
.LBB2_201:                              ;   in Loop: Header=BB2_129 Depth=2
	v_cndmask_b32_e64 v119, v102, v113, s12
	v_cndmask_b32_e64 v40, v30, v117, s12
	s_delay_alu instid0(VALU_DEP_2) | instskip(NEXT) | instid1(VALU_DEP_1)
	v_lshl_add_u32 v119, v119, 23, v103
	v_lshl_or_b32 v119, v40, 21, v119
	s_delay_alu instid0(VALU_DEP_1)
	v_cndmask_b32_e64 v119, v119, v112, s11
.LBB2_202:                              ;   in Loop: Header=BB2_129 Depth=2
	s_or_b32 exec_lo, exec_lo, s15
	s_delay_alu instid0(VALU_DEP_1) | instskip(SKIP_1) | instid1(VALU_DEP_1)
	v_dual_max_num_f32 v119, v119, v119 :: v_dual_max_num_f32 v101, v101, v101
	s_mov_b32 s14, 0
	v_max_num_f32_e32 v101, v101, v119
.LBB2_203:                              ;   in Loop: Header=BB2_129 Depth=2
	s_and_b32 vcc_lo, exec_lo, s14
	s_cbranch_vccz .LBB2_221
; %bb.204:                              ;   in Loop: Header=BB2_129 Depth=2
	v_mov_b32_e32 v101, 0
	s_and_saveexec_b32 s14, s13
	s_cbranch_execz .LBB2_214
; %bb.205:                              ;   in Loop: Header=BB2_129 Depth=2
	v_bfrev_b32_e32 v101, 1
	s_mov_b32 s13, exec_lo
	v_cmpx_ne_u16_e32 0x80, v100
	s_cbranch_execz .LBB2_213
; %bb.206:                              ;   in Loop: Header=BB2_129 Depth=2
	v_and_b32_e32 v101, 0x7c, v118
	v_and_b32_e32 v119, 3, v118
	s_delay_alu instid0(VALU_DEP_2) | instskip(SKIP_1) | instid1(SALU_CYCLE_1)
	v_cmp_ne_u32_e32 vcc_lo, 0x7c, v101
                                        ; implicit-def: $vgpr101
	s_and_saveexec_b32 s15, vcc_lo
	s_xor_b32 s15, exec_lo, s15
	s_cbranch_execz .LBB2_210
; %bb.207:                              ;   in Loop: Header=BB2_129 Depth=2
	v_bfe_u32 v101, v118, 2, 5
	s_mov_b32 s45, exec_lo
	s_delay_alu instid0(VALU_DEP_1)
	v_cmpx_eq_u32_e32 0, v101
; %bb.208:                              ;   in Loop: Header=BB2_129 Depth=2
	v_clz_i32_u32_e32 v101, v119
	s_delay_alu instid0(VALU_DEP_1) | instskip(SKIP_1) | instid1(VALU_DEP_2)
	v_min_u32_e32 v118, 32, v101
	v_mov_b32_e32 v101, v39
	v_subrev_nc_u32_e32 v119, 29, v118
	s_delay_alu instid0(VALU_DEP_1) | instskip(NEXT) | instid1(VALU_DEP_1)
	v_lshlrev_b64_e32 v[100:101], v119, v[100:101]
	v_dual_sub_nc_u32 v101, 30, v118 :: v_dual_bitop2_b32 v119, 3, v100 bitop3:0x40
; %bb.209:                              ;   in Loop: Header=BB2_129 Depth=2
	s_or_b32 exec_lo, exec_lo, s45
	v_lshlrev_b32_e32 v100, 16, v10
	s_delay_alu instid0(VALU_DEP_1) | instskip(NEXT) | instid1(VALU_DEP_1)
	v_and_b32_e32 v100, 0x80000000, v100
	v_lshl_add_u32 v100, v101, 23, v100
	s_delay_alu instid0(VALU_DEP_1) | instskip(NEXT) | instid1(VALU_DEP_1)
	v_lshl_or_b32 v100, v119, 21, v100
                                        ; implicit-def: $vgpr119
	v_add_nc_u32_e32 v101, 0x38000000, v100
.LBB2_210:                              ;   in Loop: Header=BB2_129 Depth=2
	s_and_not1_saveexec_b32 s15, s15
; %bb.211:                              ;   in Loop: Header=BB2_129 Depth=2
	v_cmp_lt_i16_e32 vcc_lo, -1, v10
	v_cndmask_b32_e32 v100, 0xff800000, v62, vcc_lo
	v_cmp_eq_u32_e32 vcc_lo, 0, v119
	s_delay_alu instid0(VALU_DEP_2)
	v_cndmask_b32_e32 v101, 0x7f800001, v100, vcc_lo
; %bb.212:                              ;   in Loop: Header=BB2_129 Depth=2
	s_or_b32 exec_lo, exec_lo, s15
.LBB2_213:                              ;   in Loop: Header=BB2_129 Depth=2
	s_delay_alu instid0(SALU_CYCLE_1)
	s_or_b32 exec_lo, exec_lo, s13
.LBB2_214:                              ;   in Loop: Header=BB2_129 Depth=2
	s_delay_alu instid0(SALU_CYCLE_1)
	s_or_b32 exec_lo, exec_lo, s14
	s_mov_b32 s13, 0
	s_mov_b32 s14, exec_lo
	v_cmpx_lt_i16_e32 0x7f, v38
	s_xor_b32 s14, exec_lo, s14
	s_cbranch_execz .LBB2_982
; %bb.215:                              ;   in Loop: Header=BB2_129 Depth=2
	s_mov_b32 s13, -1
	s_mov_b32 s15, exec_lo
	v_cmpx_eq_u16_e32 0x80, v38
; %bb.216:                              ;   in Loop: Header=BB2_129 Depth=2
	s_xor_b32 s13, exec_lo, -1
; %bb.217:                              ;   in Loop: Header=BB2_129 Depth=2
	s_or_b32 exec_lo, exec_lo, s15
	s_delay_alu instid0(SALU_CYCLE_1)
	s_and_b32 s13, s13, exec_lo
	s_or_saveexec_b32 s14, s14
	v_bfrev_b32_e32 v100, 1
	s_xor_b32 exec_lo, exec_lo, s14
	s_cbranch_execnz .LBB2_983
.LBB2_218:                              ;   in Loop: Header=BB2_129 Depth=2
	s_or_b32 exec_lo, exec_lo, s14
	s_and_saveexec_b32 s14, s13
.LBB2_219:                              ;   in Loop: Header=BB2_129 Depth=2
	v_cndmask_b32_e64 v38, v102, v113, s12
	v_cndmask_b32_e64 v30, v30, v117, s12
	s_delay_alu instid0(VALU_DEP_2) | instskip(NEXT) | instid1(VALU_DEP_1)
	v_lshl_add_u32 v38, v38, 23, v103
	v_lshl_or_b32 v30, v30, 21, v38
	s_delay_alu instid0(VALU_DEP_1)
	v_cndmask_b32_e64 v100, v30, v112, s11
.LBB2_220:                              ;   in Loop: Header=BB2_129 Depth=2
	s_or_b32 exec_lo, exec_lo, s14
	s_delay_alu instid0(VALU_DEP_1) | instskip(NEXT) | instid1(VALU_DEP_1)
	v_dual_max_num_f32 v30, v100, v100 :: v_dual_max_num_f32 v38, v101, v101
	v_min_num_f32_e32 v101, v38, v30
.LBB2_221:                              ;   in Loop: Header=BB2_129 Depth=2
	s_delay_alu instid0(VALU_DEP_1) | instskip(SKIP_3) | instid1(VALU_DEP_2)
	v_and_b32_e32 v102, 0x7f800000, v101
	v_dual_mov_b32 v103, v39 :: v_dual_lshrrev_b32 v30, 24, v101
	v_and_b32_e32 v38, 0x7fffff, v101
                                        ; implicit-def: $vgpr117
	s_mov_b32 s11, exec_lo
	v_cmpx_ne_u64_e32 0x7f800000, v[102:103]
	s_xor_b32 s12, exec_lo, s11
	s_cbranch_execz .LBB2_235
; %bb.222:                              ;   in Loop: Header=BB2_129 Depth=2
	v_and_b32_e32 v102, 0x7fffffff, v101
	v_mov_b32_e32 v103, v39
	v_and_b32_e32 v30, 0x80, v30
                                        ; implicit-def: $vgpr117
	s_mov_b32 s11, exec_lo
	s_delay_alu instid0(VALU_DEP_2)
	v_cmpx_gt_u64_e32 0x47600001, v[102:103]
	s_xor_b32 s13, exec_lo, s11
	s_cbranch_execz .LBB2_232
; %bb.223:                              ;   in Loop: Header=BB2_129 Depth=2
	v_mov_b32_e32 v117, 0
	s_mov_b32 s14, exec_lo
	v_cmpx_ne_u32_e32 0, v101
	s_cbranch_execz .LBB2_231
; %bb.224:                              ;   in Loop: Header=BB2_129 Depth=2
	v_bfe_u32 v112, v101, 23, 8
	v_or_b32_e32 v102, 0x800000, v38
	s_delay_alu instid0(VALU_DEP_2) | instskip(SKIP_1) | instid1(VALU_DEP_2)
	v_sub_nc_u32_e32 v100, 0x71, v112
	v_cmp_gt_u32_e32 vcc_lo, 0x72, v112
	v_cndmask_b32_e32 v100, 0, v100, vcc_lo
	v_cmp_eq_u32_e32 vcc_lo, 0, v112
	s_delay_alu instid0(VALU_DEP_2) | instskip(NEXT) | instid1(VALU_DEP_1)
	v_cndmask_b32_e64 v113, v100, 0x70, vcc_lo
	v_dual_cndmask_b32 v38, v102, v38, vcc_lo :: v_dual_add_nc_u32 v100, 21, v113
	v_add_nc_u32_e32 v103, 20, v113
	s_delay_alu instid0(VALU_DEP_2) | instskip(NEXT) | instid1(VALU_DEP_2)
	v_lshlrev_b64_e64 v[100:101], v100, -1
	v_lshlrev_b64_e64 v[102:103], v103, 1
	s_delay_alu instid0(VALU_DEP_2) | instskip(NEXT) | instid1(VALU_DEP_3)
	v_bfi_b32 v119, v101, 0, 0
	v_bfi_b32 v118, v100, 0, v38
	v_lshrrev_b64 v[100:101], v113, v[38:39]
	s_delay_alu instid0(VALU_DEP_2) | instskip(NEXT) | instid1(VALU_DEP_2)
	v_cmp_eq_u64_e64 s11, v[118:119], v[102:103]
	v_mov_b64_e32 v[102:103], v[100:101]
	s_and_saveexec_b32 s15, s11
; %bb.225:                              ;   in Loop: Header=BB2_129 Depth=2
	v_bfe_u32 v38, v100, 21, 1
	s_delay_alu instid0(VALU_DEP_1) | instskip(NEXT) | instid1(VALU_DEP_1)
	v_add_nc_u64_e32 v[102:103], v[100:101], v[38:39]
	v_add_nc_u64_e32 v[102:103], -1, v[102:103]
; %bb.226:                              ;   in Loop: Header=BB2_129 Depth=2
	s_or_b32 exec_lo, exec_lo, s15
	v_add_nc_u32_e32 v38, 0xffffff81, v112
	v_lshrrev_b32_e32 v101, 23, v100
	s_mov_b32 s11, exec_lo
	s_delay_alu instid0(VALU_DEP_2) | instskip(NEXT) | instid1(VALU_DEP_1)
	v_cndmask_b32_e64 v38, v38, 0xffffff82, vcc_lo
	v_add3_u32 v103, v113, v38, v101
	v_and_b32_e32 v38, 0x1fffff, v102
                                        ; implicit-def: $vgpr102
	s_delay_alu instid0(VALU_DEP_1) | instskip(NEXT) | instid1(VALU_DEP_1)
	v_dual_add_nc_u32 v112, 14, v103 :: v_dual_add_nc_u32 v38, v38, v100
                                        ; implicit-def: $vgpr100_vgpr101
	v_cmpx_ne_u32_e32 0, v112
	s_xor_b32 s11, exec_lo, s11
; %bb.227:                              ;   in Loop: Header=BB2_129 Depth=2
	s_delay_alu instid0(VALU_DEP_2) | instskip(SKIP_1) | instid1(VALU_DEP_1)
	v_cmp_lt_u64_e32 vcc_lo, 0xffffff, v[38:39]
	v_add_nc_u32_e32 v100, 15, v103
	v_cndmask_b32_e32 v102, v112, v100, vcc_lo
	v_cndmask_b32_e64 v100, 0, 1, vcc_lo
	s_delay_alu instid0(VALU_DEP_1)
	v_lshrrev_b64 v[100:101], v100, v[38:39]
; %bb.228:                              ;   in Loop: Header=BB2_129 Depth=2
	s_and_not1_saveexec_b32 s11, s11
; %bb.229:                              ;   in Loop: Header=BB2_129 Depth=2
	v_mov_b64_e32 v[100:101], v[38:39]
	v_bfe_u32 v102, v38, 23, 1
; %bb.230:                              ;   in Loop: Header=BB2_129 Depth=2
	s_or_b32 exec_lo, exec_lo, s11
	s_delay_alu instid0(VALU_DEP_2) | instskip(NEXT) | instid1(VALU_DEP_2)
	v_lshrrev_b64 v[100:101], 21, v[100:101]
	v_cmp_gt_i32_e32 vcc_lo, 32, v102
	v_min_i32_e32 v38, 31, v102
	v_cmp_eq_u32_e64 s11, 0, v102
	s_delay_alu instid0(VALU_DEP_2) | instskip(SKIP_1) | instid1(VALU_DEP_2)
	v_dual_cndmask_b32 v101, 0, v101 :: v_dual_lshlrev_b32 v38, 2, v38
	v_cndmask_b32_e32 v100, 3, v100, vcc_lo
	v_and_b32_e32 v38, 0xfc, v38
	s_delay_alu instid0(VALU_DEP_2) | instskip(NEXT) | instid1(VALU_DEP_2)
	v_cmp_eq_u64_e32 vcc_lo, 0, v[100:101]
	v_and_or_b32 v38, v100, 3, v38
	s_and_b32 s11, s11, vcc_lo
	s_delay_alu instid0(VALU_DEP_1) | instid1(SALU_CYCLE_1)
	v_cndmask_b32_e64 v38, v38, 0, s11
	s_delay_alu instid0(VALU_DEP_1)
	v_or_b32_e32 v117, v38, v30
.LBB2_231:                              ;   in Loop: Header=BB2_129 Depth=2
	s_or_b32 exec_lo, exec_lo, s14
                                        ; implicit-def: $vgpr30
.LBB2_232:                              ;   in Loop: Header=BB2_129 Depth=2
	s_and_not1_saveexec_b32 s11, s13
; %bb.233:                              ;   in Loop: Header=BB2_129 Depth=2
	v_or_b32_e32 v117, 0x7b, v30
; %bb.234:                              ;   in Loop: Header=BB2_129 Depth=2
	s_or_b32 exec_lo, exec_lo, s11
                                        ; implicit-def: $vgpr101
                                        ; implicit-def: $vgpr30
.LBB2_235:                              ;   in Loop: Header=BB2_129 Depth=2
	s_and_not1_saveexec_b32 s11, s12
	s_cbranch_execz .LBB2_241
; %bb.236:                              ;   in Loop: Header=BB2_129 Depth=2
	s_mov_b32 s12, exec_lo
                                        ; implicit-def: $vgpr117
	v_cmpx_ne_u64_e32 0, v[38:39]
	s_xor_b32 s12, exec_lo, s12
; %bb.237:                              ;   in Loop: Header=BB2_129 Depth=2
	v_or_b32_e32 v117, 0x7f, v30
                                        ; implicit-def: $vgpr101
; %bb.238:                              ;   in Loop: Header=BB2_129 Depth=2
	s_and_not1_saveexec_b32 s12, s12
; %bb.239:                              ;   in Loop: Header=BB2_129 Depth=2
	v_cmp_lt_i32_e32 vcc_lo, -1, v101
	v_cndmask_b32_e32 v117, 0xfc, v63, vcc_lo
; %bb.240:                              ;   in Loop: Header=BB2_129 Depth=2
	s_or_b32 exec_lo, exec_lo, s12
.LBB2_241:                              ;   in Loop: Header=BB2_129 Depth=2
	s_delay_alu instid0(SALU_CYCLE_1) | instskip(SKIP_4) | instid1(VALU_DEP_4)
	s_or_b32 exec_lo, exec_lo, s11
	v_bfe_u32 v38, v14, 16, 2
	v_dual_lshrrev_b32 v102, 16, v14 :: v_dual_lshlrev_b32 v112, 8, v14
	v_bfe_u32 v100, v14, 18, 5
	v_and_b32_e32 v101, 0x7c0000, v14
	v_clz_i32_u32_e32 v30, v38
	s_delay_alu instid0(VALU_DEP_4)
	v_bfe_i32 v113, v102, 0, 8
	s_mov_b32 s14, -1
	v_cmp_eq_u32_e64 s12, 0, v100
	v_cmp_eq_u32_e64 s11, 0x7c0000, v101
	v_min_u32_e32 v103, 32, v30
	v_lshrrev_b32_e32 v30, 16, v10
	v_cmp_lt_i16_e32 vcc_lo, -1, v113
	v_and_or_b32 v101, v112, s28, 0x38000000
	s_delay_alu instid0(VALU_DEP_4) | instskip(NEXT) | instid1(VALU_DEP_1)
	v_subrev_nc_u32_e32 v119, 29, v103
	v_lshlrev_b64_e32 v[40:41], v119, v[102:103]
	v_dual_cndmask_b32 v102, 0xff800000, v62 :: v_dual_sub_nc_u32 v103, 30, v103
	v_and_b32_e32 v118, 0xff, v30
	v_cmp_eq_u32_e32 vcc_lo, 0, v38
                                        ; implicit-def: $vgpr119
	s_delay_alu instid0(VALU_DEP_4) | instskip(NEXT) | instid1(VALU_DEP_3)
	v_and_b32_e32 v112, 3, v40
	v_cmp_ne_u16_e64 s13, 0, v118
	v_cndmask_b32_e32 v102, 0x7f800001, v102, vcc_lo
	s_and_b32 vcc_lo, exec_lo, s44
	s_cbranch_vccz .LBB2_259
; %bb.242:                              ;   in Loop: Header=BB2_129 Depth=2
	v_mov_b32_e32 v119, 0
	s_and_saveexec_b32 s14, s13
	s_cbranch_execz .LBB2_252
; %bb.243:                              ;   in Loop: Header=BB2_129 Depth=2
	v_bfrev_b32_e32 v119, 1
	s_mov_b32 s15, exec_lo
	v_cmpx_ne_u16_e32 0x80, v118
	s_cbranch_execz .LBB2_251
; %bb.244:                              ;   in Loop: Header=BB2_129 Depth=2
	v_and_b32_e32 v119, 0x7c0000, v10
	v_bfe_u32 v40, v10, 16, 2
	s_delay_alu instid0(VALU_DEP_2) | instskip(SKIP_1) | instid1(SALU_CYCLE_1)
	v_cmp_ne_u32_e32 vcc_lo, 0x7c0000, v119
                                        ; implicit-def: $vgpr119
	s_and_saveexec_b32 s45, vcc_lo
	s_xor_b32 s45, exec_lo, s45
	s_cbranch_execz .LBB2_248
; %bb.245:                              ;   in Loop: Header=BB2_129 Depth=2
	v_bfe_u32 v119, v10, 18, 5
	s_mov_b32 s46, exec_lo
	s_delay_alu instid0(VALU_DEP_1)
	v_cmpx_eq_u32_e32 0, v119
; %bb.246:                              ;   in Loop: Header=BB2_129 Depth=2
	v_clz_i32_u32_e32 v119, v40
	s_delay_alu instid0(VALU_DEP_1) | instskip(NEXT) | instid1(VALU_DEP_1)
	v_min_u32_e32 v119, 32, v119
	v_subrev_nc_u32_e32 v40, 29, v119
	s_delay_alu instid0(VALU_DEP_1) | instskip(NEXT) | instid1(VALU_DEP_1)
	v_lshlrev_b64_e32 v[40:41], v40, v[30:31]
	v_dual_sub_nc_u32 v119, 30, v119 :: v_dual_bitop2_b32 v40, 3, v40 bitop3:0x40
; %bb.247:                              ;   in Loop: Header=BB2_129 Depth=2
	s_or_b32 exec_lo, exec_lo, s46
	v_lshlrev_b32_e32 v41, 24, v30
	s_delay_alu instid0(VALU_DEP_1) | instskip(NEXT) | instid1(VALU_DEP_1)
	v_and_b32_e32 v41, 0x80000000, v41
	v_lshl_add_u32 v119, v119, 23, v41
	s_delay_alu instid0(VALU_DEP_1) | instskip(NEXT) | instid1(VALU_DEP_1)
	v_lshl_or_b32 v119, v40, 21, v119
                                        ; implicit-def: $vgpr40
	v_add_nc_u32_e32 v119, 0x38000000, v119
.LBB2_248:                              ;   in Loop: Header=BB2_129 Depth=2
	s_and_not1_saveexec_b32 s45, s45
; %bb.249:                              ;   in Loop: Header=BB2_129 Depth=2
	v_bfe_i32 v119, v30, 0, 8
	s_delay_alu instid0(VALU_DEP_1) | instskip(SKIP_2) | instid1(VALU_DEP_2)
	v_cmp_lt_i16_e32 vcc_lo, -1, v119
	v_cndmask_b32_e32 v119, 0xff800000, v62, vcc_lo
	v_cmp_eq_u32_e32 vcc_lo, 0, v40
	v_cndmask_b32_e32 v119, 0x7f800001, v119, vcc_lo
; %bb.250:                              ;   in Loop: Header=BB2_129 Depth=2
	s_or_b32 exec_lo, exec_lo, s45
.LBB2_251:                              ;   in Loop: Header=BB2_129 Depth=2
	s_delay_alu instid0(SALU_CYCLE_1)
	s_or_b32 exec_lo, exec_lo, s15
.LBB2_252:                              ;   in Loop: Header=BB2_129 Depth=2
	s_delay_alu instid0(SALU_CYCLE_1) | instskip(SKIP_3) | instid1(VALU_DEP_1)
	s_or_b32 exec_lo, exec_lo, s14
	v_and_b32_e32 v41, 0xff, v113
	s_mov_b32 s14, 0
	s_mov_b32 s15, exec_lo
	v_cmpx_lt_i16_e32 0x7f, v41
	s_xor_b32 s15, exec_lo, s15
	s_cbranch_execz .LBB2_984
; %bb.253:                              ;   in Loop: Header=BB2_129 Depth=2
	s_mov_b32 s14, -1
	s_mov_b32 s45, exec_lo
	v_cmpx_eq_u16_e32 0x80, v41
; %bb.254:                              ;   in Loop: Header=BB2_129 Depth=2
	s_xor_b32 s14, exec_lo, -1
; %bb.255:                              ;   in Loop: Header=BB2_129 Depth=2
	s_or_b32 exec_lo, exec_lo, s45
	s_delay_alu instid0(SALU_CYCLE_1)
	s_and_b32 s14, s14, exec_lo
                                        ; implicit-def: $vgpr41
	s_or_saveexec_b32 s15, s15
	v_bfrev_b32_e32 v40, 1
	s_xor_b32 exec_lo, exec_lo, s15
	s_cbranch_execnz .LBB2_985
.LBB2_256:                              ;   in Loop: Header=BB2_129 Depth=2
	s_or_b32 exec_lo, exec_lo, s15
	s_and_saveexec_b32 s15, s14
.LBB2_257:                              ;   in Loop: Header=BB2_129 Depth=2
	v_dual_cndmask_b32 v40, v100, v103, s12 :: v_dual_cndmask_b32 v41, v38, v112, s12
	s_delay_alu instid0(VALU_DEP_1) | instskip(NEXT) | instid1(VALU_DEP_1)
	v_lshl_add_u32 v40, v40, 23, v101
	v_lshl_or_b32 v40, v41, 21, v40
	s_delay_alu instid0(VALU_DEP_1)
	v_cndmask_b32_e64 v40, v40, v102, s11
.LBB2_258:                              ;   in Loop: Header=BB2_129 Depth=2
	s_or_b32 exec_lo, exec_lo, s15
	s_delay_alu instid0(VALU_DEP_1) | instskip(SKIP_1) | instid1(VALU_DEP_1)
	v_dual_max_num_f32 v40, v40, v40 :: v_dual_max_num_f32 v119, v119, v119
	s_mov_b32 s14, 0
	v_max_num_f32_e32 v119, v119, v40
.LBB2_259:                              ;   in Loop: Header=BB2_129 Depth=2
	s_and_b32 vcc_lo, exec_lo, s14
	s_cbranch_vccz .LBB2_277
; %bb.260:                              ;   in Loop: Header=BB2_129 Depth=2
	v_mov_b32_e32 v119, 0
	s_and_saveexec_b32 s14, s13
	s_cbranch_execz .LBB2_270
; %bb.261:                              ;   in Loop: Header=BB2_129 Depth=2
	v_bfrev_b32_e32 v119, 1
	s_mov_b32 s13, exec_lo
	v_cmpx_ne_u16_e32 0x80, v118
	s_cbranch_execz .LBB2_269
; %bb.262:                              ;   in Loop: Header=BB2_129 Depth=2
	v_and_b32_e32 v119, 0x7c0000, v10
	v_bfe_u32 v118, v10, 16, 2
	s_delay_alu instid0(VALU_DEP_2) | instskip(SKIP_1) | instid1(SALU_CYCLE_1)
	v_cmp_ne_u32_e32 vcc_lo, 0x7c0000, v119
                                        ; implicit-def: $vgpr119
	s_and_saveexec_b32 s15, vcc_lo
	s_xor_b32 s15, exec_lo, s15
	s_cbranch_execz .LBB2_266
; %bb.263:                              ;   in Loop: Header=BB2_129 Depth=2
	v_bfe_u32 v119, v10, 18, 5
	s_mov_b32 s45, exec_lo
	s_delay_alu instid0(VALU_DEP_1)
	v_cmpx_eq_u32_e32 0, v119
; %bb.264:                              ;   in Loop: Header=BB2_129 Depth=2
	v_clz_i32_u32_e32 v118, v118
	s_delay_alu instid0(VALU_DEP_1) | instskip(NEXT) | instid1(VALU_DEP_1)
	v_min_u32_e32 v40, 32, v118
	v_subrev_nc_u32_e32 v118, 29, v40
	s_delay_alu instid0(VALU_DEP_1) | instskip(NEXT) | instid1(VALU_DEP_1)
	v_lshlrev_b64_e32 v[118:119], v118, v[30:31]
	v_dual_sub_nc_u32 v119, 30, v40 :: v_dual_bitop2_b32 v118, 3, v118 bitop3:0x40
; %bb.265:                              ;   in Loop: Header=BB2_129 Depth=2
	s_or_b32 exec_lo, exec_lo, s45
	v_lshlrev_b32_e32 v30, 24, v30
	s_delay_alu instid0(VALU_DEP_1) | instskip(NEXT) | instid1(VALU_DEP_1)
	v_and_b32_e32 v30, 0x80000000, v30
	v_lshl_add_u32 v30, v119, 23, v30
	s_delay_alu instid0(VALU_DEP_1) | instskip(NEXT) | instid1(VALU_DEP_1)
	v_lshl_or_b32 v30, v118, 21, v30
                                        ; implicit-def: $vgpr118
	v_add_nc_u32_e32 v119, 0x38000000, v30
                                        ; implicit-def: $vgpr30
.LBB2_266:                              ;   in Loop: Header=BB2_129 Depth=2
	s_and_not1_saveexec_b32 s15, s15
; %bb.267:                              ;   in Loop: Header=BB2_129 Depth=2
	v_bfe_i32 v30, v30, 0, 8
	s_delay_alu instid0(VALU_DEP_1) | instskip(SKIP_2) | instid1(VALU_DEP_2)
	v_cmp_lt_i16_e32 vcc_lo, -1, v30
	v_cndmask_b32_e32 v30, 0xff800000, v62, vcc_lo
	v_cmp_eq_u32_e32 vcc_lo, 0, v118
	v_cndmask_b32_e32 v119, 0x7f800001, v30, vcc_lo
; %bb.268:                              ;   in Loop: Header=BB2_129 Depth=2
	s_or_b32 exec_lo, exec_lo, s15
.LBB2_269:                              ;   in Loop: Header=BB2_129 Depth=2
	s_delay_alu instid0(SALU_CYCLE_1)
	s_or_b32 exec_lo, exec_lo, s13
.LBB2_270:                              ;   in Loop: Header=BB2_129 Depth=2
	s_delay_alu instid0(SALU_CYCLE_1) | instskip(SKIP_3) | instid1(VALU_DEP_1)
	s_or_b32 exec_lo, exec_lo, s14
	v_and_b32_e32 v113, 0xff, v113
	s_mov_b32 s13, 0
	s_mov_b32 s14, exec_lo
	v_cmpx_lt_i16_e32 0x7f, v113
	s_xor_b32 s14, exec_lo, s14
	s_cbranch_execz .LBB2_986
; %bb.271:                              ;   in Loop: Header=BB2_129 Depth=2
	s_mov_b32 s13, -1
	s_mov_b32 s15, exec_lo
	v_cmpx_eq_u16_e32 0x80, v113
; %bb.272:                              ;   in Loop: Header=BB2_129 Depth=2
	s_xor_b32 s13, exec_lo, -1
; %bb.273:                              ;   in Loop: Header=BB2_129 Depth=2
	s_or_b32 exec_lo, exec_lo, s15
	s_delay_alu instid0(SALU_CYCLE_1)
	s_and_b32 s13, s13, exec_lo
                                        ; implicit-def: $vgpr113
	s_or_saveexec_b32 s14, s14
	v_bfrev_b32_e32 v30, 1
	s_xor_b32 exec_lo, exec_lo, s14
	s_cbranch_execnz .LBB2_987
.LBB2_274:                              ;   in Loop: Header=BB2_129 Depth=2
	s_or_b32 exec_lo, exec_lo, s14
	s_and_saveexec_b32 s14, s13
.LBB2_275:                              ;   in Loop: Header=BB2_129 Depth=2
	v_dual_cndmask_b32 v30, v100, v103, s12 :: v_dual_cndmask_b32 v38, v38, v112, s12
	s_delay_alu instid0(VALU_DEP_1) | instskip(NEXT) | instid1(VALU_DEP_1)
	v_lshl_add_u32 v30, v30, 23, v101
	v_lshl_or_b32 v30, v38, 21, v30
	s_delay_alu instid0(VALU_DEP_1)
	v_cndmask_b32_e64 v30, v30, v102, s11
.LBB2_276:                              ;   in Loop: Header=BB2_129 Depth=2
	s_or_b32 exec_lo, exec_lo, s14
	s_delay_alu instid0(VALU_DEP_1) | instskip(NEXT) | instid1(VALU_DEP_1)
	v_dual_max_num_f32 v30, v30, v30 :: v_dual_max_num_f32 v38, v119, v119
	v_min_num_f32_e32 v119, v38, v30
.LBB2_277:                              ;   in Loop: Header=BB2_129 Depth=2
	s_delay_alu instid0(VALU_DEP_1) | instskip(SKIP_3) | instid1(VALU_DEP_2)
	v_and_b32_e32 v100, 0x7f800000, v119
	v_dual_mov_b32 v101, v39 :: v_dual_lshrrev_b32 v30, 24, v119
	v_and_b32_e32 v38, 0x7fffff, v119
                                        ; implicit-def: $vgpr118
	s_mov_b32 s11, exec_lo
	v_cmpx_ne_u64_e32 0x7f800000, v[100:101]
	s_xor_b32 s12, exec_lo, s11
	s_cbranch_execz .LBB2_291
; %bb.278:                              ;   in Loop: Header=BB2_129 Depth=2
	v_and_b32_e32 v100, 0x7fffffff, v119
	v_mov_b32_e32 v101, v39
	v_and_b32_e32 v30, 0x80, v30
                                        ; implicit-def: $vgpr118
	s_mov_b32 s11, exec_lo
	s_delay_alu instid0(VALU_DEP_2)
	v_cmpx_gt_u64_e32 0x47600001, v[100:101]
	s_xor_b32 s13, exec_lo, s11
	s_cbranch_execz .LBB2_288
; %bb.279:                              ;   in Loop: Header=BB2_129 Depth=2
	v_mov_b32_e32 v118, 0
	s_mov_b32 s14, exec_lo
	v_cmpx_ne_u32_e32 0, v119
	s_cbranch_execz .LBB2_287
; %bb.280:                              ;   in Loop: Header=BB2_129 Depth=2
	v_bfe_u32 v112, v119, 23, 8
	v_or_b32_e32 v102, 0x800000, v38
	s_delay_alu instid0(VALU_DEP_2) | instskip(SKIP_1) | instid1(VALU_DEP_2)
	v_sub_nc_u32_e32 v100, 0x71, v112
	v_cmp_gt_u32_e32 vcc_lo, 0x72, v112
	v_cndmask_b32_e32 v100, 0, v100, vcc_lo
	v_cmp_eq_u32_e32 vcc_lo, 0, v112
	s_delay_alu instid0(VALU_DEP_2) | instskip(NEXT) | instid1(VALU_DEP_1)
	v_cndmask_b32_e64 v113, v100, 0x70, vcc_lo
	v_dual_cndmask_b32 v38, v102, v38, vcc_lo :: v_dual_add_nc_u32 v100, 21, v113
	v_add_nc_u32_e32 v103, 20, v113
	s_delay_alu instid0(VALU_DEP_2) | instskip(NEXT) | instid1(VALU_DEP_2)
	v_lshlrev_b64_e64 v[100:101], v100, -1
	v_lshlrev_b64_e64 v[102:103], v103, 1
	s_delay_alu instid0(VALU_DEP_2) | instskip(NEXT) | instid1(VALU_DEP_3)
	v_bfi_b32 v119, v101, 0, 0
	v_bfi_b32 v118, v100, 0, v38
	v_lshrrev_b64 v[100:101], v113, v[38:39]
	s_delay_alu instid0(VALU_DEP_2) | instskip(NEXT) | instid1(VALU_DEP_2)
	v_cmp_eq_u64_e64 s11, v[118:119], v[102:103]
	v_mov_b64_e32 v[102:103], v[100:101]
	s_and_saveexec_b32 s15, s11
; %bb.281:                              ;   in Loop: Header=BB2_129 Depth=2
	v_bfe_u32 v38, v100, 21, 1
	s_delay_alu instid0(VALU_DEP_1) | instskip(NEXT) | instid1(VALU_DEP_1)
	v_add_nc_u64_e32 v[102:103], v[100:101], v[38:39]
	v_add_nc_u64_e32 v[102:103], -1, v[102:103]
; %bb.282:                              ;   in Loop: Header=BB2_129 Depth=2
	s_or_b32 exec_lo, exec_lo, s15
	v_add_nc_u32_e32 v38, 0xffffff81, v112
	v_lshrrev_b32_e32 v101, 23, v100
	s_mov_b32 s11, exec_lo
	s_delay_alu instid0(VALU_DEP_2) | instskip(NEXT) | instid1(VALU_DEP_1)
	v_cndmask_b32_e64 v38, v38, 0xffffff82, vcc_lo
	v_add3_u32 v103, v113, v38, v101
	v_and_b32_e32 v38, 0x1fffff, v102
                                        ; implicit-def: $vgpr102
	s_delay_alu instid0(VALU_DEP_1) | instskip(NEXT) | instid1(VALU_DEP_1)
	v_dual_add_nc_u32 v112, 14, v103 :: v_dual_add_nc_u32 v38, v38, v100
                                        ; implicit-def: $vgpr100_vgpr101
	v_cmpx_ne_u32_e32 0, v112
	s_xor_b32 s11, exec_lo, s11
; %bb.283:                              ;   in Loop: Header=BB2_129 Depth=2
	s_delay_alu instid0(VALU_DEP_2) | instskip(SKIP_1) | instid1(VALU_DEP_1)
	v_cmp_lt_u64_e32 vcc_lo, 0xffffff, v[38:39]
	v_add_nc_u32_e32 v100, 15, v103
	v_cndmask_b32_e32 v102, v112, v100, vcc_lo
	v_cndmask_b32_e64 v100, 0, 1, vcc_lo
	s_delay_alu instid0(VALU_DEP_1)
	v_lshrrev_b64 v[100:101], v100, v[38:39]
; %bb.284:                              ;   in Loop: Header=BB2_129 Depth=2
	s_and_not1_saveexec_b32 s11, s11
; %bb.285:                              ;   in Loop: Header=BB2_129 Depth=2
	v_mov_b64_e32 v[100:101], v[38:39]
	v_bfe_u32 v102, v38, 23, 1
; %bb.286:                              ;   in Loop: Header=BB2_129 Depth=2
	s_or_b32 exec_lo, exec_lo, s11
	s_delay_alu instid0(VALU_DEP_2) | instskip(NEXT) | instid1(VALU_DEP_2)
	v_lshrrev_b64 v[100:101], 21, v[100:101]
	v_cmp_gt_i32_e32 vcc_lo, 32, v102
	v_min_i32_e32 v38, 31, v102
	v_cmp_eq_u32_e64 s11, 0, v102
	s_delay_alu instid0(VALU_DEP_2) | instskip(SKIP_1) | instid1(VALU_DEP_2)
	v_dual_cndmask_b32 v101, 0, v101 :: v_dual_lshlrev_b32 v38, 2, v38
	v_cndmask_b32_e32 v100, 3, v100, vcc_lo
	v_and_b32_e32 v38, 0xfc, v38
	s_delay_alu instid0(VALU_DEP_2) | instskip(NEXT) | instid1(VALU_DEP_2)
	v_cmp_eq_u64_e32 vcc_lo, 0, v[100:101]
	v_and_or_b32 v38, v100, 3, v38
	s_and_b32 s11, s11, vcc_lo
	s_delay_alu instid0(VALU_DEP_1) | instid1(SALU_CYCLE_1)
	v_cndmask_b32_e64 v38, v38, 0, s11
	s_delay_alu instid0(VALU_DEP_1)
	v_or_b32_e32 v118, v38, v30
.LBB2_287:                              ;   in Loop: Header=BB2_129 Depth=2
	s_or_b32 exec_lo, exec_lo, s14
                                        ; implicit-def: $vgpr30
.LBB2_288:                              ;   in Loop: Header=BB2_129 Depth=2
	s_and_not1_saveexec_b32 s11, s13
; %bb.289:                              ;   in Loop: Header=BB2_129 Depth=2
	v_or_b32_e32 v118, 0x7b, v30
; %bb.290:                              ;   in Loop: Header=BB2_129 Depth=2
	s_or_b32 exec_lo, exec_lo, s11
                                        ; implicit-def: $vgpr119
                                        ; implicit-def: $vgpr30
.LBB2_291:                              ;   in Loop: Header=BB2_129 Depth=2
	s_and_not1_saveexec_b32 s11, s12
	s_cbranch_execz .LBB2_297
; %bb.292:                              ;   in Loop: Header=BB2_129 Depth=2
	s_mov_b32 s12, exec_lo
                                        ; implicit-def: $vgpr118
	v_cmpx_ne_u64_e32 0, v[38:39]
	s_xor_b32 s12, exec_lo, s12
; %bb.293:                              ;   in Loop: Header=BB2_129 Depth=2
	v_or_b32_e32 v118, 0x7f, v30
                                        ; implicit-def: $vgpr119
; %bb.294:                              ;   in Loop: Header=BB2_129 Depth=2
	s_and_not1_saveexec_b32 s12, s12
; %bb.295:                              ;   in Loop: Header=BB2_129 Depth=2
	v_cmp_lt_i32_e32 vcc_lo, -1, v119
	v_cndmask_b32_e32 v118, 0xfc, v63, vcc_lo
; %bb.296:                              ;   in Loop: Header=BB2_129 Depth=2
	s_or_b32 exec_lo, exec_lo, s12
.LBB2_297:                              ;   in Loop: Header=BB2_129 Depth=2
	s_delay_alu instid0(SALU_CYCLE_1)
	s_or_b32 exec_lo, exec_lo, s11
	v_bfe_u32 v38, v14, 24, 2
	v_lshrrev_b32_e32 v102, 24, v14
	v_cmp_lt_i32_e32 vcc_lo, -1, v14
	v_and_b32_e32 v119, 0x7c000000, v14
	v_cmp_gt_u32_e64 s11, 0x1000000, v14
	v_clz_i32_u32_e32 v100, v38
	v_and_or_b32 v101, v14, s28, 0x38000000
	v_cndmask_b32_e32 v40, 0xff800000, v62, vcc_lo
	v_cmp_eq_u32_e32 vcc_lo, 0, v38
	v_cmp_lt_u32_e64 s15, 0xffffff, v10
	v_min_u32_e32 v103, 32, v100
	v_bfe_u32 v100, v14, 26, 5
	v_lshrrev_b32_e32 v30, 24, v10
	v_cmp_eq_u32_e64 s13, 0x7c000000, v119
	s_mov_b32 s45, -1
	v_subrev_nc_u32_e32 v112, 29, v103
	v_cmp_eq_u32_e64 s14, 0, v100
	s_delay_alu instid0(VALU_DEP_2) | instskip(SKIP_1) | instid1(VALU_DEP_2)
	v_lshlrev_b64_e32 v[112:113], v112, v[102:103]
	v_sub_nc_u32_e32 v103, 30, v103
                                        ; implicit-def: $vgpr113
	v_and_b32_e32 v112, 3, v112
	v_cmp_eq_u32_e64 s12, 0x80, v102
	v_cndmask_b32_e32 v102, 0x7f800001, v40, vcc_lo
	s_and_b32 vcc_lo, exec_lo, s44
	s_cbranch_vccz .LBB2_309
; %bb.298:                              ;   in Loop: Header=BB2_129 Depth=2
	v_mov_b32_e32 v113, 0
	s_and_saveexec_b32 s45, s15
	s_cbranch_execz .LBB2_308
; %bb.299:                              ;   in Loop: Header=BB2_129 Depth=2
	v_bfrev_b32_e32 v113, 1
	s_mov_b32 s46, exec_lo
	v_cmpx_ne_u32_e32 0x80, v30
	s_cbranch_execz .LBB2_307
; %bb.300:                              ;   in Loop: Header=BB2_129 Depth=2
	v_and_b32_e32 v113, 0x7c000000, v10
	v_bfe_u32 v119, v10, 24, 2
	s_delay_alu instid0(VALU_DEP_2) | instskip(SKIP_1) | instid1(SALU_CYCLE_1)
	v_cmp_ne_u32_e32 vcc_lo, 0x7c000000, v113
                                        ; implicit-def: $vgpr113
	s_and_saveexec_b32 s47, vcc_lo
	s_xor_b32 s47, exec_lo, s47
	s_cbranch_execz .LBB2_304
; %bb.301:                              ;   in Loop: Header=BB2_129 Depth=2
	v_bfe_u32 v113, v10, 26, 5
	s_mov_b32 s56, exec_lo
	s_delay_alu instid0(VALU_DEP_1)
	v_cmpx_eq_u32_e32 0, v113
; %bb.302:                              ;   in Loop: Header=BB2_129 Depth=2
	v_clz_i32_u32_e32 v113, v119
	s_delay_alu instid0(VALU_DEP_1) | instskip(NEXT) | instid1(VALU_DEP_1)
	v_min_u32_e32 v113, 32, v113
	v_subrev_nc_u32_e32 v119, 29, v113
	s_delay_alu instid0(VALU_DEP_1) | instskip(NEXT) | instid1(VALU_DEP_1)
	v_lshlrev_b64_e32 v[40:41], v119, v[30:31]
	v_dual_sub_nc_u32 v113, 30, v113 :: v_dual_bitop2_b32 v119, 3, v40 bitop3:0x40
; %bb.303:                              ;   in Loop: Header=BB2_129 Depth=2
	s_or_b32 exec_lo, exec_lo, s56
	v_and_b32_e32 v40, 0x80000000, v10
	s_delay_alu instid0(VALU_DEP_1) | instskip(NEXT) | instid1(VALU_DEP_1)
	v_lshl_add_u32 v113, v113, 23, v40
	v_lshl_or_b32 v113, v119, 21, v113
                                        ; implicit-def: $vgpr119
	s_delay_alu instid0(VALU_DEP_1)
	v_add_nc_u32_e32 v113, 0x38000000, v113
.LBB2_304:                              ;   in Loop: Header=BB2_129 Depth=2
	s_and_not1_saveexec_b32 s47, s47
; %bb.305:                              ;   in Loop: Header=BB2_129 Depth=2
	v_cmp_lt_i32_e32 vcc_lo, -1, v10
	v_cndmask_b32_e32 v113, 0xff800000, v62, vcc_lo
	v_cmp_eq_u32_e32 vcc_lo, 0, v119
	s_delay_alu instid0(VALU_DEP_2)
	v_cndmask_b32_e32 v113, 0x7f800001, v113, vcc_lo
; %bb.306:                              ;   in Loop: Header=BB2_129 Depth=2
	s_or_b32 exec_lo, exec_lo, s47
.LBB2_307:                              ;   in Loop: Header=BB2_129 Depth=2
	s_delay_alu instid0(SALU_CYCLE_1)
	s_or_b32 exec_lo, exec_lo, s46
.LBB2_308:                              ;   in Loop: Header=BB2_129 Depth=2
	s_delay_alu instid0(SALU_CYCLE_1) | instskip(SKIP_3) | instid1(VALU_DEP_2)
	s_or_b32 exec_lo, exec_lo, s45
	v_dual_cndmask_b32 v119, v100, v103, s14 :: v_dual_cndmask_b32 v40, v38, v112, s14
	s_mov_b32 s45, 0
	v_max_num_f32_e32 v113, v113, v113
	v_lshl_add_u32 v119, v119, 23, v101
	s_delay_alu instid0(VALU_DEP_1) | instskip(NEXT) | instid1(VALU_DEP_1)
	v_lshl_or_b32 v119, v40, 21, v119
	v_cndmask_b32_e64 v119, v119, v102, s13
	s_delay_alu instid0(VALU_DEP_1) | instskip(NEXT) | instid1(VALU_DEP_1)
	v_cndmask_b32_e64 v119, v119, 0x80000000, s12
	v_cndmask_b32_e64 v119, v119, 0, s11
	s_delay_alu instid0(VALU_DEP_1) | instskip(NEXT) | instid1(VALU_DEP_1)
	v_max_num_f32_e32 v119, v119, v119
	v_max_num_f32_e32 v113, v113, v119
.LBB2_309:                              ;   in Loop: Header=BB2_129 Depth=2
	s_and_b32 vcc_lo, exec_lo, s45
	s_cbranch_vccz .LBB2_321
; %bb.310:                              ;   in Loop: Header=BB2_129 Depth=2
	v_mov_b32_e32 v113, 0
	s_and_saveexec_b32 s45, s15
	s_cbranch_execz .LBB2_320
; %bb.311:                              ;   in Loop: Header=BB2_129 Depth=2
	v_bfrev_b32_e32 v113, 1
	s_mov_b32 s15, exec_lo
	v_cmpx_ne_u32_e32 0x80, v30
	s_cbranch_execz .LBB2_319
; %bb.312:                              ;   in Loop: Header=BB2_129 Depth=2
	v_and_b32_e32 v113, 0x7c000000, v10
	v_bfe_u32 v119, v10, 24, 2
	s_delay_alu instid0(VALU_DEP_2) | instskip(SKIP_1) | instid1(SALU_CYCLE_1)
	v_cmp_ne_u32_e32 vcc_lo, 0x7c000000, v113
                                        ; implicit-def: $vgpr113
	s_and_saveexec_b32 s46, vcc_lo
	s_xor_b32 s46, exec_lo, s46
	s_cbranch_execz .LBB2_316
; %bb.313:                              ;   in Loop: Header=BB2_129 Depth=2
	v_bfe_u32 v113, v10, 26, 5
	s_mov_b32 s47, exec_lo
	s_delay_alu instid0(VALU_DEP_1)
	v_cmpx_eq_u32_e32 0, v113
; %bb.314:                              ;   in Loop: Header=BB2_129 Depth=2
	v_clz_i32_u32_e32 v113, v119
	s_delay_alu instid0(VALU_DEP_1) | instskip(NEXT) | instid1(VALU_DEP_1)
	v_min_u32_e32 v113, 32, v113
	v_subrev_nc_u32_e32 v119, 29, v113
	s_delay_alu instid0(VALU_DEP_1) | instskip(NEXT) | instid1(VALU_DEP_1)
	v_lshlrev_b64_e32 v[40:41], v119, v[30:31]
	v_dual_sub_nc_u32 v113, 30, v113 :: v_dual_bitop2_b32 v119, 3, v40 bitop3:0x40
; %bb.315:                              ;   in Loop: Header=BB2_129 Depth=2
	s_or_b32 exec_lo, exec_lo, s47
	v_and_b32_e32 v30, 0x80000000, v10
	s_delay_alu instid0(VALU_DEP_1) | instskip(NEXT) | instid1(VALU_DEP_1)
	v_lshl_add_u32 v30, v113, 23, v30
	v_lshl_or_b32 v30, v119, 21, v30
                                        ; implicit-def: $vgpr119
	s_delay_alu instid0(VALU_DEP_1)
	v_add_nc_u32_e32 v113, 0x38000000, v30
.LBB2_316:                              ;   in Loop: Header=BB2_129 Depth=2
	s_and_not1_saveexec_b32 s46, s46
; %bb.317:                              ;   in Loop: Header=BB2_129 Depth=2
	v_cmp_lt_i32_e32 vcc_lo, -1, v10
	v_cndmask_b32_e32 v30, 0xff800000, v62, vcc_lo
	v_cmp_eq_u32_e32 vcc_lo, 0, v119
	s_delay_alu instid0(VALU_DEP_2)
	v_cndmask_b32_e32 v113, 0x7f800001, v30, vcc_lo
; %bb.318:                              ;   in Loop: Header=BB2_129 Depth=2
	s_or_b32 exec_lo, exec_lo, s46
.LBB2_319:                              ;   in Loop: Header=BB2_129 Depth=2
	s_delay_alu instid0(SALU_CYCLE_1)
	s_or_b32 exec_lo, exec_lo, s15
.LBB2_320:                              ;   in Loop: Header=BB2_129 Depth=2
	s_delay_alu instid0(SALU_CYCLE_1) | instskip(SKIP_1) | instid1(VALU_DEP_1)
	s_or_b32 exec_lo, exec_lo, s45
	v_dual_cndmask_b32 v30, v100, v103, s14 :: v_dual_cndmask_b32 v38, v38, v112, s14
	v_lshl_add_u32 v30, v30, 23, v101
	s_delay_alu instid0(VALU_DEP_1) | instskip(NEXT) | instid1(VALU_DEP_1)
	v_lshl_or_b32 v30, v38, 21, v30
	v_dual_max_num_f32 v38, v113, v113 :: v_dual_cndmask_b32 v30, v30, v102, s13
	s_delay_alu instid0(VALU_DEP_1) | instskip(NEXT) | instid1(VALU_DEP_1)
	v_cndmask_b32_e64 v30, v30, 0x80000000, s12
	v_cndmask_b32_e64 v30, v30, 0, s11
	s_delay_alu instid0(VALU_DEP_1) | instskip(NEXT) | instid1(VALU_DEP_1)
	v_max_num_f32_e32 v30, v30, v30
	v_min_num_f32_e32 v113, v38, v30
.LBB2_321:                              ;   in Loop: Header=BB2_129 Depth=2
	s_delay_alu instid0(VALU_DEP_1) | instskip(SKIP_3) | instid1(VALU_DEP_2)
	v_and_b32_e32 v100, 0x7f800000, v113
	v_dual_mov_b32 v101, v39 :: v_dual_lshrrev_b32 v30, 24, v113
	v_and_b32_e32 v38, 0x7fffff, v113
                                        ; implicit-def: $vgpr119
	s_mov_b32 s11, exec_lo
	v_cmpx_ne_u64_e32 0x7f800000, v[100:101]
	s_xor_b32 s12, exec_lo, s11
	s_cbranch_execz .LBB2_335
; %bb.322:                              ;   in Loop: Header=BB2_129 Depth=2
	v_and_b32_e32 v100, 0x7fffffff, v113
	v_mov_b32_e32 v101, v39
	v_and_b32_e32 v30, 0x80, v30
                                        ; implicit-def: $vgpr119
	s_mov_b32 s11, exec_lo
	s_delay_alu instid0(VALU_DEP_2)
	v_cmpx_gt_u64_e32 0x47600001, v[100:101]
	s_xor_b32 s13, exec_lo, s11
	s_cbranch_execz .LBB2_332
; %bb.323:                              ;   in Loop: Header=BB2_129 Depth=2
	v_mov_b32_e32 v119, 0
	s_mov_b32 s14, exec_lo
	v_cmpx_ne_u32_e32 0, v113
	s_cbranch_execz .LBB2_331
; %bb.324:                              ;   in Loop: Header=BB2_129 Depth=2
	v_bfe_u32 v112, v113, 23, 8
	v_or_b32_e32 v102, 0x800000, v38
	s_delay_alu instid0(VALU_DEP_2) | instskip(SKIP_1) | instid1(VALU_DEP_2)
	v_sub_nc_u32_e32 v100, 0x71, v112
	v_cmp_gt_u32_e32 vcc_lo, 0x72, v112
	v_cndmask_b32_e32 v100, 0, v100, vcc_lo
	v_cmp_eq_u32_e32 vcc_lo, 0, v112
	s_delay_alu instid0(VALU_DEP_2) | instskip(NEXT) | instid1(VALU_DEP_1)
	v_cndmask_b32_e64 v113, v100, 0x70, vcc_lo
	v_dual_cndmask_b32 v38, v102, v38, vcc_lo :: v_dual_add_nc_u32 v100, 21, v113
	v_add_nc_u32_e32 v103, 20, v113
	s_delay_alu instid0(VALU_DEP_2) | instskip(NEXT) | instid1(VALU_DEP_2)
	v_lshlrev_b64_e64 v[100:101], v100, -1
	v_lshlrev_b64_e64 v[102:103], v103, 1
	s_delay_alu instid0(VALU_DEP_2) | instskip(NEXT) | instid1(VALU_DEP_3)
	v_bfi_b32 v41, v101, 0, 0
	v_bfi_b32 v40, v100, 0, v38
	v_lshrrev_b64 v[100:101], v113, v[38:39]
	s_delay_alu instid0(VALU_DEP_2) | instskip(NEXT) | instid1(VALU_DEP_2)
	v_cmp_eq_u64_e64 s11, v[40:41], v[102:103]
	v_mov_b64_e32 v[102:103], v[100:101]
	s_and_saveexec_b32 s15, s11
; %bb.325:                              ;   in Loop: Header=BB2_129 Depth=2
	v_bfe_u32 v38, v100, 21, 1
	s_delay_alu instid0(VALU_DEP_1) | instskip(NEXT) | instid1(VALU_DEP_1)
	v_add_nc_u64_e32 v[102:103], v[100:101], v[38:39]
	v_add_nc_u64_e32 v[102:103], -1, v[102:103]
; %bb.326:                              ;   in Loop: Header=BB2_129 Depth=2
	s_or_b32 exec_lo, exec_lo, s15
	v_add_nc_u32_e32 v38, 0xffffff81, v112
	v_lshrrev_b32_e32 v101, 23, v100
	s_mov_b32 s11, exec_lo
	s_delay_alu instid0(VALU_DEP_2) | instskip(NEXT) | instid1(VALU_DEP_1)
	v_cndmask_b32_e64 v38, v38, 0xffffff82, vcc_lo
	v_add3_u32 v103, v113, v38, v101
	v_and_b32_e32 v38, 0x1fffff, v102
                                        ; implicit-def: $vgpr102
	s_delay_alu instid0(VALU_DEP_1) | instskip(NEXT) | instid1(VALU_DEP_1)
	v_dual_add_nc_u32 v112, 14, v103 :: v_dual_add_nc_u32 v38, v38, v100
                                        ; implicit-def: $vgpr100_vgpr101
	v_cmpx_ne_u32_e32 0, v112
	s_xor_b32 s11, exec_lo, s11
; %bb.327:                              ;   in Loop: Header=BB2_129 Depth=2
	s_delay_alu instid0(VALU_DEP_2) | instskip(SKIP_1) | instid1(VALU_DEP_1)
	v_cmp_lt_u64_e32 vcc_lo, 0xffffff, v[38:39]
	v_add_nc_u32_e32 v100, 15, v103
	v_cndmask_b32_e32 v102, v112, v100, vcc_lo
	v_cndmask_b32_e64 v100, 0, 1, vcc_lo
	s_delay_alu instid0(VALU_DEP_1)
	v_lshrrev_b64 v[100:101], v100, v[38:39]
; %bb.328:                              ;   in Loop: Header=BB2_129 Depth=2
	s_and_not1_saveexec_b32 s11, s11
; %bb.329:                              ;   in Loop: Header=BB2_129 Depth=2
	v_mov_b64_e32 v[100:101], v[38:39]
	v_bfe_u32 v102, v38, 23, 1
; %bb.330:                              ;   in Loop: Header=BB2_129 Depth=2
	s_or_b32 exec_lo, exec_lo, s11
	s_delay_alu instid0(VALU_DEP_2) | instskip(NEXT) | instid1(VALU_DEP_2)
	v_lshrrev_b64 v[100:101], 21, v[100:101]
	v_cmp_gt_i32_e32 vcc_lo, 32, v102
	v_min_i32_e32 v38, 31, v102
	v_cmp_eq_u32_e64 s11, 0, v102
	s_delay_alu instid0(VALU_DEP_2) | instskip(SKIP_1) | instid1(VALU_DEP_2)
	v_dual_cndmask_b32 v101, 0, v101 :: v_dual_lshlrev_b32 v38, 2, v38
	v_cndmask_b32_e32 v100, 3, v100, vcc_lo
	v_and_b32_e32 v38, 0xfc, v38
	s_delay_alu instid0(VALU_DEP_2) | instskip(NEXT) | instid1(VALU_DEP_2)
	v_cmp_eq_u64_e32 vcc_lo, 0, v[100:101]
	v_and_or_b32 v38, v100, 3, v38
	s_and_b32 s11, s11, vcc_lo
	s_delay_alu instid0(VALU_DEP_1) | instid1(SALU_CYCLE_1)
	v_cndmask_b32_e64 v38, v38, 0, s11
	s_delay_alu instid0(VALU_DEP_1)
	v_or_b32_e32 v119, v38, v30
.LBB2_331:                              ;   in Loop: Header=BB2_129 Depth=2
	s_or_b32 exec_lo, exec_lo, s14
                                        ; implicit-def: $vgpr30
.LBB2_332:                              ;   in Loop: Header=BB2_129 Depth=2
	s_and_not1_saveexec_b32 s11, s13
; %bb.333:                              ;   in Loop: Header=BB2_129 Depth=2
	v_or_b32_e32 v119, 0x7b, v30
; %bb.334:                              ;   in Loop: Header=BB2_129 Depth=2
	s_or_b32 exec_lo, exec_lo, s11
                                        ; implicit-def: $vgpr113
                                        ; implicit-def: $vgpr30
.LBB2_335:                              ;   in Loop: Header=BB2_129 Depth=2
	s_and_not1_saveexec_b32 s11, s12
	s_cbranch_execz .LBB2_341
; %bb.336:                              ;   in Loop: Header=BB2_129 Depth=2
	s_mov_b32 s12, exec_lo
                                        ; implicit-def: $vgpr119
	v_cmpx_ne_u64_e32 0, v[38:39]
	s_xor_b32 s12, exec_lo, s12
; %bb.337:                              ;   in Loop: Header=BB2_129 Depth=2
	v_or_b32_e32 v119, 0x7f, v30
                                        ; implicit-def: $vgpr113
; %bb.338:                              ;   in Loop: Header=BB2_129 Depth=2
	s_and_not1_saveexec_b32 s12, s12
; %bb.339:                              ;   in Loop: Header=BB2_129 Depth=2
	v_cmp_lt_i32_e32 vcc_lo, -1, v113
	v_cndmask_b32_e32 v119, 0xfc, v63, vcc_lo
; %bb.340:                              ;   in Loop: Header=BB2_129 Depth=2
	s_or_b32 exec_lo, exec_lo, s12
.LBB2_341:                              ;   in Loop: Header=BB2_129 Depth=2
	s_delay_alu instid0(SALU_CYCLE_1) | instskip(SKIP_4) | instid1(VALU_DEP_4)
	s_or_b32 exec_lo, exec_lo, s11
	v_dual_mov_b32 v38, v15 :: v_dual_bitop2_b32 v30, 3, v15 bitop3:0x40
	v_bfe_i32 v41, v15, 0, 8
	v_bfe_u32 v102, v15, 2, 5
	v_and_b32_e32 v103, 0x7c, v15
	v_clz_i32_u32_e32 v100, v30
	v_lshlrev_b32_e32 v112, 24, v15
	v_cmp_lt_i16_e32 vcc_lo, -1, v41
	v_and_b32_e32 v42, 0xff, v11
	v_cmp_eq_u32_e64 s11, 0x7c, v103
	v_min_u32_e32 v113, 32, v100
	v_dual_mov_b32 v100, v11 :: v_dual_cndmask_b32 v43, 0xff800000, v62
	v_cmp_eq_u32_e32 vcc_lo, 0, v30
	v_mov_b32_e32 v101, v39
	s_delay_alu instid0(VALU_DEP_4)
	v_subrev_nc_u32_e32 v40, 29, v113
	v_cmp_eq_u32_e64 s12, 0, v102
	v_and_or_b32 v103, v112, s28, 0x38000000
	v_cmp_ne_u16_e64 s13, 0, v42
	v_cndmask_b32_e32 v112, 0x7f800001, v43, vcc_lo
	v_lshlrev_b64_e32 v[44:45], v40, v[38:39]
	v_sub_nc_u32_e32 v113, 30, v113
	s_and_b32 vcc_lo, exec_lo, s44
	s_mov_b32 s14, -1
                                        ; implicit-def: $vgpr43
	s_delay_alu instid0(VALU_DEP_2)
	v_and_b32_e32 v40, 3, v44
	s_cbranch_vccz .LBB2_359
; %bb.342:                              ;   in Loop: Header=BB2_129 Depth=2
	v_mov_b32_e32 v43, 0
	s_and_saveexec_b32 s14, s13
	s_cbranch_execz .LBB2_352
; %bb.343:                              ;   in Loop: Header=BB2_129 Depth=2
	v_bfrev_b32_e32 v43, 1
	s_mov_b32 s15, exec_lo
	v_cmpx_ne_u16_e32 0x80, v42
	s_cbranch_execz .LBB2_351
; %bb.344:                              ;   in Loop: Header=BB2_129 Depth=2
	v_and_b32_e32 v43, 0x7c, v11
	v_and_b32_e32 v44, 3, v11
	s_delay_alu instid0(VALU_DEP_2) | instskip(SKIP_1) | instid1(SALU_CYCLE_1)
	v_cmp_ne_u32_e32 vcc_lo, 0x7c, v43
                                        ; implicit-def: $vgpr43
	s_and_saveexec_b32 s45, vcc_lo
	s_xor_b32 s45, exec_lo, s45
	s_cbranch_execz .LBB2_348
; %bb.345:                              ;   in Loop: Header=BB2_129 Depth=2
	v_bfe_u32 v43, v11, 2, 5
	s_mov_b32 s46, exec_lo
	s_delay_alu instid0(VALU_DEP_1)
	v_cmpx_eq_u32_e32 0, v43
; %bb.346:                              ;   in Loop: Header=BB2_129 Depth=2
	v_clz_i32_u32_e32 v43, v44
	s_delay_alu instid0(VALU_DEP_1) | instskip(NEXT) | instid1(VALU_DEP_1)
	v_min_u32_e32 v43, 32, v43
	v_subrev_nc_u32_e32 v44, 29, v43
	s_delay_alu instid0(VALU_DEP_1) | instskip(NEXT) | instid1(VALU_DEP_1)
	v_lshlrev_b64_e32 v[44:45], v44, v[100:101]
	v_dual_sub_nc_u32 v43, 30, v43 :: v_dual_bitop2_b32 v44, 3, v44 bitop3:0x40
; %bb.347:                              ;   in Loop: Header=BB2_129 Depth=2
	s_or_b32 exec_lo, exec_lo, s46
	v_lshlrev_b32_e32 v45, 24, v11
	s_delay_alu instid0(VALU_DEP_1) | instskip(NEXT) | instid1(VALU_DEP_1)
	v_and_b32_e32 v45, 0x80000000, v45
	v_lshl_add_u32 v43, v43, 23, v45
	s_delay_alu instid0(VALU_DEP_1) | instskip(NEXT) | instid1(VALU_DEP_1)
	v_lshl_or_b32 v43, v44, 21, v43
                                        ; implicit-def: $vgpr44
	v_add_nc_u32_e32 v43, 0x38000000, v43
.LBB2_348:                              ;   in Loop: Header=BB2_129 Depth=2
	s_and_not1_saveexec_b32 s45, s45
; %bb.349:                              ;   in Loop: Header=BB2_129 Depth=2
	v_bfe_i32 v43, v11, 0, 8
	s_delay_alu instid0(VALU_DEP_1) | instskip(SKIP_2) | instid1(VALU_DEP_2)
	v_cmp_lt_i16_e32 vcc_lo, -1, v43
	v_cndmask_b32_e32 v43, 0xff800000, v62, vcc_lo
	v_cmp_eq_u32_e32 vcc_lo, 0, v44
	v_cndmask_b32_e32 v43, 0x7f800001, v43, vcc_lo
; %bb.350:                              ;   in Loop: Header=BB2_129 Depth=2
	s_or_b32 exec_lo, exec_lo, s45
.LBB2_351:                              ;   in Loop: Header=BB2_129 Depth=2
	s_delay_alu instid0(SALU_CYCLE_1)
	s_or_b32 exec_lo, exec_lo, s15
.LBB2_352:                              ;   in Loop: Header=BB2_129 Depth=2
	s_delay_alu instid0(SALU_CYCLE_1) | instskip(SKIP_3) | instid1(VALU_DEP_1)
	s_or_b32 exec_lo, exec_lo, s14
	v_and_b32_e32 v45, 0xff, v41
	s_mov_b32 s14, 0
	s_mov_b32 s15, exec_lo
	v_cmpx_lt_i16_e32 0x7f, v45
	s_xor_b32 s15, exec_lo, s15
	s_cbranch_execz .LBB2_988
; %bb.353:                              ;   in Loop: Header=BB2_129 Depth=2
	s_mov_b32 s14, -1
	s_mov_b32 s45, exec_lo
	v_cmpx_eq_u16_e32 0x80, v45
; %bb.354:                              ;   in Loop: Header=BB2_129 Depth=2
	s_xor_b32 s14, exec_lo, -1
; %bb.355:                              ;   in Loop: Header=BB2_129 Depth=2
	s_or_b32 exec_lo, exec_lo, s45
	s_delay_alu instid0(SALU_CYCLE_1)
	s_and_b32 s14, s14, exec_lo
                                        ; implicit-def: $vgpr45
	s_or_saveexec_b32 s15, s15
	v_bfrev_b32_e32 v44, 1
	s_xor_b32 exec_lo, exec_lo, s15
	s_cbranch_execnz .LBB2_989
.LBB2_356:                              ;   in Loop: Header=BB2_129 Depth=2
	s_or_b32 exec_lo, exec_lo, s15
	s_and_saveexec_b32 s15, s14
.LBB2_357:                              ;   in Loop: Header=BB2_129 Depth=2
	v_cndmask_b32_e64 v44, v102, v113, s12
	v_cndmask_b32_e64 v45, v30, v40, s12
	s_delay_alu instid0(VALU_DEP_2) | instskip(NEXT) | instid1(VALU_DEP_1)
	v_lshl_add_u32 v44, v44, 23, v103
	v_lshl_or_b32 v44, v45, 21, v44
	s_delay_alu instid0(VALU_DEP_1)
	v_cndmask_b32_e64 v44, v44, v112, s11
.LBB2_358:                              ;   in Loop: Header=BB2_129 Depth=2
	s_or_b32 exec_lo, exec_lo, s15
	s_delay_alu instid0(VALU_DEP_1) | instskip(SKIP_1) | instid1(VALU_DEP_1)
	v_dual_max_num_f32 v44, v44, v44 :: v_dual_max_num_f32 v43, v43, v43
	s_mov_b32 s14, 0
	v_max_num_f32_e32 v43, v43, v44
.LBB2_359:                              ;   in Loop: Header=BB2_129 Depth=2
	s_and_b32 vcc_lo, exec_lo, s14
	s_cbranch_vccz .LBB2_377
; %bb.360:                              ;   in Loop: Header=BB2_129 Depth=2
	v_mov_b32_e32 v43, 0
	s_and_saveexec_b32 s14, s13
	s_cbranch_execz .LBB2_370
; %bb.361:                              ;   in Loop: Header=BB2_129 Depth=2
	v_bfrev_b32_e32 v43, 1
	s_mov_b32 s13, exec_lo
	v_cmpx_ne_u16_e32 0x80, v42
	s_cbranch_execz .LBB2_369
; %bb.362:                              ;   in Loop: Header=BB2_129 Depth=2
	v_and_b32_e32 v43, 0x7c, v11
	v_and_b32_e32 v42, 3, v11
	s_delay_alu instid0(VALU_DEP_2) | instskip(SKIP_1) | instid1(SALU_CYCLE_1)
	v_cmp_ne_u32_e32 vcc_lo, 0x7c, v43
                                        ; implicit-def: $vgpr43
	s_and_saveexec_b32 s15, vcc_lo
	s_xor_b32 s15, exec_lo, s15
	s_cbranch_execz .LBB2_366
; %bb.363:                              ;   in Loop: Header=BB2_129 Depth=2
	v_bfe_u32 v43, v11, 2, 5
	s_mov_b32 s45, exec_lo
	s_delay_alu instid0(VALU_DEP_1)
	v_cmpx_eq_u32_e32 0, v43
; %bb.364:                              ;   in Loop: Header=BB2_129 Depth=2
	v_clz_i32_u32_e32 v42, v42
	s_delay_alu instid0(VALU_DEP_1) | instskip(NEXT) | instid1(VALU_DEP_1)
	v_min_u32_e32 v44, 32, v42
	v_subrev_nc_u32_e32 v42, 29, v44
	s_delay_alu instid0(VALU_DEP_1) | instskip(NEXT) | instid1(VALU_DEP_1)
	v_lshlrev_b64_e32 v[42:43], v42, v[100:101]
	v_dual_sub_nc_u32 v43, 30, v44 :: v_dual_bitop2_b32 v42, 3, v42 bitop3:0x40
; %bb.365:                              ;   in Loop: Header=BB2_129 Depth=2
	s_or_b32 exec_lo, exec_lo, s45
	v_lshlrev_b32_e32 v101, 24, v11
	s_delay_alu instid0(VALU_DEP_1) | instskip(NEXT) | instid1(VALU_DEP_1)
	v_and_b32_e32 v101, 0x80000000, v101
	v_lshl_add_u32 v101, v43, 23, v101
	s_delay_alu instid0(VALU_DEP_1) | instskip(NEXT) | instid1(VALU_DEP_1)
	v_lshl_or_b32 v101, v42, 21, v101
                                        ; implicit-def: $vgpr42
	v_add_nc_u32_e32 v43, 0x38000000, v101
.LBB2_366:                              ;   in Loop: Header=BB2_129 Depth=2
	s_and_not1_saveexec_b32 s15, s15
; %bb.367:                              ;   in Loop: Header=BB2_129 Depth=2
	v_bfe_i32 v101, v11, 0, 8
	s_delay_alu instid0(VALU_DEP_1) | instskip(SKIP_2) | instid1(VALU_DEP_2)
	v_cmp_lt_i16_e32 vcc_lo, -1, v101
	v_cndmask_b32_e32 v101, 0xff800000, v62, vcc_lo
	v_cmp_eq_u32_e32 vcc_lo, 0, v42
	v_cndmask_b32_e32 v43, 0x7f800001, v101, vcc_lo
; %bb.368:                              ;   in Loop: Header=BB2_129 Depth=2
	s_or_b32 exec_lo, exec_lo, s15
.LBB2_369:                              ;   in Loop: Header=BB2_129 Depth=2
	s_delay_alu instid0(SALU_CYCLE_1)
	s_or_b32 exec_lo, exec_lo, s13
.LBB2_370:                              ;   in Loop: Header=BB2_129 Depth=2
	s_delay_alu instid0(SALU_CYCLE_1) | instskip(SKIP_3) | instid1(VALU_DEP_1)
	s_or_b32 exec_lo, exec_lo, s14
	v_and_b32_e32 v41, 0xff, v41
	s_mov_b32 s13, 0
	s_mov_b32 s14, exec_lo
	v_cmpx_lt_i16_e32 0x7f, v41
	s_xor_b32 s14, exec_lo, s14
	s_cbranch_execz .LBB2_990
; %bb.371:                              ;   in Loop: Header=BB2_129 Depth=2
	s_mov_b32 s13, -1
	s_mov_b32 s15, exec_lo
	v_cmpx_eq_u16_e32 0x80, v41
; %bb.372:                              ;   in Loop: Header=BB2_129 Depth=2
	s_xor_b32 s13, exec_lo, -1
; %bb.373:                              ;   in Loop: Header=BB2_129 Depth=2
	s_or_b32 exec_lo, exec_lo, s15
	s_delay_alu instid0(SALU_CYCLE_1)
	s_and_b32 s13, s13, exec_lo
                                        ; implicit-def: $vgpr41
	s_or_saveexec_b32 s14, s14
	v_bfrev_b32_e32 v101, 1
	s_xor_b32 exec_lo, exec_lo, s14
	s_cbranch_execnz .LBB2_991
.LBB2_374:                              ;   in Loop: Header=BB2_129 Depth=2
	s_or_b32 exec_lo, exec_lo, s14
	s_and_saveexec_b32 s14, s13
.LBB2_375:                              ;   in Loop: Header=BB2_129 Depth=2
	v_cndmask_b32_e64 v101, v102, v113, s12
	v_cndmask_b32_e64 v30, v30, v40, s12
	s_delay_alu instid0(VALU_DEP_2) | instskip(NEXT) | instid1(VALU_DEP_1)
	v_lshl_add_u32 v101, v101, 23, v103
	v_lshl_or_b32 v30, v30, 21, v101
	s_delay_alu instid0(VALU_DEP_1)
	v_cndmask_b32_e64 v101, v30, v112, s11
.LBB2_376:                              ;   in Loop: Header=BB2_129 Depth=2
	s_or_b32 exec_lo, exec_lo, s14
	s_delay_alu instid0(VALU_DEP_1) | instskip(NEXT) | instid1(VALU_DEP_1)
	v_dual_max_num_f32 v30, v101, v101 :: v_dual_max_num_f32 v101, v43, v43
	v_min_num_f32_e32 v43, v101, v30
.LBB2_377:                              ;   in Loop: Header=BB2_129 Depth=2
	s_delay_alu instid0(VALU_DEP_1) | instskip(SKIP_4) | instid1(VALU_DEP_3)
	v_and_b32_e32 v112, 0x7f800000, v43
	v_dual_mov_b32 v113, v39 :: v_dual_mov_b32 v103, v39
	v_and_b32_e32 v102, 0x7fffff, v43
	v_lshrrev_b32_e32 v30, 24, v43
                                        ; implicit-def: $vgpr40
	s_mov_b32 s11, exec_lo
	v_cmpx_ne_u64_e32 0x7f800000, v[112:113]
	s_xor_b32 s12, exec_lo, s11
	s_cbranch_execz .LBB2_391
; %bb.378:                              ;   in Loop: Header=BB2_129 Depth=2
	v_and_b32_e32 v112, 0x7fffffff, v43
	v_mov_b32_e32 v113, v39
	v_and_b32_e32 v30, 0x80, v30
                                        ; implicit-def: $vgpr40
	s_mov_b32 s11, exec_lo
	s_delay_alu instid0(VALU_DEP_2)
	v_cmpx_gt_u64_e32 0x47600001, v[112:113]
	s_xor_b32 s13, exec_lo, s11
	s_cbranch_execz .LBB2_388
; %bb.379:                              ;   in Loop: Header=BB2_129 Depth=2
	v_mov_b32_e32 v40, 0
	s_mov_b32 s14, exec_lo
	v_cmpx_ne_u32_e32 0, v43
	s_cbranch_execz .LBB2_387
; %bb.380:                              ;   in Loop: Header=BB2_129 Depth=2
	v_bfe_u32 v101, v43, 23, 8
	v_or_b32_e32 v41, 0x800000, v102
	s_delay_alu instid0(VALU_DEP_2) | instskip(SKIP_1) | instid1(VALU_DEP_2)
	v_sub_nc_u32_e32 v112, 0x71, v101
	v_cmp_gt_u32_e32 vcc_lo, 0x72, v101
	v_cndmask_b32_e32 v112, 0, v112, vcc_lo
	v_cmp_eq_u32_e32 vcc_lo, 0, v101
	v_cndmask_b32_e32 v102, v41, v102, vcc_lo
	s_delay_alu instid0(VALU_DEP_3) | instskip(NEXT) | instid1(VALU_DEP_1)
	v_cndmask_b32_e64 v40, v112, 0x70, vcc_lo
	v_dual_add_nc_u32 v112, 21, v40 :: v_dual_add_nc_u32 v42, 20, v40
	s_delay_alu instid0(VALU_DEP_1) | instskip(NEXT) | instid1(VALU_DEP_2)
	v_lshlrev_b64_e64 v[112:113], v112, -1
	v_lshlrev_b64_e64 v[42:43], v42, 1
	s_delay_alu instid0(VALU_DEP_2) | instskip(SKIP_1) | instid1(VALU_DEP_4)
	v_bfi_b32 v112, v112, 0, v102
	v_lshrrev_b64 v[102:103], v40, v[102:103]
	v_bfi_b32 v113, v113, 0, 0
	s_delay_alu instid0(VALU_DEP_1) | instskip(NEXT) | instid1(VALU_DEP_3)
	v_cmp_eq_u64_e64 s11, v[112:113], v[42:43]
	v_mov_b64_e32 v[112:113], v[102:103]
	s_and_saveexec_b32 s15, s11
; %bb.381:                              ;   in Loop: Header=BB2_129 Depth=2
	v_bfe_u32 v112, v102, 21, 1
	v_mov_b32_e32 v113, v39
	s_delay_alu instid0(VALU_DEP_1) | instskip(NEXT) | instid1(VALU_DEP_1)
	v_add_nc_u64_e32 v[112:113], v[102:103], v[112:113]
	v_add_nc_u64_e32 v[112:113], -1, v[112:113]
; %bb.382:                              ;   in Loop: Header=BB2_129 Depth=2
	s_or_b32 exec_lo, exec_lo, s15
	v_add_nc_u32_e32 v101, 0xffffff81, v101
	v_lshrrev_b32_e32 v103, 23, v102
	s_mov_b32 s11, exec_lo
	s_delay_alu instid0(VALU_DEP_2) | instskip(NEXT) | instid1(VALU_DEP_1)
	v_cndmask_b32_e64 v101, v101, 0xffffff82, vcc_lo
	v_add3_u32 v113, v40, v101, v103
	v_and_b32_e32 v101, 0x1fffff, v112
	s_delay_alu instid0(VALU_DEP_2) | instskip(NEXT) | instid1(VALU_DEP_2)
	v_dual_mov_b32 v103, v39 :: v_dual_add_nc_u32 v112, 14, v113
	v_add_nc_u32_e32 v102, v101, v102
                                        ; implicit-def: $vgpr101
	s_delay_alu instid0(VALU_DEP_2)
	v_cmpx_ne_u32_e32 0, v112
	s_xor_b32 s11, exec_lo, s11
; %bb.383:                              ;   in Loop: Header=BB2_129 Depth=2
	s_delay_alu instid0(VALU_DEP_2) | instskip(SKIP_1) | instid1(VALU_DEP_1)
	v_cmp_lt_u64_e32 vcc_lo, 0xffffff, v[102:103]
	v_add_nc_u32_e32 v101, 15, v113
	v_cndmask_b32_e32 v101, v112, v101, vcc_lo
	v_cndmask_b32_e64 v112, 0, 1, vcc_lo
	s_delay_alu instid0(VALU_DEP_1)
	v_lshrrev_b64 v[102:103], v112, v[102:103]
; %bb.384:                              ;   in Loop: Header=BB2_129 Depth=2
	s_and_not1_saveexec_b32 s11, s11
; %bb.385:                              ;   in Loop: Header=BB2_129 Depth=2
	s_delay_alu instid0(VALU_DEP_1)
	v_bfe_u32 v101, v102, 23, 1
; %bb.386:                              ;   in Loop: Header=BB2_129 Depth=2
	s_or_b32 exec_lo, exec_lo, s11
	s_delay_alu instid0(VALU_DEP_2) | instskip(NEXT) | instid1(VALU_DEP_2)
	v_lshrrev_b64 v[102:103], 21, v[102:103]
	v_cmp_gt_i32_e32 vcc_lo, 32, v101
	v_min_i32_e32 v112, 31, v101
	v_cmp_eq_u32_e64 s11, 0, v101
	s_delay_alu instid0(VALU_DEP_2) | instskip(SKIP_1) | instid1(VALU_DEP_2)
	v_dual_cndmask_b32 v103, 0, v103 :: v_dual_lshlrev_b32 v112, 2, v112
	v_cndmask_b32_e32 v102, 3, v102, vcc_lo
	v_and_b32_e32 v112, 0xfc, v112
	s_delay_alu instid0(VALU_DEP_2) | instskip(NEXT) | instid1(VALU_DEP_2)
	v_cmp_eq_u64_e32 vcc_lo, 0, v[102:103]
	v_and_or_b32 v101, v102, 3, v112
	s_and_b32 s11, s11, vcc_lo
	s_delay_alu instid0(VALU_DEP_1) | instid1(SALU_CYCLE_1)
	v_cndmask_b32_e64 v101, v101, 0, s11
	s_delay_alu instid0(VALU_DEP_1)
	v_or_b32_e32 v40, v101, v30
.LBB2_387:                              ;   in Loop: Header=BB2_129 Depth=2
	s_or_b32 exec_lo, exec_lo, s14
                                        ; implicit-def: $vgpr30
.LBB2_388:                              ;   in Loop: Header=BB2_129 Depth=2
	s_and_not1_saveexec_b32 s11, s13
; %bb.389:                              ;   in Loop: Header=BB2_129 Depth=2
	v_or_b32_e32 v40, 0x7b, v30
; %bb.390:                              ;   in Loop: Header=BB2_129 Depth=2
	s_or_b32 exec_lo, exec_lo, s11
                                        ; implicit-def: $vgpr43
                                        ; implicit-def: $vgpr102_vgpr103
                                        ; implicit-def: $vgpr30
.LBB2_391:                              ;   in Loop: Header=BB2_129 Depth=2
	s_and_not1_saveexec_b32 s11, s12
	s_cbranch_execz .LBB2_397
; %bb.392:                              ;   in Loop: Header=BB2_129 Depth=2
	s_mov_b32 s12, exec_lo
                                        ; implicit-def: $vgpr40
	v_cmpx_ne_u64_e32 0, v[102:103]
	s_xor_b32 s12, exec_lo, s12
; %bb.393:                              ;   in Loop: Header=BB2_129 Depth=2
	v_or_b32_e32 v40, 0x7f, v30
                                        ; implicit-def: $vgpr43
; %bb.394:                              ;   in Loop: Header=BB2_129 Depth=2
	s_and_not1_saveexec_b32 s12, s12
; %bb.395:                              ;   in Loop: Header=BB2_129 Depth=2
	v_cmp_lt_i32_e32 vcc_lo, -1, v43
	v_cndmask_b32_e32 v40, 0xfc, v63, vcc_lo
; %bb.396:                              ;   in Loop: Header=BB2_129 Depth=2
	s_or_b32 exec_lo, exec_lo, s12
.LBB2_397:                              ;   in Loop: Header=BB2_129 Depth=2
	s_delay_alu instid0(SALU_CYCLE_1)
	s_or_b32 exec_lo, exec_lo, s11
	v_lshrrev_b16 v102, 8, v38
	v_cmp_lt_i16_e32 vcc_lo, -1, v38
	v_lshrrev_b16 v112, 8, v100
	s_mov_b32 s14, -1
	v_mov_b32_e32 v103, v39
	v_and_b32_e32 v113, 0xffff, v102
	v_cndmask_b32_e32 v41, 0xff800000, v62, vcc_lo
	v_lshlrev_b32_e32 v43, 24, v102
	v_cmp_ne_u16_e64 s13, 0, v112
	s_delay_alu instid0(VALU_DEP_4) | instskip(SKIP_2) | instid1(VALU_DEP_3)
	v_and_b32_e32 v30, 3, v113
	v_and_b32_e32 v46, 0x7c, v113
	v_bfe_u32 v38, v113, 2, 5
                                        ; implicit-def: $vgpr113
	v_clz_i32_u32_e32 v101, v30
	v_cmp_eq_u32_e32 vcc_lo, 0, v30
	s_delay_alu instid0(VALU_DEP_4) | instskip(NEXT) | instid1(VALU_DEP_4)
	v_cmp_eq_u32_e64 s11, 0x7c, v46
	v_cmp_eq_u32_e64 s12, 0, v38
	s_delay_alu instid0(VALU_DEP_4) | instskip(SKIP_3) | instid1(VALU_DEP_3)
	v_min_u32_e32 v42, 32, v101
	v_and_b32_e32 v101, 0xffff, v112
	v_cndmask_b32_e32 v41, 0x7f800001, v41, vcc_lo
	s_and_b32 vcc_lo, exec_lo, s44
	v_subrev_nc_u32_e32 v44, 29, v42
	v_sub_nc_u32_e32 v42, 30, v42
	s_delay_alu instid0(VALU_DEP_2) | instskip(SKIP_1) | instid1(VALU_DEP_2)
	v_lshlrev_b64_e32 v[44:45], v44, v[102:103]
	v_and_or_b32 v103, v43, s28, 0x38000000
	v_and_b32_e32 v43, 3, v44
	s_cbranch_vccz .LBB2_415
; %bb.398:                              ;   in Loop: Header=BB2_129 Depth=2
	v_mov_b32_e32 v113, 0
	s_and_saveexec_b32 s14, s13
	s_cbranch_execz .LBB2_408
; %bb.399:                              ;   in Loop: Header=BB2_129 Depth=2
	v_bfrev_b32_e32 v113, 1
	s_mov_b32 s15, exec_lo
	v_cmpx_ne_u16_e32 0x80, v112
	s_cbranch_execz .LBB2_407
; %bb.400:                              ;   in Loop: Header=BB2_129 Depth=2
	v_and_b32_e32 v113, 0x7c, v101
	v_and_b32_e32 v44, 3, v101
	s_delay_alu instid0(VALU_DEP_2) | instskip(SKIP_1) | instid1(SALU_CYCLE_1)
	v_cmp_ne_u32_e32 vcc_lo, 0x7c, v113
                                        ; implicit-def: $vgpr113
	s_and_saveexec_b32 s45, vcc_lo
	s_xor_b32 s45, exec_lo, s45
	s_cbranch_execz .LBB2_404
; %bb.401:                              ;   in Loop: Header=BB2_129 Depth=2
	v_bfe_u32 v113, v101, 2, 5
	s_mov_b32 s46, exec_lo
	s_delay_alu instid0(VALU_DEP_1)
	v_cmpx_eq_u32_e32 0, v113
; %bb.402:                              ;   in Loop: Header=BB2_129 Depth=2
	v_clz_i32_u32_e32 v113, v44
	s_delay_alu instid0(VALU_DEP_1) | instskip(SKIP_1) | instid1(VALU_DEP_2)
	v_min_u32_e32 v46, 32, v113
	v_mov_b32_e32 v113, v39
	v_subrev_nc_u32_e32 v44, 29, v46
	s_delay_alu instid0(VALU_DEP_1) | instskip(NEXT) | instid1(VALU_DEP_1)
	v_lshlrev_b64_e32 v[44:45], v44, v[112:113]
	v_dual_sub_nc_u32 v113, 30, v46 :: v_dual_bitop2_b32 v44, 3, v44 bitop3:0x40
; %bb.403:                              ;   in Loop: Header=BB2_129 Depth=2
	s_or_b32 exec_lo, exec_lo, s46
	v_lshlrev_b32_e32 v45, 16, v100
	s_delay_alu instid0(VALU_DEP_1) | instskip(NEXT) | instid1(VALU_DEP_1)
	v_and_b32_e32 v45, 0x80000000, v45
	v_lshl_add_u32 v113, v113, 23, v45
	s_delay_alu instid0(VALU_DEP_1) | instskip(NEXT) | instid1(VALU_DEP_1)
	v_lshl_or_b32 v113, v44, 21, v113
                                        ; implicit-def: $vgpr44
	v_add_nc_u32_e32 v113, 0x38000000, v113
.LBB2_404:                              ;   in Loop: Header=BB2_129 Depth=2
	s_and_not1_saveexec_b32 s45, s45
; %bb.405:                              ;   in Loop: Header=BB2_129 Depth=2
	v_cmp_lt_i16_e32 vcc_lo, -1, v100
	v_cndmask_b32_e32 v113, 0xff800000, v62, vcc_lo
	v_cmp_eq_u32_e32 vcc_lo, 0, v44
	s_delay_alu instid0(VALU_DEP_2)
	v_cndmask_b32_e32 v113, 0x7f800001, v113, vcc_lo
; %bb.406:                              ;   in Loop: Header=BB2_129 Depth=2
	s_or_b32 exec_lo, exec_lo, s45
.LBB2_407:                              ;   in Loop: Header=BB2_129 Depth=2
	s_delay_alu instid0(SALU_CYCLE_1)
	s_or_b32 exec_lo, exec_lo, s15
.LBB2_408:                              ;   in Loop: Header=BB2_129 Depth=2
	s_delay_alu instid0(SALU_CYCLE_1)
	s_or_b32 exec_lo, exec_lo, s14
	s_mov_b32 s14, 0
	s_mov_b32 s15, exec_lo
	v_cmpx_lt_i16_e32 0x7f, v102
	s_xor_b32 s15, exec_lo, s15
	s_cbranch_execz .LBB2_992
; %bb.409:                              ;   in Loop: Header=BB2_129 Depth=2
	s_mov_b32 s14, -1
	s_mov_b32 s45, exec_lo
	v_cmpx_eq_u16_e32 0x80, v102
; %bb.410:                              ;   in Loop: Header=BB2_129 Depth=2
	s_xor_b32 s14, exec_lo, -1
; %bb.411:                              ;   in Loop: Header=BB2_129 Depth=2
	s_or_b32 exec_lo, exec_lo, s45
	s_delay_alu instid0(SALU_CYCLE_1)
	s_and_b32 s14, s14, exec_lo
	s_or_saveexec_b32 s15, s15
	v_bfrev_b32_e32 v44, 1
	s_xor_b32 exec_lo, exec_lo, s15
	s_cbranch_execnz .LBB2_993
.LBB2_412:                              ;   in Loop: Header=BB2_129 Depth=2
	s_or_b32 exec_lo, exec_lo, s15
	s_and_saveexec_b32 s15, s14
.LBB2_413:                              ;   in Loop: Header=BB2_129 Depth=2
	v_cndmask_b32_e64 v44, v38, v42, s12
	v_cndmask_b32_e64 v45, v30, v43, s12
	s_delay_alu instid0(VALU_DEP_2) | instskip(NEXT) | instid1(VALU_DEP_1)
	v_lshl_add_u32 v44, v44, 23, v103
	v_lshl_or_b32 v44, v45, 21, v44
	s_delay_alu instid0(VALU_DEP_1)
	v_cndmask_b32_e64 v44, v44, v41, s11
.LBB2_414:                              ;   in Loop: Header=BB2_129 Depth=2
	s_or_b32 exec_lo, exec_lo, s15
	s_delay_alu instid0(VALU_DEP_1) | instskip(SKIP_1) | instid1(VALU_DEP_1)
	v_dual_max_num_f32 v44, v44, v44 :: v_dual_max_num_f32 v113, v113, v113
	s_mov_b32 s14, 0
	v_max_num_f32_e32 v113, v113, v44
.LBB2_415:                              ;   in Loop: Header=BB2_129 Depth=2
	s_and_b32 vcc_lo, exec_lo, s14
	s_cbranch_vccz .LBB2_433
; %bb.416:                              ;   in Loop: Header=BB2_129 Depth=2
	v_mov_b32_e32 v113, 0
	s_and_saveexec_b32 s14, s13
	s_cbranch_execz .LBB2_426
; %bb.417:                              ;   in Loop: Header=BB2_129 Depth=2
	v_bfrev_b32_e32 v113, 1
	s_mov_b32 s13, exec_lo
	v_cmpx_ne_u16_e32 0x80, v112
	s_cbranch_execz .LBB2_425
; %bb.418:                              ;   in Loop: Header=BB2_129 Depth=2
	v_and_b32_e32 v113, 0x7c, v101
	v_and_b32_e32 v44, 3, v101
	s_delay_alu instid0(VALU_DEP_2) | instskip(SKIP_1) | instid1(SALU_CYCLE_1)
	v_cmp_ne_u32_e32 vcc_lo, 0x7c, v113
                                        ; implicit-def: $vgpr113
	s_and_saveexec_b32 s15, vcc_lo
	s_xor_b32 s15, exec_lo, s15
	s_cbranch_execz .LBB2_422
; %bb.419:                              ;   in Loop: Header=BB2_129 Depth=2
	v_bfe_u32 v101, v101, 2, 5
	s_mov_b32 s45, exec_lo
	s_delay_alu instid0(VALU_DEP_1)
	v_cmpx_eq_u32_e32 0, v101
	s_cbranch_execz .LBB2_421
; %bb.420:                              ;   in Loop: Header=BB2_129 Depth=2
	v_clz_i32_u32_e32 v101, v44
	s_delay_alu instid0(VALU_DEP_1) | instskip(SKIP_1) | instid1(VALU_DEP_2)
	v_min_u32_e32 v101, 32, v101
	v_mov_b32_e32 v113, v39
	v_subrev_nc_u32_e32 v44, 29, v101
	v_sub_nc_u32_e32 v101, 30, v101
	s_delay_alu instid0(VALU_DEP_2) | instskip(NEXT) | instid1(VALU_DEP_1)
	v_lshlrev_b64_e32 v[112:113], v44, v[112:113]
	v_and_b32_e32 v44, 3, v112
.LBB2_421:                              ;   in Loop: Header=BB2_129 Depth=2
	s_or_b32 exec_lo, exec_lo, s45
	v_lshlrev_b32_e32 v100, 16, v100
	s_delay_alu instid0(VALU_DEP_1) | instskip(NEXT) | instid1(VALU_DEP_1)
	v_and_b32_e32 v100, 0x80000000, v100
	v_lshl_add_u32 v100, v101, 23, v100
	s_delay_alu instid0(VALU_DEP_1) | instskip(NEXT) | instid1(VALU_DEP_1)
	v_lshl_or_b32 v100, v44, 21, v100
                                        ; implicit-def: $vgpr44
	v_add_nc_u32_e32 v113, 0x38000000, v100
                                        ; implicit-def: $vgpr100_vgpr101
.LBB2_422:                              ;   in Loop: Header=BB2_129 Depth=2
	s_and_not1_saveexec_b32 s15, s15
; %bb.423:                              ;   in Loop: Header=BB2_129 Depth=2
	v_cmp_lt_i16_e32 vcc_lo, -1, v100
	v_cndmask_b32_e32 v100, 0xff800000, v62, vcc_lo
	v_cmp_eq_u32_e32 vcc_lo, 0, v44
	s_delay_alu instid0(VALU_DEP_2)
	v_cndmask_b32_e32 v113, 0x7f800001, v100, vcc_lo
; %bb.424:                              ;   in Loop: Header=BB2_129 Depth=2
	s_or_b32 exec_lo, exec_lo, s15
.LBB2_425:                              ;   in Loop: Header=BB2_129 Depth=2
	s_delay_alu instid0(SALU_CYCLE_1)
	s_or_b32 exec_lo, exec_lo, s13
.LBB2_426:                              ;   in Loop: Header=BB2_129 Depth=2
	s_delay_alu instid0(SALU_CYCLE_1)
	s_or_b32 exec_lo, exec_lo, s14
	s_mov_b32 s13, 0
	s_mov_b32 s14, exec_lo
	v_cmpx_lt_i16_e32 0x7f, v102
	s_xor_b32 s14, exec_lo, s14
	s_cbranch_execz .LBB2_994
; %bb.427:                              ;   in Loop: Header=BB2_129 Depth=2
	s_mov_b32 s13, -1
	s_mov_b32 s15, exec_lo
	v_cmpx_eq_u16_e32 0x80, v102
; %bb.428:                              ;   in Loop: Header=BB2_129 Depth=2
	s_xor_b32 s13, exec_lo, -1
; %bb.429:                              ;   in Loop: Header=BB2_129 Depth=2
	s_or_b32 exec_lo, exec_lo, s15
	s_delay_alu instid0(SALU_CYCLE_1)
	s_and_b32 s13, s13, exec_lo
                                        ; implicit-def: $vgpr102
	s_or_saveexec_b32 s14, s14
	v_bfrev_b32_e32 v100, 1
	s_xor_b32 exec_lo, exec_lo, s14
	s_cbranch_execnz .LBB2_995
.LBB2_430:                              ;   in Loop: Header=BB2_129 Depth=2
	s_or_b32 exec_lo, exec_lo, s14
	s_and_saveexec_b32 s14, s13
.LBB2_431:                              ;   in Loop: Header=BB2_129 Depth=2
	v_cndmask_b32_e64 v38, v38, v42, s12
	v_cndmask_b32_e64 v30, v30, v43, s12
	s_delay_alu instid0(VALU_DEP_2) | instskip(NEXT) | instid1(VALU_DEP_1)
	v_lshl_add_u32 v38, v38, 23, v103
	v_lshl_or_b32 v30, v30, 21, v38
	s_delay_alu instid0(VALU_DEP_1)
	v_cndmask_b32_e64 v100, v30, v41, s11
.LBB2_432:                              ;   in Loop: Header=BB2_129 Depth=2
	s_or_b32 exec_lo, exec_lo, s14
	s_delay_alu instid0(VALU_DEP_1) | instskip(NEXT) | instid1(VALU_DEP_1)
	v_dual_max_num_f32 v30, v100, v100 :: v_dual_max_num_f32 v38, v113, v113
	v_min_num_f32_e32 v113, v38, v30
.LBB2_433:                              ;   in Loop: Header=BB2_129 Depth=2
	s_delay_alu instid0(VALU_DEP_1) | instskip(SKIP_3) | instid1(VALU_DEP_2)
	v_and_b32_e32 v100, 0x7f800000, v113
	v_dual_mov_b32 v101, v39 :: v_dual_lshrrev_b32 v30, 24, v113
	v_and_b32_e32 v38, 0x7fffff, v113
                                        ; implicit-def: $vgpr112
	s_mov_b32 s11, exec_lo
	v_cmpx_ne_u64_e32 0x7f800000, v[100:101]
	s_xor_b32 s12, exec_lo, s11
	s_cbranch_execz .LBB2_447
; %bb.434:                              ;   in Loop: Header=BB2_129 Depth=2
	v_and_b32_e32 v100, 0x7fffffff, v113
	v_mov_b32_e32 v101, v39
	v_and_b32_e32 v30, 0x80, v30
                                        ; implicit-def: $vgpr112
	s_mov_b32 s11, exec_lo
	s_delay_alu instid0(VALU_DEP_2)
	v_cmpx_gt_u64_e32 0x47600001, v[100:101]
	s_xor_b32 s13, exec_lo, s11
	s_cbranch_execz .LBB2_444
; %bb.435:                              ;   in Loop: Header=BB2_129 Depth=2
	v_mov_b32_e32 v112, 0
	s_mov_b32 s14, exec_lo
	v_cmpx_ne_u32_e32 0, v113
	s_cbranch_execz .LBB2_443
; %bb.436:                              ;   in Loop: Header=BB2_129 Depth=2
	v_bfe_u32 v112, v113, 23, 8
	v_or_b32_e32 v102, 0x800000, v38
	s_delay_alu instid0(VALU_DEP_2) | instskip(SKIP_1) | instid1(VALU_DEP_2)
	v_sub_nc_u32_e32 v100, 0x71, v112
	v_cmp_gt_u32_e32 vcc_lo, 0x72, v112
	v_cndmask_b32_e32 v100, 0, v100, vcc_lo
	v_cmp_eq_u32_e32 vcc_lo, 0, v112
	s_delay_alu instid0(VALU_DEP_2) | instskip(NEXT) | instid1(VALU_DEP_1)
	v_cndmask_b32_e64 v113, v100, 0x70, vcc_lo
	v_dual_cndmask_b32 v38, v102, v38, vcc_lo :: v_dual_add_nc_u32 v100, 21, v113
	v_add_nc_u32_e32 v103, 20, v113
	s_delay_alu instid0(VALU_DEP_2) | instskip(NEXT) | instid1(VALU_DEP_2)
	v_lshlrev_b64_e64 v[100:101], v100, -1
	v_lshlrev_b64_e64 v[102:103], v103, 1
	s_delay_alu instid0(VALU_DEP_2) | instskip(NEXT) | instid1(VALU_DEP_3)
	v_bfi_b32 v43, v101, 0, 0
	v_bfi_b32 v42, v100, 0, v38
	v_lshrrev_b64 v[100:101], v113, v[38:39]
	s_delay_alu instid0(VALU_DEP_2) | instskip(NEXT) | instid1(VALU_DEP_2)
	v_cmp_eq_u64_e64 s11, v[42:43], v[102:103]
	v_mov_b64_e32 v[102:103], v[100:101]
	s_and_saveexec_b32 s15, s11
; %bb.437:                              ;   in Loop: Header=BB2_129 Depth=2
	v_bfe_u32 v38, v100, 21, 1
	s_delay_alu instid0(VALU_DEP_1) | instskip(NEXT) | instid1(VALU_DEP_1)
	v_add_nc_u64_e32 v[102:103], v[100:101], v[38:39]
	v_add_nc_u64_e32 v[102:103], -1, v[102:103]
; %bb.438:                              ;   in Loop: Header=BB2_129 Depth=2
	s_or_b32 exec_lo, exec_lo, s15
	v_add_nc_u32_e32 v38, 0xffffff81, v112
	v_lshrrev_b32_e32 v101, 23, v100
	s_mov_b32 s11, exec_lo
	s_delay_alu instid0(VALU_DEP_2) | instskip(NEXT) | instid1(VALU_DEP_1)
	v_cndmask_b32_e64 v38, v38, 0xffffff82, vcc_lo
	v_add3_u32 v103, v113, v38, v101
	v_and_b32_e32 v38, 0x1fffff, v102
                                        ; implicit-def: $vgpr102
	s_delay_alu instid0(VALU_DEP_1) | instskip(NEXT) | instid1(VALU_DEP_1)
	v_dual_add_nc_u32 v112, 14, v103 :: v_dual_add_nc_u32 v38, v38, v100
                                        ; implicit-def: $vgpr100_vgpr101
	v_cmpx_ne_u32_e32 0, v112
	s_xor_b32 s11, exec_lo, s11
; %bb.439:                              ;   in Loop: Header=BB2_129 Depth=2
	s_delay_alu instid0(VALU_DEP_2) | instskip(SKIP_1) | instid1(VALU_DEP_1)
	v_cmp_lt_u64_e32 vcc_lo, 0xffffff, v[38:39]
	v_add_nc_u32_e32 v100, 15, v103
	v_cndmask_b32_e32 v102, v112, v100, vcc_lo
	v_cndmask_b32_e64 v100, 0, 1, vcc_lo
	s_delay_alu instid0(VALU_DEP_1)
	v_lshrrev_b64 v[100:101], v100, v[38:39]
; %bb.440:                              ;   in Loop: Header=BB2_129 Depth=2
	s_and_not1_saveexec_b32 s11, s11
; %bb.441:                              ;   in Loop: Header=BB2_129 Depth=2
	v_mov_b64_e32 v[100:101], v[38:39]
	v_bfe_u32 v102, v38, 23, 1
; %bb.442:                              ;   in Loop: Header=BB2_129 Depth=2
	s_or_b32 exec_lo, exec_lo, s11
	s_delay_alu instid0(VALU_DEP_2) | instskip(NEXT) | instid1(VALU_DEP_2)
	v_lshrrev_b64 v[100:101], 21, v[100:101]
	v_cmp_gt_i32_e32 vcc_lo, 32, v102
	v_min_i32_e32 v38, 31, v102
	v_cmp_eq_u32_e64 s11, 0, v102
	s_delay_alu instid0(VALU_DEP_2) | instskip(SKIP_1) | instid1(VALU_DEP_2)
	v_dual_cndmask_b32 v101, 0, v101 :: v_dual_lshlrev_b32 v38, 2, v38
	v_cndmask_b32_e32 v100, 3, v100, vcc_lo
	v_and_b32_e32 v38, 0xfc, v38
	s_delay_alu instid0(VALU_DEP_2) | instskip(NEXT) | instid1(VALU_DEP_2)
	v_cmp_eq_u64_e32 vcc_lo, 0, v[100:101]
	v_and_or_b32 v38, v100, 3, v38
	s_and_b32 s11, s11, vcc_lo
	s_delay_alu instid0(VALU_DEP_1) | instid1(SALU_CYCLE_1)
	v_cndmask_b32_e64 v38, v38, 0, s11
	s_delay_alu instid0(VALU_DEP_1)
	v_or_b32_e32 v112, v38, v30
.LBB2_443:                              ;   in Loop: Header=BB2_129 Depth=2
	s_or_b32 exec_lo, exec_lo, s14
                                        ; implicit-def: $vgpr30
.LBB2_444:                              ;   in Loop: Header=BB2_129 Depth=2
	s_and_not1_saveexec_b32 s11, s13
; %bb.445:                              ;   in Loop: Header=BB2_129 Depth=2
	v_or_b32_e32 v112, 0x7b, v30
; %bb.446:                              ;   in Loop: Header=BB2_129 Depth=2
	s_or_b32 exec_lo, exec_lo, s11
                                        ; implicit-def: $vgpr113
                                        ; implicit-def: $vgpr30
.LBB2_447:                              ;   in Loop: Header=BB2_129 Depth=2
	s_and_not1_saveexec_b32 s11, s12
	s_cbranch_execz .LBB2_453
; %bb.448:                              ;   in Loop: Header=BB2_129 Depth=2
	s_mov_b32 s12, exec_lo
                                        ; implicit-def: $vgpr112
	v_cmpx_ne_u64_e32 0, v[38:39]
	s_xor_b32 s12, exec_lo, s12
; %bb.449:                              ;   in Loop: Header=BB2_129 Depth=2
	v_or_b32_e32 v112, 0x7f, v30
                                        ; implicit-def: $vgpr113
; %bb.450:                              ;   in Loop: Header=BB2_129 Depth=2
	s_and_not1_saveexec_b32 s12, s12
; %bb.451:                              ;   in Loop: Header=BB2_129 Depth=2
	v_cmp_lt_i32_e32 vcc_lo, -1, v113
	v_cndmask_b32_e32 v112, 0xfc, v63, vcc_lo
; %bb.452:                              ;   in Loop: Header=BB2_129 Depth=2
	s_or_b32 exec_lo, exec_lo, s12
.LBB2_453:                              ;   in Loop: Header=BB2_129 Depth=2
	s_delay_alu instid0(SALU_CYCLE_1) | instskip(SKIP_4) | instid1(VALU_DEP_3)
	s_or_b32 exec_lo, exec_lo, s11
	v_bfe_u32 v38, v15, 16, 2
	v_dual_lshrrev_b32 v102, 16, v15 :: v_dual_lshlrev_b32 v113, 8, v15
	v_and_b32_e32 v101, 0x7c0000, v15
	s_mov_b32 s14, -1
	v_clz_i32_u32_e32 v100, v38
	s_delay_alu instid0(VALU_DEP_3) | instskip(NEXT) | instid1(VALU_DEP_3)
	v_bfe_i32 v41, v102, 0, 8
	v_cmp_eq_u32_e64 s11, 0x7c0000, v101
	v_and_or_b32 v101, v113, s28, 0x38000000
	s_delay_alu instid0(VALU_DEP_4) | instskip(NEXT) | instid1(VALU_DEP_4)
	v_min_u32_e32 v103, 32, v100
	v_cmp_lt_i16_e32 vcc_lo, -1, v41
	v_bfe_u32 v100, v15, 18, 5
	s_delay_alu instid0(VALU_DEP_3) | instskip(NEXT) | instid1(VALU_DEP_2)
	v_subrev_nc_u32_e32 v43, 29, v103
	v_cmp_eq_u32_e64 s12, 0, v100
	s_delay_alu instid0(VALU_DEP_2) | instskip(SKIP_3) | instid1(VALU_DEP_4)
	v_lshlrev_b64_e32 v[44:45], v43, v[102:103]
	v_lshrrev_b32_e32 v30, 16, v11
	v_dual_cndmask_b32 v102, 0xff800000, v62 :: v_dual_sub_nc_u32 v103, 30, v103
	v_cmp_eq_u32_e32 vcc_lo, 0, v38
                                        ; implicit-def: $vgpr43
	v_and_b32_e32 v113, 3, v44
	s_delay_alu instid0(VALU_DEP_4) | instskip(NEXT) | instid1(VALU_DEP_4)
	v_and_b32_e32 v42, 0xff, v30
	v_cndmask_b32_e32 v102, 0x7f800001, v102, vcc_lo
	s_and_b32 vcc_lo, exec_lo, s44
	s_delay_alu instid0(VALU_DEP_2)
	v_cmp_ne_u16_e64 s13, 0, v42
	s_cbranch_vccz .LBB2_471
; %bb.454:                              ;   in Loop: Header=BB2_129 Depth=2
	v_mov_b32_e32 v43, 0
	s_and_saveexec_b32 s14, s13
	s_cbranch_execz .LBB2_464
; %bb.455:                              ;   in Loop: Header=BB2_129 Depth=2
	v_bfrev_b32_e32 v43, 1
	s_mov_b32 s15, exec_lo
	v_cmpx_ne_u16_e32 0x80, v42
	s_cbranch_execz .LBB2_463
; %bb.456:                              ;   in Loop: Header=BB2_129 Depth=2
	v_and_b32_e32 v43, 0x7c0000, v11
	v_bfe_u32 v44, v11, 16, 2
	s_delay_alu instid0(VALU_DEP_2) | instskip(SKIP_1) | instid1(SALU_CYCLE_1)
	v_cmp_ne_u32_e32 vcc_lo, 0x7c0000, v43
                                        ; implicit-def: $vgpr43
	s_and_saveexec_b32 s45, vcc_lo
	s_xor_b32 s45, exec_lo, s45
	s_cbranch_execz .LBB2_460
; %bb.457:                              ;   in Loop: Header=BB2_129 Depth=2
	v_bfe_u32 v43, v11, 18, 5
	s_mov_b32 s46, exec_lo
	s_delay_alu instid0(VALU_DEP_1)
	v_cmpx_eq_u32_e32 0, v43
; %bb.458:                              ;   in Loop: Header=BB2_129 Depth=2
	v_clz_i32_u32_e32 v43, v44
	s_delay_alu instid0(VALU_DEP_1) | instskip(NEXT) | instid1(VALU_DEP_1)
	v_min_u32_e32 v43, 32, v43
	v_subrev_nc_u32_e32 v44, 29, v43
	s_delay_alu instid0(VALU_DEP_1) | instskip(NEXT) | instid1(VALU_DEP_1)
	v_lshlrev_b64_e32 v[44:45], v44, v[30:31]
	v_dual_sub_nc_u32 v43, 30, v43 :: v_dual_bitop2_b32 v44, 3, v44 bitop3:0x40
; %bb.459:                              ;   in Loop: Header=BB2_129 Depth=2
	s_or_b32 exec_lo, exec_lo, s46
	v_lshlrev_b32_e32 v45, 24, v30
	s_delay_alu instid0(VALU_DEP_1) | instskip(NEXT) | instid1(VALU_DEP_1)
	v_and_b32_e32 v45, 0x80000000, v45
	v_lshl_add_u32 v43, v43, 23, v45
	s_delay_alu instid0(VALU_DEP_1) | instskip(NEXT) | instid1(VALU_DEP_1)
	v_lshl_or_b32 v43, v44, 21, v43
                                        ; implicit-def: $vgpr44
	v_add_nc_u32_e32 v43, 0x38000000, v43
.LBB2_460:                              ;   in Loop: Header=BB2_129 Depth=2
	s_and_not1_saveexec_b32 s45, s45
; %bb.461:                              ;   in Loop: Header=BB2_129 Depth=2
	v_bfe_i32 v43, v30, 0, 8
	s_delay_alu instid0(VALU_DEP_1) | instskip(SKIP_2) | instid1(VALU_DEP_2)
	v_cmp_lt_i16_e32 vcc_lo, -1, v43
	v_cndmask_b32_e32 v43, 0xff800000, v62, vcc_lo
	v_cmp_eq_u32_e32 vcc_lo, 0, v44
	v_cndmask_b32_e32 v43, 0x7f800001, v43, vcc_lo
; %bb.462:                              ;   in Loop: Header=BB2_129 Depth=2
	s_or_b32 exec_lo, exec_lo, s45
.LBB2_463:                              ;   in Loop: Header=BB2_129 Depth=2
	s_delay_alu instid0(SALU_CYCLE_1)
	s_or_b32 exec_lo, exec_lo, s15
.LBB2_464:                              ;   in Loop: Header=BB2_129 Depth=2
	s_delay_alu instid0(SALU_CYCLE_1) | instskip(SKIP_3) | instid1(VALU_DEP_1)
	s_or_b32 exec_lo, exec_lo, s14
	v_and_b32_e32 v45, 0xff, v41
	s_mov_b32 s14, 0
	s_mov_b32 s15, exec_lo
	v_cmpx_lt_i16_e32 0x7f, v45
	s_xor_b32 s15, exec_lo, s15
	s_cbranch_execz .LBB2_996
; %bb.465:                              ;   in Loop: Header=BB2_129 Depth=2
	s_mov_b32 s14, -1
	s_mov_b32 s45, exec_lo
	v_cmpx_eq_u16_e32 0x80, v45
; %bb.466:                              ;   in Loop: Header=BB2_129 Depth=2
	s_xor_b32 s14, exec_lo, -1
; %bb.467:                              ;   in Loop: Header=BB2_129 Depth=2
	s_or_b32 exec_lo, exec_lo, s45
	s_delay_alu instid0(SALU_CYCLE_1)
	s_and_b32 s14, s14, exec_lo
                                        ; implicit-def: $vgpr45
	s_or_saveexec_b32 s15, s15
	v_bfrev_b32_e32 v44, 1
	s_xor_b32 exec_lo, exec_lo, s15
	s_cbranch_execnz .LBB2_997
.LBB2_468:                              ;   in Loop: Header=BB2_129 Depth=2
	s_or_b32 exec_lo, exec_lo, s15
	s_and_saveexec_b32 s15, s14
.LBB2_469:                              ;   in Loop: Header=BB2_129 Depth=2
	v_dual_cndmask_b32 v44, v100, v103, s12 :: v_dual_cndmask_b32 v45, v38, v113, s12
	s_delay_alu instid0(VALU_DEP_1) | instskip(NEXT) | instid1(VALU_DEP_1)
	v_lshl_add_u32 v44, v44, 23, v101
	v_lshl_or_b32 v44, v45, 21, v44
	s_delay_alu instid0(VALU_DEP_1)
	v_cndmask_b32_e64 v44, v44, v102, s11
.LBB2_470:                              ;   in Loop: Header=BB2_129 Depth=2
	s_or_b32 exec_lo, exec_lo, s15
	s_delay_alu instid0(VALU_DEP_1) | instskip(SKIP_1) | instid1(VALU_DEP_1)
	v_dual_max_num_f32 v44, v44, v44 :: v_dual_max_num_f32 v43, v43, v43
	s_mov_b32 s14, 0
	v_max_num_f32_e32 v43, v43, v44
.LBB2_471:                              ;   in Loop: Header=BB2_129 Depth=2
	s_and_b32 vcc_lo, exec_lo, s14
	s_cbranch_vccz .LBB2_489
; %bb.472:                              ;   in Loop: Header=BB2_129 Depth=2
	v_mov_b32_e32 v43, 0
	s_and_saveexec_b32 s14, s13
	s_cbranch_execz .LBB2_482
; %bb.473:                              ;   in Loop: Header=BB2_129 Depth=2
	v_bfrev_b32_e32 v43, 1
	s_mov_b32 s13, exec_lo
	v_cmpx_ne_u16_e32 0x80, v42
	s_cbranch_execz .LBB2_481
; %bb.474:                              ;   in Loop: Header=BB2_129 Depth=2
	v_and_b32_e32 v43, 0x7c0000, v11
	v_bfe_u32 v42, v11, 16, 2
	s_delay_alu instid0(VALU_DEP_2) | instskip(SKIP_1) | instid1(SALU_CYCLE_1)
	v_cmp_ne_u32_e32 vcc_lo, 0x7c0000, v43
                                        ; implicit-def: $vgpr43
	s_and_saveexec_b32 s15, vcc_lo
	s_xor_b32 s15, exec_lo, s15
	s_cbranch_execz .LBB2_478
; %bb.475:                              ;   in Loop: Header=BB2_129 Depth=2
	v_bfe_u32 v43, v11, 18, 5
	s_mov_b32 s45, exec_lo
	s_delay_alu instid0(VALU_DEP_1)
	v_cmpx_eq_u32_e32 0, v43
; %bb.476:                              ;   in Loop: Header=BB2_129 Depth=2
	v_clz_i32_u32_e32 v42, v42
	s_delay_alu instid0(VALU_DEP_1) | instskip(NEXT) | instid1(VALU_DEP_1)
	v_min_u32_e32 v44, 32, v42
	v_subrev_nc_u32_e32 v42, 29, v44
	s_delay_alu instid0(VALU_DEP_1) | instskip(NEXT) | instid1(VALU_DEP_1)
	v_lshlrev_b64_e32 v[42:43], v42, v[30:31]
	v_dual_sub_nc_u32 v43, 30, v44 :: v_dual_bitop2_b32 v42, 3, v42 bitop3:0x40
; %bb.477:                              ;   in Loop: Header=BB2_129 Depth=2
	s_or_b32 exec_lo, exec_lo, s45
	v_lshlrev_b32_e32 v30, 24, v30
	s_delay_alu instid0(VALU_DEP_1) | instskip(NEXT) | instid1(VALU_DEP_1)
	v_and_b32_e32 v30, 0x80000000, v30
	v_lshl_add_u32 v30, v43, 23, v30
	s_delay_alu instid0(VALU_DEP_1) | instskip(NEXT) | instid1(VALU_DEP_1)
	v_lshl_or_b32 v30, v42, 21, v30
                                        ; implicit-def: $vgpr42
	v_add_nc_u32_e32 v43, 0x38000000, v30
                                        ; implicit-def: $vgpr30
.LBB2_478:                              ;   in Loop: Header=BB2_129 Depth=2
	s_and_not1_saveexec_b32 s15, s15
; %bb.479:                              ;   in Loop: Header=BB2_129 Depth=2
	v_bfe_i32 v30, v30, 0, 8
	s_delay_alu instid0(VALU_DEP_1) | instskip(SKIP_2) | instid1(VALU_DEP_2)
	v_cmp_lt_i16_e32 vcc_lo, -1, v30
	v_cndmask_b32_e32 v30, 0xff800000, v62, vcc_lo
	v_cmp_eq_u32_e32 vcc_lo, 0, v42
	v_cndmask_b32_e32 v43, 0x7f800001, v30, vcc_lo
; %bb.480:                              ;   in Loop: Header=BB2_129 Depth=2
	s_or_b32 exec_lo, exec_lo, s15
.LBB2_481:                              ;   in Loop: Header=BB2_129 Depth=2
	s_delay_alu instid0(SALU_CYCLE_1)
	s_or_b32 exec_lo, exec_lo, s13
.LBB2_482:                              ;   in Loop: Header=BB2_129 Depth=2
	s_delay_alu instid0(SALU_CYCLE_1) | instskip(SKIP_3) | instid1(VALU_DEP_1)
	s_or_b32 exec_lo, exec_lo, s14
	v_and_b32_e32 v41, 0xff, v41
	s_mov_b32 s13, 0
	s_mov_b32 s14, exec_lo
	v_cmpx_lt_i16_e32 0x7f, v41
	s_xor_b32 s14, exec_lo, s14
	s_cbranch_execz .LBB2_998
; %bb.483:                              ;   in Loop: Header=BB2_129 Depth=2
	s_mov_b32 s13, -1
	s_mov_b32 s15, exec_lo
	v_cmpx_eq_u16_e32 0x80, v41
; %bb.484:                              ;   in Loop: Header=BB2_129 Depth=2
	s_xor_b32 s13, exec_lo, -1
; %bb.485:                              ;   in Loop: Header=BB2_129 Depth=2
	s_or_b32 exec_lo, exec_lo, s15
	s_delay_alu instid0(SALU_CYCLE_1)
	s_and_b32 s13, s13, exec_lo
                                        ; implicit-def: $vgpr41
	s_or_saveexec_b32 s14, s14
	v_bfrev_b32_e32 v30, 1
	s_xor_b32 exec_lo, exec_lo, s14
	s_cbranch_execnz .LBB2_999
.LBB2_486:                              ;   in Loop: Header=BB2_129 Depth=2
	s_or_b32 exec_lo, exec_lo, s14
	s_and_saveexec_b32 s14, s13
.LBB2_487:                              ;   in Loop: Header=BB2_129 Depth=2
	v_dual_cndmask_b32 v30, v100, v103, s12 :: v_dual_cndmask_b32 v38, v38, v113, s12
	s_delay_alu instid0(VALU_DEP_1) | instskip(NEXT) | instid1(VALU_DEP_1)
	v_lshl_add_u32 v30, v30, 23, v101
	v_lshl_or_b32 v30, v38, 21, v30
	s_delay_alu instid0(VALU_DEP_1)
	v_cndmask_b32_e64 v30, v30, v102, s11
.LBB2_488:                              ;   in Loop: Header=BB2_129 Depth=2
	s_or_b32 exec_lo, exec_lo, s14
	s_delay_alu instid0(VALU_DEP_1) | instskip(NEXT) | instid1(VALU_DEP_1)
	v_dual_max_num_f32 v30, v30, v30 :: v_dual_max_num_f32 v38, v43, v43
	v_min_num_f32_e32 v43, v38, v30
.LBB2_489:                              ;   in Loop: Header=BB2_129 Depth=2
	s_delay_alu instid0(VALU_DEP_1) | instskip(SKIP_3) | instid1(VALU_DEP_2)
	v_and_b32_e32 v100, 0x7f800000, v43
	v_dual_mov_b32 v101, v39 :: v_dual_lshrrev_b32 v30, 24, v43
	v_and_b32_e32 v38, 0x7fffff, v43
                                        ; implicit-def: $vgpr102
	s_mov_b32 s11, exec_lo
	v_cmpx_ne_u64_e32 0x7f800000, v[100:101]
	s_xor_b32 s12, exec_lo, s11
	s_cbranch_execz .LBB2_503
; %bb.490:                              ;   in Loop: Header=BB2_129 Depth=2
	v_and_b32_e32 v100, 0x7fffffff, v43
	v_mov_b32_e32 v101, v39
	v_and_b32_e32 v30, 0x80, v30
                                        ; implicit-def: $vgpr102
	s_mov_b32 s11, exec_lo
	s_delay_alu instid0(VALU_DEP_2)
	v_cmpx_gt_u64_e32 0x47600001, v[100:101]
	s_xor_b32 s13, exec_lo, s11
	s_cbranch_execz .LBB2_500
; %bb.491:                              ;   in Loop: Header=BB2_129 Depth=2
	v_mov_b32_e32 v102, 0
	s_mov_b32 s14, exec_lo
	v_cmpx_ne_u32_e32 0, v43
	s_cbranch_execz .LBB2_499
; %bb.492:                              ;   in Loop: Header=BB2_129 Depth=2
	v_bfe_u32 v113, v43, 23, 8
	v_or_b32_e32 v102, 0x800000, v38
	s_delay_alu instid0(VALU_DEP_2) | instskip(SKIP_1) | instid1(VALU_DEP_2)
	v_sub_nc_u32_e32 v100, 0x71, v113
	v_cmp_gt_u32_e32 vcc_lo, 0x72, v113
	v_cndmask_b32_e32 v100, 0, v100, vcc_lo
	v_cmp_eq_u32_e32 vcc_lo, 0, v113
	s_delay_alu instid0(VALU_DEP_2) | instskip(NEXT) | instid1(VALU_DEP_1)
	v_cndmask_b32_e64 v41, v100, 0x70, vcc_lo
	v_dual_cndmask_b32 v38, v102, v38, vcc_lo :: v_dual_add_nc_u32 v100, 21, v41
	v_add_nc_u32_e32 v103, 20, v41
	s_delay_alu instid0(VALU_DEP_2) | instskip(NEXT) | instid1(VALU_DEP_2)
	v_lshlrev_b64_e64 v[100:101], v100, -1
	v_lshlrev_b64_e64 v[102:103], v103, 1
	s_delay_alu instid0(VALU_DEP_2) | instskip(NEXT) | instid1(VALU_DEP_3)
	v_bfi_b32 v43, v101, 0, 0
	v_bfi_b32 v42, v100, 0, v38
	v_lshrrev_b64 v[100:101], v41, v[38:39]
	s_delay_alu instid0(VALU_DEP_2) | instskip(NEXT) | instid1(VALU_DEP_2)
	v_cmp_eq_u64_e64 s11, v[42:43], v[102:103]
	v_mov_b64_e32 v[102:103], v[100:101]
	s_and_saveexec_b32 s15, s11
; %bb.493:                              ;   in Loop: Header=BB2_129 Depth=2
	v_bfe_u32 v38, v100, 21, 1
	s_delay_alu instid0(VALU_DEP_1) | instskip(NEXT) | instid1(VALU_DEP_1)
	v_add_nc_u64_e32 v[102:103], v[100:101], v[38:39]
	v_add_nc_u64_e32 v[102:103], -1, v[102:103]
; %bb.494:                              ;   in Loop: Header=BB2_129 Depth=2
	s_or_b32 exec_lo, exec_lo, s15
	v_add_nc_u32_e32 v38, 0xffffff81, v113
	v_lshrrev_b32_e32 v101, 23, v100
	s_mov_b32 s11, exec_lo
	s_delay_alu instid0(VALU_DEP_2) | instskip(NEXT) | instid1(VALU_DEP_1)
	v_cndmask_b32_e64 v38, v38, 0xffffff82, vcc_lo
	v_add3_u32 v103, v41, v38, v101
	v_and_b32_e32 v38, 0x1fffff, v102
                                        ; implicit-def: $vgpr102
	s_delay_alu instid0(VALU_DEP_1) | instskip(NEXT) | instid1(VALU_DEP_1)
	v_dual_add_nc_u32 v113, 14, v103 :: v_dual_add_nc_u32 v38, v38, v100
                                        ; implicit-def: $vgpr100_vgpr101
	v_cmpx_ne_u32_e32 0, v113
	s_xor_b32 s11, exec_lo, s11
; %bb.495:                              ;   in Loop: Header=BB2_129 Depth=2
	s_delay_alu instid0(VALU_DEP_2) | instskip(SKIP_1) | instid1(VALU_DEP_1)
	v_cmp_lt_u64_e32 vcc_lo, 0xffffff, v[38:39]
	v_add_nc_u32_e32 v100, 15, v103
	v_cndmask_b32_e32 v102, v113, v100, vcc_lo
	v_cndmask_b32_e64 v100, 0, 1, vcc_lo
	s_delay_alu instid0(VALU_DEP_1)
	v_lshrrev_b64 v[100:101], v100, v[38:39]
; %bb.496:                              ;   in Loop: Header=BB2_129 Depth=2
	s_and_not1_saveexec_b32 s11, s11
; %bb.497:                              ;   in Loop: Header=BB2_129 Depth=2
	v_mov_b64_e32 v[100:101], v[38:39]
	v_bfe_u32 v102, v38, 23, 1
; %bb.498:                              ;   in Loop: Header=BB2_129 Depth=2
	s_or_b32 exec_lo, exec_lo, s11
	s_delay_alu instid0(VALU_DEP_2) | instskip(NEXT) | instid1(VALU_DEP_2)
	v_lshrrev_b64 v[100:101], 21, v[100:101]
	v_cmp_gt_i32_e32 vcc_lo, 32, v102
	v_min_i32_e32 v38, 31, v102
	v_cmp_eq_u32_e64 s11, 0, v102
	s_delay_alu instid0(VALU_DEP_2) | instskip(SKIP_1) | instid1(VALU_DEP_2)
	v_dual_cndmask_b32 v101, 0, v101 :: v_dual_lshlrev_b32 v38, 2, v38
	v_cndmask_b32_e32 v100, 3, v100, vcc_lo
	v_and_b32_e32 v38, 0xfc, v38
	s_delay_alu instid0(VALU_DEP_2) | instskip(NEXT) | instid1(VALU_DEP_2)
	v_cmp_eq_u64_e32 vcc_lo, 0, v[100:101]
	v_and_or_b32 v38, v100, 3, v38
	s_and_b32 s11, s11, vcc_lo
	s_delay_alu instid0(VALU_DEP_1) | instid1(SALU_CYCLE_1)
	v_cndmask_b32_e64 v38, v38, 0, s11
	s_delay_alu instid0(VALU_DEP_1)
	v_or_b32_e32 v102, v38, v30
.LBB2_499:                              ;   in Loop: Header=BB2_129 Depth=2
	s_or_b32 exec_lo, exec_lo, s14
                                        ; implicit-def: $vgpr30
.LBB2_500:                              ;   in Loop: Header=BB2_129 Depth=2
	s_and_not1_saveexec_b32 s11, s13
; %bb.501:                              ;   in Loop: Header=BB2_129 Depth=2
	v_or_b32_e32 v102, 0x7b, v30
; %bb.502:                              ;   in Loop: Header=BB2_129 Depth=2
	s_or_b32 exec_lo, exec_lo, s11
                                        ; implicit-def: $vgpr43
                                        ; implicit-def: $vgpr30
.LBB2_503:                              ;   in Loop: Header=BB2_129 Depth=2
	s_and_not1_saveexec_b32 s11, s12
	s_cbranch_execz .LBB2_509
; %bb.504:                              ;   in Loop: Header=BB2_129 Depth=2
	s_mov_b32 s12, exec_lo
                                        ; implicit-def: $vgpr102
	v_cmpx_ne_u64_e32 0, v[38:39]
	s_xor_b32 s12, exec_lo, s12
; %bb.505:                              ;   in Loop: Header=BB2_129 Depth=2
	v_or_b32_e32 v102, 0x7f, v30
                                        ; implicit-def: $vgpr43
; %bb.506:                              ;   in Loop: Header=BB2_129 Depth=2
	s_and_not1_saveexec_b32 s12, s12
; %bb.507:                              ;   in Loop: Header=BB2_129 Depth=2
	v_cmp_lt_i32_e32 vcc_lo, -1, v43
	v_cndmask_b32_e32 v102, 0xfc, v63, vcc_lo
; %bb.508:                              ;   in Loop: Header=BB2_129 Depth=2
	s_or_b32 exec_lo, exec_lo, s12
.LBB2_509:                              ;   in Loop: Header=BB2_129 Depth=2
	s_delay_alu instid0(SALU_CYCLE_1)
	s_or_b32 exec_lo, exec_lo, s11
	v_bfe_u32 v38, v15, 24, 2
	v_lshrrev_b32_e32 v42, 24, v15
	v_cmp_lt_i64_e32 vcc_lo, -1, v[14:15]
	v_cmp_gt_u64_e64 s11, s[16:17], v[14:15]
	v_and_b32_e32 v113, 0x7c000000, v15
	v_clz_i32_u32_e32 v100, v38
	v_cmp_lt_u64_e64 s15, s[18:19], v[10:11]
	v_and_or_b32 v101, v15, s28, 0x38000000
	v_cmp_eq_u32_e64 s12, 0x80, v42
	v_cmp_eq_u32_e64 s13, 0x7c000000, v113
	v_min_u32_e32 v103, 32, v100
	v_bfe_u32 v100, v15, 26, 5
	v_cndmask_b32_e32 v14, 0xff800000, v62, vcc_lo
	v_cmp_eq_u32_e32 vcc_lo, 0, v38
	s_mov_b32 s45, -1
	v_subrev_nc_u32_e32 v41, 29, v103
	v_cmp_eq_u32_e64 s14, 0, v100
	v_dual_cndmask_b32 v14, 0x7f800001, v14 :: v_dual_sub_nc_u32 v15, 30, v103
	s_and_b32 vcc_lo, exec_lo, s44
	v_lshlrev_b64_e32 v[44:45], v41, v[42:43]
	v_lshrrev_b32_e32 v30, 24, v11
                                        ; implicit-def: $vgpr113
	s_delay_alu instid0(VALU_DEP_2)
	v_and_b32_e32 v103, 3, v44
	s_cbranch_vccz .LBB2_521
; %bb.510:                              ;   in Loop: Header=BB2_129 Depth=2
	v_mov_b32_e32 v113, 0
	s_and_saveexec_b32 s45, s15
	s_cbranch_execz .LBB2_520
; %bb.511:                              ;   in Loop: Header=BB2_129 Depth=2
	v_bfrev_b32_e32 v113, 1
	s_mov_b32 s46, exec_lo
	v_cmpx_ne_u32_e32 0x80, v30
	s_cbranch_execz .LBB2_519
; %bb.512:                              ;   in Loop: Header=BB2_129 Depth=2
	v_and_b32_e32 v113, 0x7c000000, v11
	v_bfe_u32 v41, v11, 24, 2
	s_delay_alu instid0(VALU_DEP_2) | instskip(SKIP_1) | instid1(SALU_CYCLE_1)
	v_cmp_ne_u32_e32 vcc_lo, 0x7c000000, v113
                                        ; implicit-def: $vgpr113
	s_and_saveexec_b32 s47, vcc_lo
	s_xor_b32 s47, exec_lo, s47
	s_cbranch_execz .LBB2_516
; %bb.513:                              ;   in Loop: Header=BB2_129 Depth=2
	v_bfe_u32 v113, v11, 26, 5
	s_mov_b32 s56, exec_lo
	s_delay_alu instid0(VALU_DEP_1)
	v_cmpx_eq_u32_e32 0, v113
; %bb.514:                              ;   in Loop: Header=BB2_129 Depth=2
	v_clz_i32_u32_e32 v113, v41
	s_delay_alu instid0(VALU_DEP_1) | instskip(NEXT) | instid1(VALU_DEP_1)
	v_min_u32_e32 v113, 32, v113
	v_subrev_nc_u32_e32 v41, 29, v113
	s_delay_alu instid0(VALU_DEP_1) | instskip(NEXT) | instid1(VALU_DEP_1)
	v_lshlrev_b64_e32 v[42:43], v41, v[30:31]
	v_dual_sub_nc_u32 v113, 30, v113 :: v_dual_bitop2_b32 v41, 3, v42 bitop3:0x40
; %bb.515:                              ;   in Loop: Header=BB2_129 Depth=2
	s_or_b32 exec_lo, exec_lo, s56
	v_and_b32_e32 v42, 0x80000000, v11
	s_delay_alu instid0(VALU_DEP_1) | instskip(NEXT) | instid1(VALU_DEP_1)
	v_lshl_add_u32 v113, v113, 23, v42
	v_lshl_or_b32 v113, v41, 21, v113
                                        ; implicit-def: $vgpr41
	s_delay_alu instid0(VALU_DEP_1)
	v_add_nc_u32_e32 v113, 0x38000000, v113
.LBB2_516:                              ;   in Loop: Header=BB2_129 Depth=2
	s_and_not1_saveexec_b32 s47, s47
; %bb.517:                              ;   in Loop: Header=BB2_129 Depth=2
	v_cmp_lt_i64_e32 vcc_lo, -1, v[10:11]
	v_cndmask_b32_e32 v113, 0xff800000, v62, vcc_lo
	v_cmp_eq_u32_e32 vcc_lo, 0, v41
	s_delay_alu instid0(VALU_DEP_2)
	v_cndmask_b32_e32 v113, 0x7f800001, v113, vcc_lo
; %bb.518:                              ;   in Loop: Header=BB2_129 Depth=2
	s_or_b32 exec_lo, exec_lo, s47
.LBB2_519:                              ;   in Loop: Header=BB2_129 Depth=2
	s_delay_alu instid0(SALU_CYCLE_1)
	s_or_b32 exec_lo, exec_lo, s46
.LBB2_520:                              ;   in Loop: Header=BB2_129 Depth=2
	s_delay_alu instid0(SALU_CYCLE_1) | instskip(NEXT) | instid1(VALU_DEP_1)
	s_or_b32 exec_lo, exec_lo, s45
	v_dual_cndmask_b32 v41, v100, v15, s14 :: v_dual_max_num_f32 v113, v113, v113
	v_cndmask_b32_e64 v42, v38, v103, s14
	s_mov_b32 s45, 0
	s_delay_alu instid0(VALU_DEP_2) | instskip(NEXT) | instid1(VALU_DEP_1)
	v_lshl_add_u32 v41, v41, 23, v101
	v_lshl_or_b32 v41, v42, 21, v41
	s_delay_alu instid0(VALU_DEP_1) | instskip(NEXT) | instid1(VALU_DEP_1)
	v_cndmask_b32_e64 v41, v41, v14, s13
	v_cndmask_b32_e64 v41, v41, 0x80000000, s12
	s_delay_alu instid0(VALU_DEP_1) | instskip(NEXT) | instid1(VALU_DEP_1)
	v_cndmask_b32_e64 v41, v41, 0, s11
	v_max_num_f32_e32 v41, v41, v41
	s_delay_alu instid0(VALU_DEP_1)
	v_max_num_f32_e32 v113, v113, v41
.LBB2_521:                              ;   in Loop: Header=BB2_129 Depth=2
	s_and_b32 vcc_lo, exec_lo, s45
	s_cbranch_vccz .LBB2_533
; %bb.522:                              ;   in Loop: Header=BB2_129 Depth=2
	v_mov_b32_e32 v113, 0
	s_and_saveexec_b32 s45, s15
	s_cbranch_execz .LBB2_532
; %bb.523:                              ;   in Loop: Header=BB2_129 Depth=2
	v_bfrev_b32_e32 v113, 1
	s_mov_b32 s15, exec_lo
	v_cmpx_ne_u32_e32 0x80, v30
	s_cbranch_execz .LBB2_531
; %bb.524:                              ;   in Loop: Header=BB2_129 Depth=2
	v_and_b32_e32 v113, 0x7c000000, v11
	v_bfe_u32 v41, v11, 24, 2
	s_delay_alu instid0(VALU_DEP_2) | instskip(SKIP_1) | instid1(SALU_CYCLE_1)
	v_cmp_ne_u32_e32 vcc_lo, 0x7c000000, v113
                                        ; implicit-def: $vgpr113
	s_and_saveexec_b32 s46, vcc_lo
	s_xor_b32 s46, exec_lo, s46
	s_cbranch_execz .LBB2_528
; %bb.525:                              ;   in Loop: Header=BB2_129 Depth=2
	v_bfe_u32 v113, v11, 26, 5
	s_mov_b32 s47, exec_lo
	s_delay_alu instid0(VALU_DEP_1)
	v_cmpx_eq_u32_e32 0, v113
; %bb.526:                              ;   in Loop: Header=BB2_129 Depth=2
	v_clz_i32_u32_e32 v113, v41
	s_delay_alu instid0(VALU_DEP_1) | instskip(NEXT) | instid1(VALU_DEP_1)
	v_min_u32_e32 v113, 32, v113
	v_subrev_nc_u32_e32 v41, 29, v113
	s_delay_alu instid0(VALU_DEP_1) | instskip(NEXT) | instid1(VALU_DEP_1)
	v_lshlrev_b64_e32 v[42:43], v41, v[30:31]
	v_dual_sub_nc_u32 v113, 30, v113 :: v_dual_bitop2_b32 v41, 3, v42 bitop3:0x40
; %bb.527:                              ;   in Loop: Header=BB2_129 Depth=2
	s_or_b32 exec_lo, exec_lo, s47
	v_and_b32_e32 v30, 0x80000000, v11
	s_delay_alu instid0(VALU_DEP_1) | instskip(NEXT) | instid1(VALU_DEP_1)
	v_lshl_add_u32 v30, v113, 23, v30
	v_lshl_or_b32 v30, v41, 21, v30
                                        ; implicit-def: $vgpr41
	s_delay_alu instid0(VALU_DEP_1)
	v_add_nc_u32_e32 v113, 0x38000000, v30
.LBB2_528:                              ;   in Loop: Header=BB2_129 Depth=2
	s_and_not1_saveexec_b32 s46, s46
; %bb.529:                              ;   in Loop: Header=BB2_129 Depth=2
	v_cmp_lt_i64_e32 vcc_lo, -1, v[10:11]
	v_cndmask_b32_e32 v10, 0xff800000, v62, vcc_lo
	v_cmp_eq_u32_e32 vcc_lo, 0, v41
	s_delay_alu instid0(VALU_DEP_2)
	v_cndmask_b32_e32 v113, 0x7f800001, v10, vcc_lo
; %bb.530:                              ;   in Loop: Header=BB2_129 Depth=2
	s_or_b32 exec_lo, exec_lo, s46
.LBB2_531:                              ;   in Loop: Header=BB2_129 Depth=2
	s_delay_alu instid0(SALU_CYCLE_1)
	s_or_b32 exec_lo, exec_lo, s15
.LBB2_532:                              ;   in Loop: Header=BB2_129 Depth=2
	s_delay_alu instid0(SALU_CYCLE_1) | instskip(SKIP_2) | instid1(VALU_DEP_2)
	s_or_b32 exec_lo, exec_lo, s45
	v_cndmask_b32_e64 v10, v100, v15, s14
	v_cndmask_b32_e64 v11, v38, v103, s14
	v_lshl_add_u32 v10, v10, 23, v101
	s_delay_alu instid0(VALU_DEP_1) | instskip(NEXT) | instid1(VALU_DEP_1)
	v_lshl_or_b32 v10, v11, 21, v10
	v_dual_max_num_f32 v11, v113, v113 :: v_dual_cndmask_b32 v10, v10, v14, s13
	s_delay_alu instid0(VALU_DEP_1) | instskip(NEXT) | instid1(VALU_DEP_1)
	v_cndmask_b32_e64 v10, v10, 0x80000000, s12
	v_cndmask_b32_e64 v10, v10, 0, s11
	s_delay_alu instid0(VALU_DEP_1) | instskip(NEXT) | instid1(VALU_DEP_1)
	v_max_num_f32_e32 v10, v10, v10
	v_min_num_f32_e32 v113, v11, v10
.LBB2_533:                              ;   in Loop: Header=BB2_129 Depth=2
	s_delay_alu instid0(VALU_DEP_1) | instskip(SKIP_2) | instid1(VALU_DEP_2)
	v_and_b32_e32 v10, 0x7f800000, v113
	v_mov_b32_e32 v11, v39
	v_and_b32_e32 v38, 0x7fffff, v113
                                        ; implicit-def: $vgpr30
	v_cmp_ne_u64_e32 vcc_lo, 0x7f800000, v[10:11]
	v_lshrrev_b32_e32 v10, 24, v113
	s_and_saveexec_b32 s11, vcc_lo
	s_delay_alu instid0(SALU_CYCLE_1)
	s_xor_b32 s12, exec_lo, s11
	s_cbranch_execz .LBB2_547
; %bb.534:                              ;   in Loop: Header=BB2_129 Depth=2
	v_and_b32_e32 v14, 0x7fffffff, v113
	v_mov_b32_e32 v15, v39
	v_and_b32_e32 v100, 0x80, v10
                                        ; implicit-def: $vgpr30
	s_mov_b32 s11, exec_lo
	s_delay_alu instid0(VALU_DEP_2)
	v_cmpx_gt_u64_e32 0x47600001, v[14:15]
	s_xor_b32 s13, exec_lo, s11
	s_cbranch_execz .LBB2_544
; %bb.535:                              ;   in Loop: Header=BB2_129 Depth=2
	v_mov_b32_e32 v30, 0
	s_mov_b32 s14, exec_lo
	v_cmpx_ne_u32_e32 0, v113
	s_cbranch_execz .LBB2_543
; %bb.536:                              ;   in Loop: Header=BB2_129 Depth=2
	v_bfe_u32 v30, v113, 23, 8
	v_or_b32_e32 v14, 0x800000, v38
	s_delay_alu instid0(VALU_DEP_2) | instskip(SKIP_1) | instid1(VALU_DEP_2)
	v_sub_nc_u32_e32 v10, 0x71, v30
	v_cmp_gt_u32_e32 vcc_lo, 0x72, v30
	v_cndmask_b32_e32 v10, 0, v10, vcc_lo
	v_cmp_eq_u32_e32 vcc_lo, 0, v30
	s_delay_alu instid0(VALU_DEP_2) | instskip(NEXT) | instid1(VALU_DEP_1)
	v_cndmask_b32_e64 v101, v10, 0x70, vcc_lo
	v_dual_cndmask_b32 v38, v14, v38, vcc_lo :: v_dual_add_nc_u32 v10, 21, v101
	v_add_nc_u32_e32 v15, 20, v101
	s_delay_alu instid0(VALU_DEP_2) | instskip(NEXT) | instid1(VALU_DEP_2)
	v_lshlrev_b64_e64 v[10:11], v10, -1
	v_lshlrev_b64_e64 v[14:15], v15, 1
	s_delay_alu instid0(VALU_DEP_2) | instskip(NEXT) | instid1(VALU_DEP_3)
	v_bfi_b32 v43, v11, 0, 0
	v_bfi_b32 v42, v10, 0, v38
	v_lshrrev_b64 v[10:11], v101, v[38:39]
	s_delay_alu instid0(VALU_DEP_2) | instskip(NEXT) | instid1(VALU_DEP_2)
	v_cmp_eq_u64_e64 s11, v[42:43], v[14:15]
	v_mov_b64_e32 v[14:15], v[10:11]
	s_and_saveexec_b32 s15, s11
; %bb.537:                              ;   in Loop: Header=BB2_129 Depth=2
	v_bfe_u32 v38, v10, 21, 1
	s_delay_alu instid0(VALU_DEP_1) | instskip(NEXT) | instid1(VALU_DEP_1)
	v_add_nc_u64_e32 v[14:15], v[10:11], v[38:39]
	v_add_nc_u64_e32 v[14:15], -1, v[14:15]
; %bb.538:                              ;   in Loop: Header=BB2_129 Depth=2
	s_or_b32 exec_lo, exec_lo, s15
	v_add_nc_u32_e32 v11, 0xffffff81, v30
	v_lshrrev_b32_e32 v15, 23, v10
	s_mov_b32 s11, exec_lo
	s_delay_alu instid0(VALU_DEP_2) | instskip(NEXT) | instid1(VALU_DEP_1)
	v_cndmask_b32_e64 v11, v11, 0xffffff82, vcc_lo
	v_add3_u32 v15, v101, v11, v15
	v_and_b32_e32 v11, 0x1fffff, v14
                                        ; implicit-def: $vgpr14
	s_delay_alu instid0(VALU_DEP_1) | instskip(NEXT) | instid1(VALU_DEP_1)
	v_dual_add_nc_u32 v30, 14, v15 :: v_dual_add_nc_u32 v38, v11, v10
                                        ; implicit-def: $vgpr10_vgpr11
	v_cmpx_ne_u32_e32 0, v30
	s_xor_b32 s11, exec_lo, s11
; %bb.539:                              ;   in Loop: Header=BB2_129 Depth=2
	s_delay_alu instid0(VALU_DEP_2) | instskip(SKIP_1) | instid1(VALU_DEP_1)
	v_cmp_lt_u64_e32 vcc_lo, 0xffffff, v[38:39]
	v_add_nc_u32_e32 v10, 15, v15
	v_cndmask_b32_e32 v14, v30, v10, vcc_lo
	v_cndmask_b32_e64 v10, 0, 1, vcc_lo
	s_delay_alu instid0(VALU_DEP_1)
	v_lshrrev_b64 v[10:11], v10, v[38:39]
; %bb.540:                              ;   in Loop: Header=BB2_129 Depth=2
	s_and_not1_saveexec_b32 s11, s11
; %bb.541:                              ;   in Loop: Header=BB2_129 Depth=2
	v_mov_b64_e32 v[10:11], v[38:39]
	v_bfe_u32 v14, v38, 23, 1
; %bb.542:                              ;   in Loop: Header=BB2_129 Depth=2
	s_or_b32 exec_lo, exec_lo, s11
	s_delay_alu instid0(VALU_DEP_2) | instskip(NEXT) | instid1(VALU_DEP_2)
	v_lshrrev_b64 v[10:11], 21, v[10:11]
	v_cmp_gt_i32_e32 vcc_lo, 32, v14
	v_min_i32_e32 v15, 31, v14
	v_cmp_eq_u32_e64 s11, 0, v14
	s_delay_alu instid0(VALU_DEP_4) | instskip(NEXT) | instid1(VALU_DEP_3)
	v_cndmask_b32_e32 v11, 0, v11, vcc_lo
	v_dual_cndmask_b32 v10, 3, v10 :: v_dual_lshlrev_b32 v15, 2, v15
	s_delay_alu instid0(VALU_DEP_1) | instskip(NEXT) | instid1(VALU_DEP_2)
	v_and_b32_e32 v15, 0xfc, v15
	v_cmp_eq_u64_e32 vcc_lo, 0, v[10:11]
	s_delay_alu instid0(VALU_DEP_2)
	v_and_or_b32 v10, v10, 3, v15
	s_and_b32 s11, s11, vcc_lo
	s_delay_alu instid0(VALU_DEP_1) | instid1(SALU_CYCLE_1)
	v_cndmask_b32_e64 v10, v10, 0, s11
	s_delay_alu instid0(VALU_DEP_1)
	v_or_b32_e32 v30, v10, v100
.LBB2_543:                              ;   in Loop: Header=BB2_129 Depth=2
	s_or_b32 exec_lo, exec_lo, s14
                                        ; implicit-def: $vgpr100
.LBB2_544:                              ;   in Loop: Header=BB2_129 Depth=2
	s_and_not1_saveexec_b32 s11, s13
; %bb.545:                              ;   in Loop: Header=BB2_129 Depth=2
	v_or_b32_e32 v30, 0x7b, v100
; %bb.546:                              ;   in Loop: Header=BB2_129 Depth=2
	s_or_b32 exec_lo, exec_lo, s11
                                        ; implicit-def: $vgpr113
                                        ; implicit-def: $vgpr10
.LBB2_547:                              ;   in Loop: Header=BB2_129 Depth=2
	s_and_not1_saveexec_b32 s11, s12
	s_cbranch_execz .LBB2_553
; %bb.548:                              ;   in Loop: Header=BB2_129 Depth=2
	s_mov_b32 s12, exec_lo
                                        ; implicit-def: $vgpr30
	v_cmpx_ne_u64_e32 0, v[38:39]
	s_xor_b32 s12, exec_lo, s12
; %bb.549:                              ;   in Loop: Header=BB2_129 Depth=2
	v_or_b32_e32 v30, 0x7f, v10
                                        ; implicit-def: $vgpr113
; %bb.550:                              ;   in Loop: Header=BB2_129 Depth=2
	s_and_not1_saveexec_b32 s12, s12
; %bb.551:                              ;   in Loop: Header=BB2_129 Depth=2
	v_cmp_lt_i32_e32 vcc_lo, -1, v113
	v_cndmask_b32_e32 v30, 0xfc, v63, vcc_lo
; %bb.552:                              ;   in Loop: Header=BB2_129 Depth=2
	s_or_b32 exec_lo, exec_lo, s12
.LBB2_553:                              ;   in Loop: Header=BB2_129 Depth=2
	s_delay_alu instid0(SALU_CYCLE_1) | instskip(SKIP_4) | instid1(VALU_DEP_4)
	s_or_b32 exec_lo, exec_lo, s11
	v_dual_lshlrev_b32 v15, 24, v16 :: v_dual_bitop2_b32 v10, 3, v16 bitop3:0x40
	v_bfe_i32 v101, v16, 0, 8
	v_and_b32_e32 v14, 0x7c, v16
	v_and_b32_e32 v100, 0xff, v12
	v_clz_i32_u32_e32 v11, v10
	v_bfe_i32 v103, v12, 0, 8
	v_cmp_lt_i16_e32 vcc_lo, -1, v101
	v_cmp_eq_u32_e64 s11, 0x7c, v14
	v_and_or_b32 v14, v15, s28, 0x38000000
	v_min_u32_e32 v38, 32, v11
	v_bfe_u32 v11, v16, 2, 5
	v_cndmask_b32_e32 v41, 0xff800000, v62, vcc_lo
	v_cmp_eq_u32_e32 vcc_lo, 0, v10
	v_cmp_ne_u16_e64 s13, 0, v100
	v_subrev_nc_u32_e32 v113, 29, v38
	v_cmp_eq_u32_e64 s12, 0, v11
	v_dual_cndmask_b32 v15, 0x7f800001, v41 :: v_dual_sub_nc_u32 v38, 30, v38
	s_and_b32 vcc_lo, exec_lo, s44
	v_lshlrev_b64_e32 v[42:43], v113, v[16:17]
	s_mov_b32 s14, -1
                                        ; implicit-def: $vgpr113
	s_delay_alu instid0(VALU_DEP_1)
	v_and_b32_e32 v100, 3, v42
	s_cbranch_vccz .LBB2_571
; %bb.554:                              ;   in Loop: Header=BB2_129 Depth=2
	v_mov_b32_e32 v113, 0
	s_and_saveexec_b32 s14, s13
	s_cbranch_execz .LBB2_564
; %bb.555:                              ;   in Loop: Header=BB2_129 Depth=2
	v_bfrev_b32_e32 v113, 1
	s_mov_b32 s15, exec_lo
	v_cmpx_ne_u16_e32 0xff80, v103
	s_cbranch_execz .LBB2_563
; %bb.556:                              ;   in Loop: Header=BB2_129 Depth=2
	v_and_b32_e32 v113, 0x7c, v12
	v_and_b32_e32 v41, 3, v12
	s_delay_alu instid0(VALU_DEP_2) | instskip(SKIP_1) | instid1(SALU_CYCLE_1)
	v_cmp_ne_u32_e32 vcc_lo, 0x7c, v113
                                        ; implicit-def: $vgpr113
	s_and_saveexec_b32 s45, vcc_lo
	s_xor_b32 s45, exec_lo, s45
	s_cbranch_execz .LBB2_560
; %bb.557:                              ;   in Loop: Header=BB2_129 Depth=2
	v_bfe_u32 v113, v12, 2, 5
	s_mov_b32 s46, exec_lo
	s_delay_alu instid0(VALU_DEP_1)
	v_cmpx_eq_u32_e32 0, v113
; %bb.558:                              ;   in Loop: Header=BB2_129 Depth=2
	v_clz_i32_u32_e32 v113, v41
	s_delay_alu instid0(VALU_DEP_1) | instskip(NEXT) | instid1(VALU_DEP_1)
	v_min_u32_e32 v113, 32, v113
	v_subrev_nc_u32_e32 v41, 29, v113
	s_delay_alu instid0(VALU_DEP_1) | instskip(NEXT) | instid1(VALU_DEP_1)
	v_lshlrev_b64_e32 v[42:43], v41, v[12:13]
	v_dual_sub_nc_u32 v113, 30, v113 :: v_dual_bitop2_b32 v41, 3, v42 bitop3:0x40
; %bb.559:                              ;   in Loop: Header=BB2_129 Depth=2
	s_or_b32 exec_lo, exec_lo, s46
	v_lshlrev_b32_e32 v42, 24, v12
	s_delay_alu instid0(VALU_DEP_1) | instskip(NEXT) | instid1(VALU_DEP_1)
	v_and_b32_e32 v42, 0x80000000, v42
	v_lshl_add_u32 v113, v113, 23, v42
	s_delay_alu instid0(VALU_DEP_1) | instskip(NEXT) | instid1(VALU_DEP_1)
	v_lshl_or_b32 v113, v41, 21, v113
                                        ; implicit-def: $vgpr41
	v_add_nc_u32_e32 v113, 0x38000000, v113
.LBB2_560:                              ;   in Loop: Header=BB2_129 Depth=2
	s_and_not1_saveexec_b32 s45, s45
; %bb.561:                              ;   in Loop: Header=BB2_129 Depth=2
	v_cmp_lt_i16_e32 vcc_lo, -1, v103
	v_cndmask_b32_e32 v113, 0xff800000, v62, vcc_lo
	v_cmp_eq_u32_e32 vcc_lo, 0, v41
	s_delay_alu instid0(VALU_DEP_2)
	v_cndmask_b32_e32 v113, 0x7f800001, v113, vcc_lo
; %bb.562:                              ;   in Loop: Header=BB2_129 Depth=2
	s_or_b32 exec_lo, exec_lo, s45
.LBB2_563:                              ;   in Loop: Header=BB2_129 Depth=2
	s_delay_alu instid0(SALU_CYCLE_1)
	s_or_b32 exec_lo, exec_lo, s15
.LBB2_564:                              ;   in Loop: Header=BB2_129 Depth=2
	s_delay_alu instid0(SALU_CYCLE_1) | instskip(SKIP_3) | instid1(VALU_DEP_1)
	s_or_b32 exec_lo, exec_lo, s14
	v_and_b32_e32 v42, 0xff, v101
	s_mov_b32 s14, 0
	s_mov_b32 s15, exec_lo
	v_cmpx_lt_i16_e32 0x7f, v42
	s_xor_b32 s15, exec_lo, s15
	s_cbranch_execz .LBB2_1000
; %bb.565:                              ;   in Loop: Header=BB2_129 Depth=2
	s_mov_b32 s14, -1
	s_mov_b32 s45, exec_lo
	v_cmpx_eq_u16_e32 0x80, v42
; %bb.566:                              ;   in Loop: Header=BB2_129 Depth=2
	s_xor_b32 s14, exec_lo, -1
; %bb.567:                              ;   in Loop: Header=BB2_129 Depth=2
	s_or_b32 exec_lo, exec_lo, s45
	s_delay_alu instid0(SALU_CYCLE_1)
	s_and_b32 s14, s14, exec_lo
                                        ; implicit-def: $vgpr42
	s_or_saveexec_b32 s15, s15
	v_bfrev_b32_e32 v41, 1
	s_xor_b32 exec_lo, exec_lo, s15
	s_cbranch_execnz .LBB2_1001
.LBB2_568:                              ;   in Loop: Header=BB2_129 Depth=2
	s_or_b32 exec_lo, exec_lo, s15
	s_and_saveexec_b32 s15, s14
.LBB2_569:                              ;   in Loop: Header=BB2_129 Depth=2
	v_dual_cndmask_b32 v41, v11, v38, s12 :: v_dual_cndmask_b32 v42, v10, v100, s12
	s_delay_alu instid0(VALU_DEP_1) | instskip(NEXT) | instid1(VALU_DEP_1)
	v_lshl_add_u32 v41, v41, 23, v14
	v_lshl_or_b32 v41, v42, 21, v41
	s_delay_alu instid0(VALU_DEP_1)
	v_cndmask_b32_e64 v41, v41, v15, s11
.LBB2_570:                              ;   in Loop: Header=BB2_129 Depth=2
	s_or_b32 exec_lo, exec_lo, s15
	s_delay_alu instid0(VALU_DEP_1) | instskip(SKIP_2) | instid1(VALU_DEP_1)
	v_max_num_f32_e32 v41, v41, v41
	v_max_num_f32_e32 v113, v113, v113
	s_mov_b32 s14, 0
	v_max_num_f32_e32 v113, v113, v41
.LBB2_571:                              ;   in Loop: Header=BB2_129 Depth=2
	s_and_b32 vcc_lo, exec_lo, s14
	s_cbranch_vccz .LBB2_589
; %bb.572:                              ;   in Loop: Header=BB2_129 Depth=2
	v_mov_b32_e32 v113, 0
	s_and_saveexec_b32 s14, s13
	s_cbranch_execz .LBB2_582
; %bb.573:                              ;   in Loop: Header=BB2_129 Depth=2
	v_bfrev_b32_e32 v113, 1
	s_mov_b32 s13, exec_lo
	v_cmpx_ne_u16_e32 0xff80, v103
	s_cbranch_execz .LBB2_581
; %bb.574:                              ;   in Loop: Header=BB2_129 Depth=2
	v_and_b32_e32 v113, 0x7c, v12
	v_and_b32_e32 v41, 3, v12
	s_delay_alu instid0(VALU_DEP_2) | instskip(SKIP_1) | instid1(SALU_CYCLE_1)
	v_cmp_ne_u32_e32 vcc_lo, 0x7c, v113
                                        ; implicit-def: $vgpr113
	s_and_saveexec_b32 s15, vcc_lo
	s_xor_b32 s15, exec_lo, s15
	s_cbranch_execz .LBB2_578
; %bb.575:                              ;   in Loop: Header=BB2_129 Depth=2
	v_bfe_u32 v103, v12, 2, 5
	s_mov_b32 s45, exec_lo
	s_delay_alu instid0(VALU_DEP_1)
	v_cmpx_eq_u32_e32 0, v103
; %bb.576:                              ;   in Loop: Header=BB2_129 Depth=2
	v_clz_i32_u32_e32 v103, v41
	s_delay_alu instid0(VALU_DEP_1) | instskip(NEXT) | instid1(VALU_DEP_1)
	v_min_u32_e32 v103, 32, v103
	v_subrev_nc_u32_e32 v113, 29, v103
	s_delay_alu instid0(VALU_DEP_1) | instskip(NEXT) | instid1(VALU_DEP_1)
	v_lshlrev_b64_e32 v[42:43], v113, v[12:13]
	v_dual_sub_nc_u32 v103, 30, v103 :: v_dual_bitop2_b32 v41, 3, v42 bitop3:0x40
; %bb.577:                              ;   in Loop: Header=BB2_129 Depth=2
	s_or_b32 exec_lo, exec_lo, s45
	v_lshlrev_b32_e32 v113, 24, v12
	s_delay_alu instid0(VALU_DEP_1) | instskip(NEXT) | instid1(VALU_DEP_1)
	v_and_b32_e32 v113, 0x80000000, v113
	v_lshl_add_u32 v103, v103, 23, v113
	s_delay_alu instid0(VALU_DEP_1) | instskip(NEXT) | instid1(VALU_DEP_1)
	v_lshl_or_b32 v103, v41, 21, v103
                                        ; implicit-def: $vgpr41
	v_add_nc_u32_e32 v113, 0x38000000, v103
                                        ; implicit-def: $vgpr103
.LBB2_578:                              ;   in Loop: Header=BB2_129 Depth=2
	s_and_not1_saveexec_b32 s15, s15
; %bb.579:                              ;   in Loop: Header=BB2_129 Depth=2
	v_cmp_lt_i16_e32 vcc_lo, -1, v103
	v_cndmask_b32_e32 v103, 0xff800000, v62, vcc_lo
	v_cmp_eq_u32_e32 vcc_lo, 0, v41
	s_delay_alu instid0(VALU_DEP_2)
	v_cndmask_b32_e32 v113, 0x7f800001, v103, vcc_lo
; %bb.580:                              ;   in Loop: Header=BB2_129 Depth=2
	s_or_b32 exec_lo, exec_lo, s15
.LBB2_581:                              ;   in Loop: Header=BB2_129 Depth=2
	s_delay_alu instid0(SALU_CYCLE_1)
	s_or_b32 exec_lo, exec_lo, s13
.LBB2_582:                              ;   in Loop: Header=BB2_129 Depth=2
	s_delay_alu instid0(SALU_CYCLE_1) | instskip(SKIP_3) | instid1(VALU_DEP_1)
	s_or_b32 exec_lo, exec_lo, s14
	v_and_b32_e32 v103, 0xff, v101
	s_mov_b32 s13, 0
	s_mov_b32 s14, exec_lo
	v_cmpx_lt_i16_e32 0x7f, v103
	s_xor_b32 s14, exec_lo, s14
	s_cbranch_execz .LBB2_1002
; %bb.583:                              ;   in Loop: Header=BB2_129 Depth=2
	s_mov_b32 s13, -1
	s_mov_b32 s15, exec_lo
	v_cmpx_eq_u16_e32 0x80, v103
; %bb.584:                              ;   in Loop: Header=BB2_129 Depth=2
	s_xor_b32 s13, exec_lo, -1
; %bb.585:                              ;   in Loop: Header=BB2_129 Depth=2
	s_or_b32 exec_lo, exec_lo, s15
	s_delay_alu instid0(SALU_CYCLE_1)
	s_and_b32 s13, s13, exec_lo
                                        ; implicit-def: $vgpr103
	s_or_saveexec_b32 s14, s14
	v_bfrev_b32_e32 v101, 1
	s_xor_b32 exec_lo, exec_lo, s14
	s_cbranch_execnz .LBB2_1003
.LBB2_586:                              ;   in Loop: Header=BB2_129 Depth=2
	s_or_b32 exec_lo, exec_lo, s14
	s_and_saveexec_b32 s14, s13
.LBB2_587:                              ;   in Loop: Header=BB2_129 Depth=2
	v_dual_cndmask_b32 v11, v11, v38, s12 :: v_dual_cndmask_b32 v10, v10, v100, s12
	s_delay_alu instid0(VALU_DEP_1) | instskip(NEXT) | instid1(VALU_DEP_1)
	v_lshl_add_u32 v11, v11, 23, v14
	v_lshl_or_b32 v10, v10, 21, v11
	s_delay_alu instid0(VALU_DEP_1)
	v_cndmask_b32_e64 v101, v10, v15, s11
.LBB2_588:                              ;   in Loop: Header=BB2_129 Depth=2
	s_or_b32 exec_lo, exec_lo, s14
	s_delay_alu instid0(VALU_DEP_1) | instskip(SKIP_1) | instid1(VALU_DEP_1)
	v_max_num_f32_e32 v10, v101, v101
	v_max_num_f32_e32 v11, v113, v113
	v_min_num_f32_e32 v113, v11, v10
.LBB2_589:                              ;   in Loop: Header=BB2_129 Depth=2
	s_delay_alu instid0(VALU_DEP_1) | instskip(SKIP_2) | instid1(VALU_DEP_2)
	v_and_b32_e32 v10, 0x7f800000, v113
	v_mov_b32_e32 v11, v39
	v_and_b32_e32 v38, 0x7fffff, v113
                                        ; implicit-def: $vgpr103
	v_cmp_ne_u64_e32 vcc_lo, 0x7f800000, v[10:11]
	v_lshrrev_b32_e32 v10, 24, v113
	s_and_saveexec_b32 s11, vcc_lo
	s_delay_alu instid0(SALU_CYCLE_1)
	s_xor_b32 s12, exec_lo, s11
	s_cbranch_execz .LBB2_603
; %bb.590:                              ;   in Loop: Header=BB2_129 Depth=2
	v_and_b32_e32 v14, 0x7fffffff, v113
	v_mov_b32_e32 v15, v39
	v_and_b32_e32 v100, 0x80, v10
                                        ; implicit-def: $vgpr103
	s_mov_b32 s11, exec_lo
	s_delay_alu instid0(VALU_DEP_2)
	v_cmpx_gt_u64_e32 0x47600001, v[14:15]
	s_xor_b32 s13, exec_lo, s11
	s_cbranch_execz .LBB2_600
; %bb.591:                              ;   in Loop: Header=BB2_129 Depth=2
	v_mov_b32_e32 v103, 0
	s_mov_b32 s14, exec_lo
	v_cmpx_ne_u32_e32 0, v113
	s_cbranch_execz .LBB2_599
; %bb.592:                              ;   in Loop: Header=BB2_129 Depth=2
	v_bfe_u32 v101, v113, 23, 8
	v_or_b32_e32 v14, 0x800000, v38
	s_delay_alu instid0(VALU_DEP_2) | instskip(SKIP_1) | instid1(VALU_DEP_2)
	v_sub_nc_u32_e32 v10, 0x71, v101
	v_cmp_gt_u32_e32 vcc_lo, 0x72, v101
	v_cndmask_b32_e32 v10, 0, v10, vcc_lo
	v_cmp_eq_u32_e32 vcc_lo, 0, v101
	s_delay_alu instid0(VALU_DEP_2) | instskip(NEXT) | instid1(VALU_DEP_1)
	v_cndmask_b32_e64 v103, v10, 0x70, vcc_lo
	v_dual_cndmask_b32 v38, v14, v38, vcc_lo :: v_dual_add_nc_u32 v10, 21, v103
	v_add_nc_u32_e32 v15, 20, v103
	s_delay_alu instid0(VALU_DEP_2) | instskip(NEXT) | instid1(VALU_DEP_2)
	v_lshlrev_b64_e64 v[10:11], v10, -1
	v_lshlrev_b64_e64 v[14:15], v15, 1
	s_delay_alu instid0(VALU_DEP_2) | instskip(NEXT) | instid1(VALU_DEP_3)
	v_bfi_b32 v43, v11, 0, 0
	v_bfi_b32 v42, v10, 0, v38
	v_lshrrev_b64 v[10:11], v103, v[38:39]
	s_delay_alu instid0(VALU_DEP_2) | instskip(NEXT) | instid1(VALU_DEP_2)
	v_cmp_eq_u64_e64 s11, v[42:43], v[14:15]
	v_mov_b64_e32 v[14:15], v[10:11]
	s_and_saveexec_b32 s15, s11
; %bb.593:                              ;   in Loop: Header=BB2_129 Depth=2
	v_bfe_u32 v38, v10, 21, 1
	s_delay_alu instid0(VALU_DEP_1) | instskip(NEXT) | instid1(VALU_DEP_1)
	v_add_nc_u64_e32 v[14:15], v[10:11], v[38:39]
	v_add_nc_u64_e32 v[14:15], -1, v[14:15]
; %bb.594:                              ;   in Loop: Header=BB2_129 Depth=2
	s_or_b32 exec_lo, exec_lo, s15
	v_add_nc_u32_e32 v11, 0xffffff81, v101
	v_lshrrev_b32_e32 v15, 23, v10
	s_mov_b32 s11, exec_lo
	s_delay_alu instid0(VALU_DEP_2) | instskip(NEXT) | instid1(VALU_DEP_1)
	v_cndmask_b32_e64 v11, v11, 0xffffff82, vcc_lo
	v_add3_u32 v15, v103, v11, v15
	v_and_b32_e32 v11, 0x1fffff, v14
                                        ; implicit-def: $vgpr14
	s_delay_alu instid0(VALU_DEP_1) | instskip(NEXT) | instid1(VALU_DEP_1)
	v_dual_add_nc_u32 v101, 14, v15 :: v_dual_add_nc_u32 v38, v11, v10
                                        ; implicit-def: $vgpr10_vgpr11
	v_cmpx_ne_u32_e32 0, v101
	s_xor_b32 s11, exec_lo, s11
; %bb.595:                              ;   in Loop: Header=BB2_129 Depth=2
	s_delay_alu instid0(VALU_DEP_2) | instskip(SKIP_1) | instid1(VALU_DEP_1)
	v_cmp_lt_u64_e32 vcc_lo, 0xffffff, v[38:39]
	v_add_nc_u32_e32 v10, 15, v15
	v_cndmask_b32_e32 v14, v101, v10, vcc_lo
	v_cndmask_b32_e64 v10, 0, 1, vcc_lo
	s_delay_alu instid0(VALU_DEP_1)
	v_lshrrev_b64 v[10:11], v10, v[38:39]
; %bb.596:                              ;   in Loop: Header=BB2_129 Depth=2
	s_and_not1_saveexec_b32 s11, s11
; %bb.597:                              ;   in Loop: Header=BB2_129 Depth=2
	v_mov_b64_e32 v[10:11], v[38:39]
	v_bfe_u32 v14, v38, 23, 1
; %bb.598:                              ;   in Loop: Header=BB2_129 Depth=2
	s_or_b32 exec_lo, exec_lo, s11
	s_delay_alu instid0(VALU_DEP_2) | instskip(NEXT) | instid1(VALU_DEP_2)
	v_lshrrev_b64 v[10:11], 21, v[10:11]
	v_cmp_gt_i32_e32 vcc_lo, 32, v14
	v_min_i32_e32 v15, 31, v14
	v_cmp_eq_u32_e64 s11, 0, v14
	s_delay_alu instid0(VALU_DEP_4) | instskip(NEXT) | instid1(VALU_DEP_3)
	v_cndmask_b32_e32 v11, 0, v11, vcc_lo
	v_dual_cndmask_b32 v10, 3, v10 :: v_dual_lshlrev_b32 v15, 2, v15
	s_delay_alu instid0(VALU_DEP_1) | instskip(NEXT) | instid1(VALU_DEP_2)
	v_and_b32_e32 v15, 0xfc, v15
	v_cmp_eq_u64_e32 vcc_lo, 0, v[10:11]
	s_delay_alu instid0(VALU_DEP_2)
	v_and_or_b32 v10, v10, 3, v15
	s_and_b32 s11, s11, vcc_lo
	s_delay_alu instid0(VALU_DEP_1) | instid1(SALU_CYCLE_1)
	v_cndmask_b32_e64 v10, v10, 0, s11
	s_delay_alu instid0(VALU_DEP_1)
	v_or_b32_e32 v103, v10, v100
.LBB2_599:                              ;   in Loop: Header=BB2_129 Depth=2
	s_or_b32 exec_lo, exec_lo, s14
                                        ; implicit-def: $vgpr100
.LBB2_600:                              ;   in Loop: Header=BB2_129 Depth=2
	s_and_not1_saveexec_b32 s11, s13
; %bb.601:                              ;   in Loop: Header=BB2_129 Depth=2
	v_or_b32_e32 v103, 0x7b, v100
; %bb.602:                              ;   in Loop: Header=BB2_129 Depth=2
	s_or_b32 exec_lo, exec_lo, s11
                                        ; implicit-def: $vgpr113
                                        ; implicit-def: $vgpr10
.LBB2_603:                              ;   in Loop: Header=BB2_129 Depth=2
	s_and_not1_saveexec_b32 s11, s12
	s_cbranch_execz .LBB2_609
; %bb.604:                              ;   in Loop: Header=BB2_129 Depth=2
	s_mov_b32 s12, exec_lo
                                        ; implicit-def: $vgpr103
	v_cmpx_ne_u64_e32 0, v[38:39]
	s_xor_b32 s12, exec_lo, s12
; %bb.605:                              ;   in Loop: Header=BB2_129 Depth=2
	v_or_b32_e32 v103, 0x7f, v10
                                        ; implicit-def: $vgpr113
; %bb.606:                              ;   in Loop: Header=BB2_129 Depth=2
	s_and_not1_saveexec_b32 s12, s12
; %bb.607:                              ;   in Loop: Header=BB2_129 Depth=2
	v_cmp_lt_i32_e32 vcc_lo, -1, v113
	v_cndmask_b32_e32 v103, 0xfc, v63, vcc_lo
; %bb.608:                              ;   in Loop: Header=BB2_129 Depth=2
	s_or_b32 exec_lo, exec_lo, s12
.LBB2_609:                              ;   in Loop: Header=BB2_129 Depth=2
	s_delay_alu instid0(SALU_CYCLE_1) | instskip(SKIP_3) | instid1(VALU_DEP_2)
	s_or_b32 exec_lo, exec_lo, s11
	v_lshrrev_b16 v38, 8, v16
	v_cmp_lt_i16_e32 vcc_lo, -1, v16
	s_mov_b32 s14, -1
	v_and_b32_e32 v11, 0xffff, v38
	v_cndmask_b32_e32 v101, 0xff800000, v62, vcc_lo
	s_delay_alu instid0(VALU_DEP_2) | instskip(SKIP_2) | instid1(VALU_DEP_3)
	v_dual_lshlrev_b32 v100, 24, v38 :: v_dual_bitop2_b32 v14, 3, v11 bitop3:0x40
	v_and_b32_e32 v43, 0x7c, v11
	v_bfe_u32 v15, v11, 2, 5
                                        ; implicit-def: $vgpr11
	v_and_or_b32 v100, v100, s28, 0x38000000
	s_delay_alu instid0(VALU_DEP_4) | instskip(SKIP_3) | instid1(VALU_DEP_4)
	v_clz_i32_u32_e32 v10, v14
	v_cmp_eq_u32_e32 vcc_lo, 0, v14
	v_cmp_eq_u32_e64 s11, 0x7c, v43
	v_cmp_eq_u32_e64 s12, 0, v15
	v_min_u32_e32 v113, 32, v10
	v_lshrrev_b16 v10, 8, v12
	v_cndmask_b32_e32 v101, 0x7f800001, v101, vcc_lo
	s_and_b32 vcc_lo, exec_lo, s44
	s_delay_alu instid0(VALU_DEP_3) | instskip(NEXT) | instid1(VALU_DEP_3)
	v_subrev_nc_u32_e32 v41, 29, v113
	v_and_b32_e32 v42, 0xffff, v10
	v_cmp_ne_u16_e64 s13, 0, v10
	s_delay_alu instid0(VALU_DEP_3) | instskip(NEXT) | instid1(VALU_DEP_1)
	v_lshlrev_b64_e32 v[44:45], v41, v[38:39]
	v_dual_sub_nc_u32 v113, 30, v113 :: v_dual_bitop2_b32 v41, 3, v44 bitop3:0x40
	s_cbranch_vccz .LBB2_627
; %bb.610:                              ;   in Loop: Header=BB2_129 Depth=2
	v_mov_b32_e32 v11, 0
	s_and_saveexec_b32 s14, s13
	s_cbranch_execz .LBB2_620
; %bb.611:                              ;   in Loop: Header=BB2_129 Depth=2
	v_bfrev_b32_e32 v11, 1
	s_mov_b32 s15, exec_lo
	v_cmpx_ne_u16_e32 0x80, v10
	s_cbranch_execz .LBB2_619
; %bb.612:                              ;   in Loop: Header=BB2_129 Depth=2
	v_and_b32_e32 v11, 0x7c, v42
	v_and_b32_e32 v43, 3, v42
	s_delay_alu instid0(VALU_DEP_2) | instskip(SKIP_1) | instid1(SALU_CYCLE_1)
	v_cmp_ne_u32_e32 vcc_lo, 0x7c, v11
                                        ; implicit-def: $vgpr11
	s_and_saveexec_b32 s45, vcc_lo
	s_xor_b32 s45, exec_lo, s45
	s_cbranch_execz .LBB2_616
; %bb.613:                              ;   in Loop: Header=BB2_129 Depth=2
	v_bfe_u32 v11, v42, 2, 5
	s_mov_b32 s46, exec_lo
	s_delay_alu instid0(VALU_DEP_1)
	v_cmpx_eq_u32_e32 0, v11
; %bb.614:                              ;   in Loop: Header=BB2_129 Depth=2
	v_clz_i32_u32_e32 v11, v43
	s_delay_alu instid0(VALU_DEP_1) | instskip(SKIP_1) | instid1(VALU_DEP_2)
	v_min_u32_e32 v43, 32, v11
	v_mov_b32_e32 v11, v39
	v_subrev_nc_u32_e32 v44, 29, v43
	s_delay_alu instid0(VALU_DEP_1) | instskip(NEXT) | instid1(VALU_DEP_1)
	v_lshlrev_b64_e32 v[44:45], v44, v[10:11]
	v_dual_sub_nc_u32 v11, 30, v43 :: v_dual_bitop2_b32 v43, 3, v44 bitop3:0x40
; %bb.615:                              ;   in Loop: Header=BB2_129 Depth=2
	s_or_b32 exec_lo, exec_lo, s46
	v_lshlrev_b32_e32 v44, 16, v12
	s_delay_alu instid0(VALU_DEP_1) | instskip(NEXT) | instid1(VALU_DEP_1)
	v_and_b32_e32 v44, 0x80000000, v44
	v_lshl_add_u32 v11, v11, 23, v44
	s_delay_alu instid0(VALU_DEP_1) | instskip(NEXT) | instid1(VALU_DEP_1)
	v_lshl_or_b32 v11, v43, 21, v11
                                        ; implicit-def: $vgpr43
	v_add_nc_u32_e32 v11, 0x38000000, v11
.LBB2_616:                              ;   in Loop: Header=BB2_129 Depth=2
	s_and_not1_saveexec_b32 s45, s45
; %bb.617:                              ;   in Loop: Header=BB2_129 Depth=2
	v_cmp_lt_i16_e32 vcc_lo, -1, v12
	v_cndmask_b32_e32 v11, 0xff800000, v62, vcc_lo
	v_cmp_eq_u32_e32 vcc_lo, 0, v43
	s_delay_alu instid0(VALU_DEP_2)
	v_cndmask_b32_e32 v11, 0x7f800001, v11, vcc_lo
; %bb.618:                              ;   in Loop: Header=BB2_129 Depth=2
	s_or_b32 exec_lo, exec_lo, s45
.LBB2_619:                              ;   in Loop: Header=BB2_129 Depth=2
	s_delay_alu instid0(SALU_CYCLE_1)
	s_or_b32 exec_lo, exec_lo, s15
.LBB2_620:                              ;   in Loop: Header=BB2_129 Depth=2
	s_delay_alu instid0(SALU_CYCLE_1)
	s_or_b32 exec_lo, exec_lo, s14
	s_mov_b32 s14, 0
	s_mov_b32 s15, exec_lo
	v_cmpx_lt_i16_e32 0x7f, v38
	s_xor_b32 s15, exec_lo, s15
	s_cbranch_execz .LBB2_1004
; %bb.621:                              ;   in Loop: Header=BB2_129 Depth=2
	s_mov_b32 s14, -1
	s_mov_b32 s45, exec_lo
	v_cmpx_eq_u16_e32 0x80, v38
; %bb.622:                              ;   in Loop: Header=BB2_129 Depth=2
	s_xor_b32 s14, exec_lo, -1
; %bb.623:                              ;   in Loop: Header=BB2_129 Depth=2
	s_or_b32 exec_lo, exec_lo, s45
	s_delay_alu instid0(SALU_CYCLE_1)
	s_and_b32 s14, s14, exec_lo
	s_or_saveexec_b32 s15, s15
	v_bfrev_b32_e32 v43, 1
	s_xor_b32 exec_lo, exec_lo, s15
	s_cbranch_execnz .LBB2_1005
.LBB2_624:                              ;   in Loop: Header=BB2_129 Depth=2
	s_or_b32 exec_lo, exec_lo, s15
	s_and_saveexec_b32 s15, s14
.LBB2_625:                              ;   in Loop: Header=BB2_129 Depth=2
	v_cndmask_b32_e64 v43, v15, v113, s12
	v_cndmask_b32_e64 v44, v14, v41, s12
	s_delay_alu instid0(VALU_DEP_2) | instskip(NEXT) | instid1(VALU_DEP_1)
	v_lshl_add_u32 v43, v43, 23, v100
	v_lshl_or_b32 v43, v44, 21, v43
	s_delay_alu instid0(VALU_DEP_1)
	v_cndmask_b32_e64 v43, v43, v101, s11
.LBB2_626:                              ;   in Loop: Header=BB2_129 Depth=2
	s_or_b32 exec_lo, exec_lo, s15
	s_delay_alu instid0(VALU_DEP_1) | instskip(SKIP_2) | instid1(VALU_DEP_1)
	v_max_num_f32_e32 v43, v43, v43
	v_max_num_f32_e32 v11, v11, v11
	s_mov_b32 s14, 0
	v_max_num_f32_e32 v11, v11, v43
.LBB2_627:                              ;   in Loop: Header=BB2_129 Depth=2
	s_and_b32 vcc_lo, exec_lo, s14
	s_cbranch_vccz .LBB2_645
; %bb.628:                              ;   in Loop: Header=BB2_129 Depth=2
	v_mov_b32_e32 v11, 0
	s_and_saveexec_b32 s14, s13
	s_cbranch_execz .LBB2_638
; %bb.629:                              ;   in Loop: Header=BB2_129 Depth=2
	v_bfrev_b32_e32 v11, 1
	s_mov_b32 s13, exec_lo
	v_cmpx_ne_u16_e32 0x80, v10
	s_cbranch_execz .LBB2_637
; %bb.630:                              ;   in Loop: Header=BB2_129 Depth=2
	v_and_b32_e32 v11, 0x7c, v42
	v_and_b32_e32 v43, 3, v42
	s_delay_alu instid0(VALU_DEP_2) | instskip(SKIP_1) | instid1(SALU_CYCLE_1)
	v_cmp_ne_u32_e32 vcc_lo, 0x7c, v11
                                        ; implicit-def: $vgpr11
	s_and_saveexec_b32 s15, vcc_lo
	s_xor_b32 s15, exec_lo, s15
	s_cbranch_execz .LBB2_634
; %bb.631:                              ;   in Loop: Header=BB2_129 Depth=2
	v_bfe_u32 v11, v42, 2, 5
	s_mov_b32 s45, exec_lo
	s_delay_alu instid0(VALU_DEP_1)
	v_cmpx_eq_u32_e32 0, v11
	s_cbranch_execz .LBB2_633
; %bb.632:                              ;   in Loop: Header=BB2_129 Depth=2
	v_clz_i32_u32_e32 v11, v43
	s_delay_alu instid0(VALU_DEP_1) | instskip(SKIP_1) | instid1(VALU_DEP_2)
	v_min_u32_e32 v42, 32, v11
	v_mov_b32_e32 v11, v39
	v_subrev_nc_u32_e32 v43, 29, v42
	s_delay_alu instid0(VALU_DEP_1) | instskip(SKIP_1) | instid1(VALU_DEP_2)
	v_lshlrev_b64_e32 v[10:11], v43, v[10:11]
	v_sub_nc_u32_e32 v11, 30, v42
	v_and_b32_e32 v43, 3, v10
.LBB2_633:                              ;   in Loop: Header=BB2_129 Depth=2
	s_or_b32 exec_lo, exec_lo, s45
	v_lshlrev_b32_e32 v10, 16, v12
	s_delay_alu instid0(VALU_DEP_1) | instskip(NEXT) | instid1(VALU_DEP_1)
	v_and_b32_e32 v10, 0x80000000, v10
	v_lshl_add_u32 v10, v11, 23, v10
	s_delay_alu instid0(VALU_DEP_1) | instskip(NEXT) | instid1(VALU_DEP_1)
	v_lshl_or_b32 v10, v43, 21, v10
                                        ; implicit-def: $vgpr43
	v_add_nc_u32_e32 v11, 0x38000000, v10
.LBB2_634:                              ;   in Loop: Header=BB2_129 Depth=2
	s_and_not1_saveexec_b32 s15, s15
; %bb.635:                              ;   in Loop: Header=BB2_129 Depth=2
	v_cmp_lt_i16_e32 vcc_lo, -1, v12
	v_cndmask_b32_e32 v10, 0xff800000, v62, vcc_lo
	v_cmp_eq_u32_e32 vcc_lo, 0, v43
	s_delay_alu instid0(VALU_DEP_2)
	v_cndmask_b32_e32 v11, 0x7f800001, v10, vcc_lo
; %bb.636:                              ;   in Loop: Header=BB2_129 Depth=2
	s_or_b32 exec_lo, exec_lo, s15
.LBB2_637:                              ;   in Loop: Header=BB2_129 Depth=2
	s_delay_alu instid0(SALU_CYCLE_1)
	s_or_b32 exec_lo, exec_lo, s13
.LBB2_638:                              ;   in Loop: Header=BB2_129 Depth=2
	s_delay_alu instid0(SALU_CYCLE_1)
	s_or_b32 exec_lo, exec_lo, s14
	s_mov_b32 s13, 0
	s_mov_b32 s14, exec_lo
	v_cmpx_lt_i16_e32 0x7f, v38
	s_xor_b32 s14, exec_lo, s14
	s_cbranch_execz .LBB2_1006
; %bb.639:                              ;   in Loop: Header=BB2_129 Depth=2
	s_mov_b32 s13, -1
	s_mov_b32 s15, exec_lo
	v_cmpx_eq_u16_e32 0x80, v38
; %bb.640:                              ;   in Loop: Header=BB2_129 Depth=2
	s_xor_b32 s13, exec_lo, -1
; %bb.641:                              ;   in Loop: Header=BB2_129 Depth=2
	s_or_b32 exec_lo, exec_lo, s15
	s_delay_alu instid0(SALU_CYCLE_1)
	s_and_b32 s13, s13, exec_lo
	s_or_saveexec_b32 s14, s14
	v_bfrev_b32_e32 v10, 1
	s_xor_b32 exec_lo, exec_lo, s14
	s_cbranch_execnz .LBB2_1007
.LBB2_642:                              ;   in Loop: Header=BB2_129 Depth=2
	s_or_b32 exec_lo, exec_lo, s14
	s_and_saveexec_b32 s14, s13
.LBB2_643:                              ;   in Loop: Header=BB2_129 Depth=2
	v_cndmask_b32_e64 v10, v15, v113, s12
	v_cndmask_b32_e64 v14, v14, v41, s12
	s_delay_alu instid0(VALU_DEP_2) | instskip(NEXT) | instid1(VALU_DEP_1)
	v_lshl_add_u32 v10, v10, 23, v100
	v_lshl_or_b32 v10, v14, 21, v10
	s_delay_alu instid0(VALU_DEP_1)
	v_cndmask_b32_e64 v10, v10, v101, s11
.LBB2_644:                              ;   in Loop: Header=BB2_129 Depth=2
	s_or_b32 exec_lo, exec_lo, s14
	s_delay_alu instid0(VALU_DEP_1) | instskip(NEXT) | instid1(VALU_DEP_1)
	v_dual_max_num_f32 v10, v10, v10 :: v_dual_max_num_f32 v11, v11, v11
	v_min_num_f32_e32 v11, v11, v10
.LBB2_645:                              ;   in Loop: Header=BB2_129 Depth=2
	s_delay_alu instid0(VALU_DEP_1) | instskip(SKIP_3) | instid1(VALU_DEP_2)
	v_and_b32_e32 v14, 0x7f800000, v11
	v_dual_mov_b32 v15, v39 :: v_dual_lshrrev_b32 v10, 24, v11
	v_and_b32_e32 v38, 0x7fffff, v11
                                        ; implicit-def: $vgpr113
	s_mov_b32 s11, exec_lo
	v_cmpx_ne_u64_e32 0x7f800000, v[14:15]
	s_xor_b32 s12, exec_lo, s11
	s_cbranch_execz .LBB2_659
; %bb.646:                              ;   in Loop: Header=BB2_129 Depth=2
	v_and_b32_e32 v14, 0x7fffffff, v11
	v_mov_b32_e32 v15, v39
	v_and_b32_e32 v100, 0x80, v10
                                        ; implicit-def: $vgpr113
	s_mov_b32 s11, exec_lo
	s_delay_alu instid0(VALU_DEP_2)
	v_cmpx_gt_u64_e32 0x47600001, v[14:15]
	s_xor_b32 s13, exec_lo, s11
	s_cbranch_execz .LBB2_656
; %bb.647:                              ;   in Loop: Header=BB2_129 Depth=2
	v_mov_b32_e32 v113, 0
	s_mov_b32 s14, exec_lo
	v_cmpx_ne_u32_e32 0, v11
	s_cbranch_execz .LBB2_655
; %bb.648:                              ;   in Loop: Header=BB2_129 Depth=2
	v_bfe_u32 v101, v11, 23, 8
	v_or_b32_e32 v14, 0x800000, v38
	s_delay_alu instid0(VALU_DEP_2) | instskip(SKIP_1) | instid1(VALU_DEP_2)
	v_sub_nc_u32_e32 v10, 0x71, v101
	v_cmp_gt_u32_e32 vcc_lo, 0x72, v101
	v_cndmask_b32_e32 v10, 0, v10, vcc_lo
	v_cmp_eq_u32_e32 vcc_lo, 0, v101
	s_delay_alu instid0(VALU_DEP_2) | instskip(NEXT) | instid1(VALU_DEP_1)
	v_cndmask_b32_e64 v113, v10, 0x70, vcc_lo
	v_dual_cndmask_b32 v38, v14, v38, vcc_lo :: v_dual_add_nc_u32 v10, 21, v113
	v_add_nc_u32_e32 v15, 20, v113
	s_delay_alu instid0(VALU_DEP_2) | instskip(NEXT) | instid1(VALU_DEP_2)
	v_lshlrev_b64_e64 v[10:11], v10, -1
	v_lshlrev_b64_e64 v[14:15], v15, 1
	s_delay_alu instid0(VALU_DEP_2) | instskip(NEXT) | instid1(VALU_DEP_3)
	v_bfi_b32 v43, v11, 0, 0
	v_bfi_b32 v42, v10, 0, v38
	v_lshrrev_b64 v[10:11], v113, v[38:39]
	s_delay_alu instid0(VALU_DEP_2) | instskip(NEXT) | instid1(VALU_DEP_2)
	v_cmp_eq_u64_e64 s11, v[42:43], v[14:15]
	v_mov_b64_e32 v[14:15], v[10:11]
	s_and_saveexec_b32 s15, s11
; %bb.649:                              ;   in Loop: Header=BB2_129 Depth=2
	v_bfe_u32 v38, v10, 21, 1
	s_delay_alu instid0(VALU_DEP_1) | instskip(NEXT) | instid1(VALU_DEP_1)
	v_add_nc_u64_e32 v[14:15], v[10:11], v[38:39]
	v_add_nc_u64_e32 v[14:15], -1, v[14:15]
; %bb.650:                              ;   in Loop: Header=BB2_129 Depth=2
	s_or_b32 exec_lo, exec_lo, s15
	v_add_nc_u32_e32 v11, 0xffffff81, v101
	v_lshrrev_b32_e32 v15, 23, v10
	s_mov_b32 s11, exec_lo
	s_delay_alu instid0(VALU_DEP_2) | instskip(NEXT) | instid1(VALU_DEP_1)
	v_cndmask_b32_e64 v11, v11, 0xffffff82, vcc_lo
	v_add3_u32 v15, v113, v11, v15
	v_and_b32_e32 v11, 0x1fffff, v14
                                        ; implicit-def: $vgpr14
	s_delay_alu instid0(VALU_DEP_1) | instskip(NEXT) | instid1(VALU_DEP_1)
	v_dual_add_nc_u32 v101, 14, v15 :: v_dual_add_nc_u32 v38, v11, v10
                                        ; implicit-def: $vgpr10_vgpr11
	v_cmpx_ne_u32_e32 0, v101
	s_xor_b32 s11, exec_lo, s11
; %bb.651:                              ;   in Loop: Header=BB2_129 Depth=2
	s_delay_alu instid0(VALU_DEP_2) | instskip(SKIP_1) | instid1(VALU_DEP_1)
	v_cmp_lt_u64_e32 vcc_lo, 0xffffff, v[38:39]
	v_add_nc_u32_e32 v10, 15, v15
	v_cndmask_b32_e32 v14, v101, v10, vcc_lo
	v_cndmask_b32_e64 v10, 0, 1, vcc_lo
	s_delay_alu instid0(VALU_DEP_1)
	v_lshrrev_b64 v[10:11], v10, v[38:39]
; %bb.652:                              ;   in Loop: Header=BB2_129 Depth=2
	s_and_not1_saveexec_b32 s11, s11
; %bb.653:                              ;   in Loop: Header=BB2_129 Depth=2
	v_mov_b64_e32 v[10:11], v[38:39]
	v_bfe_u32 v14, v38, 23, 1
; %bb.654:                              ;   in Loop: Header=BB2_129 Depth=2
	s_or_b32 exec_lo, exec_lo, s11
	s_delay_alu instid0(VALU_DEP_2) | instskip(NEXT) | instid1(VALU_DEP_2)
	v_lshrrev_b64 v[10:11], 21, v[10:11]
	v_cmp_gt_i32_e32 vcc_lo, 32, v14
	v_min_i32_e32 v15, 31, v14
	v_cmp_eq_u32_e64 s11, 0, v14
	s_delay_alu instid0(VALU_DEP_4) | instskip(NEXT) | instid1(VALU_DEP_3)
	v_cndmask_b32_e32 v11, 0, v11, vcc_lo
	v_dual_cndmask_b32 v10, 3, v10 :: v_dual_lshlrev_b32 v15, 2, v15
	s_delay_alu instid0(VALU_DEP_1) | instskip(NEXT) | instid1(VALU_DEP_2)
	v_and_b32_e32 v15, 0xfc, v15
	v_cmp_eq_u64_e32 vcc_lo, 0, v[10:11]
	s_delay_alu instid0(VALU_DEP_2)
	v_and_or_b32 v10, v10, 3, v15
	s_and_b32 s11, s11, vcc_lo
	s_delay_alu instid0(VALU_DEP_1) | instid1(SALU_CYCLE_1)
	v_cndmask_b32_e64 v10, v10, 0, s11
	s_delay_alu instid0(VALU_DEP_1)
	v_or_b32_e32 v113, v10, v100
.LBB2_655:                              ;   in Loop: Header=BB2_129 Depth=2
	s_or_b32 exec_lo, exec_lo, s14
                                        ; implicit-def: $vgpr100
.LBB2_656:                              ;   in Loop: Header=BB2_129 Depth=2
	s_and_not1_saveexec_b32 s11, s13
; %bb.657:                              ;   in Loop: Header=BB2_129 Depth=2
	v_or_b32_e32 v113, 0x7b, v100
; %bb.658:                              ;   in Loop: Header=BB2_129 Depth=2
	s_or_b32 exec_lo, exec_lo, s11
                                        ; implicit-def: $vgpr11
                                        ; implicit-def: $vgpr10
.LBB2_659:                              ;   in Loop: Header=BB2_129 Depth=2
	s_and_not1_saveexec_b32 s11, s12
	s_cbranch_execz .LBB2_665
; %bb.660:                              ;   in Loop: Header=BB2_129 Depth=2
	s_mov_b32 s12, exec_lo
                                        ; implicit-def: $vgpr113
	v_cmpx_ne_u64_e32 0, v[38:39]
	s_xor_b32 s12, exec_lo, s12
; %bb.661:                              ;   in Loop: Header=BB2_129 Depth=2
	v_or_b32_e32 v113, 0x7f, v10
                                        ; implicit-def: $vgpr11
; %bb.662:                              ;   in Loop: Header=BB2_129 Depth=2
	s_and_not1_saveexec_b32 s12, s12
; %bb.663:                              ;   in Loop: Header=BB2_129 Depth=2
	v_cmp_lt_i32_e32 vcc_lo, -1, v11
	v_cndmask_b32_e32 v113, 0xfc, v63, vcc_lo
; %bb.664:                              ;   in Loop: Header=BB2_129 Depth=2
	s_or_b32 exec_lo, exec_lo, s12
.LBB2_665:                              ;   in Loop: Header=BB2_129 Depth=2
	s_delay_alu instid0(SALU_CYCLE_1) | instskip(SKIP_4) | instid1(VALU_DEP_4)
	s_or_b32 exec_lo, exec_lo, s11
	v_bfe_u32 v11, v16, 16, 2
	v_dual_lshrrev_b32 v38, 16, v16 :: v_dual_lshlrev_b32 v101, 8, v16
	v_lshrrev_b32_e32 v10, 16, v12
	v_and_b32_e32 v15, 0x7c0000, v16
	v_clz_i32_u32_e32 v14, v11
	s_delay_alu instid0(VALU_DEP_4)
	v_bfe_i32 v41, v38, 0, 8
	s_mov_b32 s14, -1
	v_and_b32_e32 v42, 0xff, v10
	v_cmp_eq_u32_e64 s11, 0x7c0000, v15
	v_min_u32_e32 v100, 32, v14
	v_cmp_lt_i16_e32 vcc_lo, -1, v41
	v_bfe_u32 v14, v16, 18, 5
	v_and_or_b32 v15, v101, s28, 0x38000000
	v_cmp_ne_u16_e64 s13, 0, v42
	v_subrev_nc_u32_e32 v43, 29, v100
	v_sub_nc_u32_e32 v100, 30, v100
	v_cmp_eq_u32_e64 s12, 0, v14
	s_delay_alu instid0(VALU_DEP_3) | instskip(SKIP_2) | instid1(VALU_DEP_2)
	v_lshlrev_b64_e32 v[44:45], v43, v[38:39]
	v_cndmask_b32_e32 v38, 0xff800000, v62, vcc_lo
	v_cmp_eq_u32_e32 vcc_lo, 0, v11
                                        ; implicit-def: $vgpr43
	v_cndmask_b32_e32 v38, 0x7f800001, v38, vcc_lo
	s_delay_alu instid0(VALU_DEP_4)
	v_and_b32_e32 v101, 3, v44
	s_and_b32 vcc_lo, exec_lo, s44
	s_cbranch_vccz .LBB2_683
; %bb.666:                              ;   in Loop: Header=BB2_129 Depth=2
	v_mov_b32_e32 v43, 0
	s_and_saveexec_b32 s14, s13
	s_cbranch_execz .LBB2_676
; %bb.667:                              ;   in Loop: Header=BB2_129 Depth=2
	v_bfrev_b32_e32 v43, 1
	s_mov_b32 s15, exec_lo
	v_cmpx_ne_u16_e32 0x80, v42
	s_cbranch_execz .LBB2_675
; %bb.668:                              ;   in Loop: Header=BB2_129 Depth=2
	v_and_b32_e32 v43, 0x7c0000, v12
	v_bfe_u32 v44, v12, 16, 2
	s_delay_alu instid0(VALU_DEP_2) | instskip(SKIP_1) | instid1(SALU_CYCLE_1)
	v_cmp_ne_u32_e32 vcc_lo, 0x7c0000, v43
                                        ; implicit-def: $vgpr43
	s_and_saveexec_b32 s45, vcc_lo
	s_xor_b32 s45, exec_lo, s45
	s_cbranch_execz .LBB2_672
; %bb.669:                              ;   in Loop: Header=BB2_129 Depth=2
	v_bfe_u32 v43, v12, 18, 5
	s_mov_b32 s46, exec_lo
	s_delay_alu instid0(VALU_DEP_1)
	v_cmpx_eq_u32_e32 0, v43
; %bb.670:                              ;   in Loop: Header=BB2_129 Depth=2
	v_clz_i32_u32_e32 v43, v44
	s_delay_alu instid0(VALU_DEP_1) | instskip(NEXT) | instid1(VALU_DEP_1)
	v_min_u32_e32 v43, 32, v43
	v_subrev_nc_u32_e32 v44, 29, v43
	s_delay_alu instid0(VALU_DEP_1) | instskip(NEXT) | instid1(VALU_DEP_1)
	v_lshlrev_b64_e32 v[44:45], v44, v[10:11]
	v_dual_sub_nc_u32 v43, 30, v43 :: v_dual_bitop2_b32 v44, 3, v44 bitop3:0x40
; %bb.671:                              ;   in Loop: Header=BB2_129 Depth=2
	s_or_b32 exec_lo, exec_lo, s46
	v_lshlrev_b32_e32 v45, 24, v10
	s_delay_alu instid0(VALU_DEP_1) | instskip(NEXT) | instid1(VALU_DEP_1)
	v_and_b32_e32 v45, 0x80000000, v45
	v_lshl_add_u32 v43, v43, 23, v45
	s_delay_alu instid0(VALU_DEP_1) | instskip(NEXT) | instid1(VALU_DEP_1)
	v_lshl_or_b32 v43, v44, 21, v43
                                        ; implicit-def: $vgpr44
	v_add_nc_u32_e32 v43, 0x38000000, v43
.LBB2_672:                              ;   in Loop: Header=BB2_129 Depth=2
	s_and_not1_saveexec_b32 s45, s45
; %bb.673:                              ;   in Loop: Header=BB2_129 Depth=2
	v_bfe_i32 v43, v10, 0, 8
	s_delay_alu instid0(VALU_DEP_1) | instskip(SKIP_2) | instid1(VALU_DEP_2)
	v_cmp_lt_i16_e32 vcc_lo, -1, v43
	v_cndmask_b32_e32 v43, 0xff800000, v62, vcc_lo
	v_cmp_eq_u32_e32 vcc_lo, 0, v44
	v_cndmask_b32_e32 v43, 0x7f800001, v43, vcc_lo
; %bb.674:                              ;   in Loop: Header=BB2_129 Depth=2
	s_or_b32 exec_lo, exec_lo, s45
.LBB2_675:                              ;   in Loop: Header=BB2_129 Depth=2
	s_delay_alu instid0(SALU_CYCLE_1)
	s_or_b32 exec_lo, exec_lo, s15
.LBB2_676:                              ;   in Loop: Header=BB2_129 Depth=2
	s_delay_alu instid0(SALU_CYCLE_1) | instskip(SKIP_3) | instid1(VALU_DEP_1)
	s_or_b32 exec_lo, exec_lo, s14
	v_and_b32_e32 v45, 0xff, v41
	s_mov_b32 s14, 0
	s_mov_b32 s15, exec_lo
	v_cmpx_lt_i16_e32 0x7f, v45
	s_xor_b32 s15, exec_lo, s15
	s_cbranch_execz .LBB2_1008
; %bb.677:                              ;   in Loop: Header=BB2_129 Depth=2
	s_mov_b32 s14, -1
	s_mov_b32 s45, exec_lo
	v_cmpx_eq_u16_e32 0x80, v45
; %bb.678:                              ;   in Loop: Header=BB2_129 Depth=2
	s_xor_b32 s14, exec_lo, -1
; %bb.679:                              ;   in Loop: Header=BB2_129 Depth=2
	s_or_b32 exec_lo, exec_lo, s45
	s_delay_alu instid0(SALU_CYCLE_1)
	s_and_b32 s14, s14, exec_lo
                                        ; implicit-def: $vgpr45
	s_or_saveexec_b32 s15, s15
	v_bfrev_b32_e32 v44, 1
	s_xor_b32 exec_lo, exec_lo, s15
	s_cbranch_execnz .LBB2_1009
.LBB2_680:                              ;   in Loop: Header=BB2_129 Depth=2
	s_or_b32 exec_lo, exec_lo, s15
	s_and_saveexec_b32 s15, s14
.LBB2_681:                              ;   in Loop: Header=BB2_129 Depth=2
	v_dual_cndmask_b32 v44, v14, v100, s12 :: v_dual_cndmask_b32 v45, v11, v101, s12
	s_delay_alu instid0(VALU_DEP_1) | instskip(NEXT) | instid1(VALU_DEP_1)
	v_lshl_add_u32 v44, v44, 23, v15
	v_lshl_or_b32 v44, v45, 21, v44
	s_delay_alu instid0(VALU_DEP_1)
	v_cndmask_b32_e64 v44, v44, v38, s11
.LBB2_682:                              ;   in Loop: Header=BB2_129 Depth=2
	s_or_b32 exec_lo, exec_lo, s15
	s_delay_alu instid0(VALU_DEP_1) | instskip(SKIP_1) | instid1(VALU_DEP_1)
	v_dual_max_num_f32 v44, v44, v44 :: v_dual_max_num_f32 v43, v43, v43
	s_mov_b32 s14, 0
	v_max_num_f32_e32 v43, v43, v44
.LBB2_683:                              ;   in Loop: Header=BB2_129 Depth=2
	s_and_b32 vcc_lo, exec_lo, s14
	s_cbranch_vccz .LBB2_701
; %bb.684:                              ;   in Loop: Header=BB2_129 Depth=2
	v_mov_b32_e32 v43, 0
	s_and_saveexec_b32 s14, s13
	s_cbranch_execz .LBB2_694
; %bb.685:                              ;   in Loop: Header=BB2_129 Depth=2
	v_bfrev_b32_e32 v43, 1
	s_mov_b32 s13, exec_lo
	v_cmpx_ne_u16_e32 0x80, v42
	s_cbranch_execz .LBB2_693
; %bb.686:                              ;   in Loop: Header=BB2_129 Depth=2
	v_and_b32_e32 v43, 0x7c0000, v12
	v_bfe_u32 v42, v12, 16, 2
	s_delay_alu instid0(VALU_DEP_2) | instskip(SKIP_1) | instid1(SALU_CYCLE_1)
	v_cmp_ne_u32_e32 vcc_lo, 0x7c0000, v43
                                        ; implicit-def: $vgpr43
	s_and_saveexec_b32 s15, vcc_lo
	s_xor_b32 s15, exec_lo, s15
	s_cbranch_execz .LBB2_690
; %bb.687:                              ;   in Loop: Header=BB2_129 Depth=2
	v_bfe_u32 v43, v12, 18, 5
	s_mov_b32 s45, exec_lo
	s_delay_alu instid0(VALU_DEP_1)
	v_cmpx_eq_u32_e32 0, v43
; %bb.688:                              ;   in Loop: Header=BB2_129 Depth=2
	v_clz_i32_u32_e32 v42, v42
	s_delay_alu instid0(VALU_DEP_1) | instskip(NEXT) | instid1(VALU_DEP_1)
	v_min_u32_e32 v44, 32, v42
	v_subrev_nc_u32_e32 v42, 29, v44
	s_delay_alu instid0(VALU_DEP_1) | instskip(NEXT) | instid1(VALU_DEP_1)
	v_lshlrev_b64_e32 v[42:43], v42, v[10:11]
	v_dual_sub_nc_u32 v43, 30, v44 :: v_dual_bitop2_b32 v42, 3, v42 bitop3:0x40
; %bb.689:                              ;   in Loop: Header=BB2_129 Depth=2
	s_or_b32 exec_lo, exec_lo, s45
	v_lshlrev_b32_e32 v10, 24, v10
	s_delay_alu instid0(VALU_DEP_1) | instskip(NEXT) | instid1(VALU_DEP_1)
	v_and_b32_e32 v10, 0x80000000, v10
	v_lshl_add_u32 v10, v43, 23, v10
	s_delay_alu instid0(VALU_DEP_1) | instskip(NEXT) | instid1(VALU_DEP_1)
	v_lshl_or_b32 v10, v42, 21, v10
                                        ; implicit-def: $vgpr42
	v_add_nc_u32_e32 v43, 0x38000000, v10
                                        ; implicit-def: $vgpr10
.LBB2_690:                              ;   in Loop: Header=BB2_129 Depth=2
	s_and_not1_saveexec_b32 s15, s15
; %bb.691:                              ;   in Loop: Header=BB2_129 Depth=2
	v_bfe_i32 v10, v10, 0, 8
	s_delay_alu instid0(VALU_DEP_1) | instskip(SKIP_2) | instid1(VALU_DEP_2)
	v_cmp_lt_i16_e32 vcc_lo, -1, v10
	v_cndmask_b32_e32 v10, 0xff800000, v62, vcc_lo
	v_cmp_eq_u32_e32 vcc_lo, 0, v42
	v_cndmask_b32_e32 v43, 0x7f800001, v10, vcc_lo
; %bb.692:                              ;   in Loop: Header=BB2_129 Depth=2
	s_or_b32 exec_lo, exec_lo, s15
.LBB2_693:                              ;   in Loop: Header=BB2_129 Depth=2
	s_delay_alu instid0(SALU_CYCLE_1)
	s_or_b32 exec_lo, exec_lo, s13
.LBB2_694:                              ;   in Loop: Header=BB2_129 Depth=2
	s_delay_alu instid0(SALU_CYCLE_1) | instskip(SKIP_3) | instid1(VALU_DEP_1)
	s_or_b32 exec_lo, exec_lo, s14
	v_and_b32_e32 v41, 0xff, v41
	s_mov_b32 s13, 0
	s_mov_b32 s14, exec_lo
	v_cmpx_lt_i16_e32 0x7f, v41
	s_xor_b32 s14, exec_lo, s14
	s_cbranch_execz .LBB2_1010
; %bb.695:                              ;   in Loop: Header=BB2_129 Depth=2
	s_mov_b32 s13, -1
	s_mov_b32 s15, exec_lo
	v_cmpx_eq_u16_e32 0x80, v41
; %bb.696:                              ;   in Loop: Header=BB2_129 Depth=2
	s_xor_b32 s13, exec_lo, -1
; %bb.697:                              ;   in Loop: Header=BB2_129 Depth=2
	s_or_b32 exec_lo, exec_lo, s15
	s_delay_alu instid0(SALU_CYCLE_1)
	s_and_b32 s13, s13, exec_lo
                                        ; implicit-def: $vgpr41
	s_or_saveexec_b32 s14, s14
	v_bfrev_b32_e32 v10, 1
	s_xor_b32 exec_lo, exec_lo, s14
	s_cbranch_execnz .LBB2_1011
.LBB2_698:                              ;   in Loop: Header=BB2_129 Depth=2
	s_or_b32 exec_lo, exec_lo, s14
	s_and_saveexec_b32 s14, s13
.LBB2_699:                              ;   in Loop: Header=BB2_129 Depth=2
	v_dual_cndmask_b32 v10, v14, v100, s12 :: v_dual_cndmask_b32 v11, v11, v101, s12
	s_delay_alu instid0(VALU_DEP_1) | instskip(NEXT) | instid1(VALU_DEP_1)
	v_lshl_add_u32 v10, v10, 23, v15
	v_lshl_or_b32 v10, v11, 21, v10
	s_delay_alu instid0(VALU_DEP_1)
	v_cndmask_b32_e64 v10, v10, v38, s11
.LBB2_700:                              ;   in Loop: Header=BB2_129 Depth=2
	s_or_b32 exec_lo, exec_lo, s14
	s_delay_alu instid0(VALU_DEP_1) | instskip(NEXT) | instid1(VALU_DEP_1)
	v_dual_max_num_f32 v10, v10, v10 :: v_dual_max_num_f32 v11, v43, v43
	v_min_num_f32_e32 v43, v11, v10
.LBB2_701:                              ;   in Loop: Header=BB2_129 Depth=2
	s_delay_alu instid0(VALU_DEP_1) | instskip(SKIP_2) | instid1(VALU_DEP_2)
	v_and_b32_e32 v10, 0x7f800000, v43
	v_mov_b32_e32 v11, v39
	v_and_b32_e32 v38, 0x7fffff, v43
                                        ; implicit-def: $vgpr41
	v_cmp_ne_u64_e32 vcc_lo, 0x7f800000, v[10:11]
	v_lshrrev_b32_e32 v10, 24, v43
	s_and_saveexec_b32 s11, vcc_lo
	s_delay_alu instid0(SALU_CYCLE_1)
	s_xor_b32 s12, exec_lo, s11
	s_cbranch_execz .LBB2_715
; %bb.702:                              ;   in Loop: Header=BB2_129 Depth=2
	v_and_b32_e32 v14, 0x7fffffff, v43
	v_mov_b32_e32 v15, v39
	v_and_b32_e32 v100, 0x80, v10
                                        ; implicit-def: $vgpr41
	s_mov_b32 s11, exec_lo
	s_delay_alu instid0(VALU_DEP_2)
	v_cmpx_gt_u64_e32 0x47600001, v[14:15]
	s_xor_b32 s13, exec_lo, s11
	s_cbranch_execz .LBB2_712
; %bb.703:                              ;   in Loop: Header=BB2_129 Depth=2
	v_mov_b32_e32 v41, 0
	s_mov_b32 s14, exec_lo
	v_cmpx_ne_u32_e32 0, v43
	s_cbranch_execz .LBB2_711
; %bb.704:                              ;   in Loop: Header=BB2_129 Depth=2
	v_bfe_u32 v101, v43, 23, 8
	v_or_b32_e32 v14, 0x800000, v38
	s_delay_alu instid0(VALU_DEP_2) | instskip(SKIP_1) | instid1(VALU_DEP_2)
	v_sub_nc_u32_e32 v10, 0x71, v101
	v_cmp_gt_u32_e32 vcc_lo, 0x72, v101
	v_cndmask_b32_e32 v10, 0, v10, vcc_lo
	v_cmp_eq_u32_e32 vcc_lo, 0, v101
	s_delay_alu instid0(VALU_DEP_2) | instskip(NEXT) | instid1(VALU_DEP_1)
	v_cndmask_b32_e64 v41, v10, 0x70, vcc_lo
	v_dual_cndmask_b32 v38, v14, v38, vcc_lo :: v_dual_add_nc_u32 v10, 21, v41
	v_add_nc_u32_e32 v15, 20, v41
	s_delay_alu instid0(VALU_DEP_2) | instskip(NEXT) | instid1(VALU_DEP_2)
	v_lshlrev_b64_e64 v[10:11], v10, -1
	v_lshlrev_b64_e64 v[14:15], v15, 1
	s_delay_alu instid0(VALU_DEP_2) | instskip(NEXT) | instid1(VALU_DEP_3)
	v_bfi_b32 v43, v11, 0, 0
	v_bfi_b32 v42, v10, 0, v38
	v_lshrrev_b64 v[10:11], v41, v[38:39]
	s_delay_alu instid0(VALU_DEP_2) | instskip(NEXT) | instid1(VALU_DEP_2)
	v_cmp_eq_u64_e64 s11, v[42:43], v[14:15]
	v_mov_b64_e32 v[14:15], v[10:11]
	s_and_saveexec_b32 s15, s11
; %bb.705:                              ;   in Loop: Header=BB2_129 Depth=2
	v_bfe_u32 v38, v10, 21, 1
	s_delay_alu instid0(VALU_DEP_1) | instskip(NEXT) | instid1(VALU_DEP_1)
	v_add_nc_u64_e32 v[14:15], v[10:11], v[38:39]
	v_add_nc_u64_e32 v[14:15], -1, v[14:15]
; %bb.706:                              ;   in Loop: Header=BB2_129 Depth=2
	s_or_b32 exec_lo, exec_lo, s15
	v_add_nc_u32_e32 v11, 0xffffff81, v101
	v_lshrrev_b32_e32 v15, 23, v10
	s_mov_b32 s11, exec_lo
	s_delay_alu instid0(VALU_DEP_2) | instskip(NEXT) | instid1(VALU_DEP_1)
	v_cndmask_b32_e64 v11, v11, 0xffffff82, vcc_lo
	v_add3_u32 v15, v41, v11, v15
	v_and_b32_e32 v11, 0x1fffff, v14
                                        ; implicit-def: $vgpr14
	s_delay_alu instid0(VALU_DEP_1) | instskip(NEXT) | instid1(VALU_DEP_1)
	v_dual_add_nc_u32 v101, 14, v15 :: v_dual_add_nc_u32 v38, v11, v10
                                        ; implicit-def: $vgpr10_vgpr11
	v_cmpx_ne_u32_e32 0, v101
	s_xor_b32 s11, exec_lo, s11
; %bb.707:                              ;   in Loop: Header=BB2_129 Depth=2
	s_delay_alu instid0(VALU_DEP_2) | instskip(SKIP_1) | instid1(VALU_DEP_1)
	v_cmp_lt_u64_e32 vcc_lo, 0xffffff, v[38:39]
	v_add_nc_u32_e32 v10, 15, v15
	v_cndmask_b32_e32 v14, v101, v10, vcc_lo
	v_cndmask_b32_e64 v10, 0, 1, vcc_lo
	s_delay_alu instid0(VALU_DEP_1)
	v_lshrrev_b64 v[10:11], v10, v[38:39]
; %bb.708:                              ;   in Loop: Header=BB2_129 Depth=2
	s_and_not1_saveexec_b32 s11, s11
; %bb.709:                              ;   in Loop: Header=BB2_129 Depth=2
	v_mov_b64_e32 v[10:11], v[38:39]
	v_bfe_u32 v14, v38, 23, 1
; %bb.710:                              ;   in Loop: Header=BB2_129 Depth=2
	s_or_b32 exec_lo, exec_lo, s11
	s_delay_alu instid0(VALU_DEP_2) | instskip(NEXT) | instid1(VALU_DEP_2)
	v_lshrrev_b64 v[10:11], 21, v[10:11]
	v_cmp_gt_i32_e32 vcc_lo, 32, v14
	v_min_i32_e32 v15, 31, v14
	v_cmp_eq_u32_e64 s11, 0, v14
	s_delay_alu instid0(VALU_DEP_4) | instskip(NEXT) | instid1(VALU_DEP_3)
	v_cndmask_b32_e32 v11, 0, v11, vcc_lo
	v_dual_cndmask_b32 v10, 3, v10 :: v_dual_lshlrev_b32 v15, 2, v15
	s_delay_alu instid0(VALU_DEP_1) | instskip(NEXT) | instid1(VALU_DEP_2)
	v_and_b32_e32 v15, 0xfc, v15
	v_cmp_eq_u64_e32 vcc_lo, 0, v[10:11]
	s_delay_alu instid0(VALU_DEP_2)
	v_and_or_b32 v10, v10, 3, v15
	s_and_b32 s11, s11, vcc_lo
	s_delay_alu instid0(VALU_DEP_1) | instid1(SALU_CYCLE_1)
	v_cndmask_b32_e64 v10, v10, 0, s11
	s_delay_alu instid0(VALU_DEP_1)
	v_or_b32_e32 v41, v10, v100
.LBB2_711:                              ;   in Loop: Header=BB2_129 Depth=2
	s_or_b32 exec_lo, exec_lo, s14
                                        ; implicit-def: $vgpr100
.LBB2_712:                              ;   in Loop: Header=BB2_129 Depth=2
	s_and_not1_saveexec_b32 s11, s13
; %bb.713:                              ;   in Loop: Header=BB2_129 Depth=2
	v_or_b32_e32 v41, 0x7b, v100
; %bb.714:                              ;   in Loop: Header=BB2_129 Depth=2
	s_or_b32 exec_lo, exec_lo, s11
                                        ; implicit-def: $vgpr43
                                        ; implicit-def: $vgpr10
.LBB2_715:                              ;   in Loop: Header=BB2_129 Depth=2
	s_and_not1_saveexec_b32 s11, s12
	s_cbranch_execz .LBB2_721
; %bb.716:                              ;   in Loop: Header=BB2_129 Depth=2
	s_mov_b32 s12, exec_lo
                                        ; implicit-def: $vgpr41
	v_cmpx_ne_u64_e32 0, v[38:39]
	s_xor_b32 s12, exec_lo, s12
; %bb.717:                              ;   in Loop: Header=BB2_129 Depth=2
	v_or_b32_e32 v41, 0x7f, v10
                                        ; implicit-def: $vgpr43
; %bb.718:                              ;   in Loop: Header=BB2_129 Depth=2
	s_and_not1_saveexec_b32 s12, s12
; %bb.719:                              ;   in Loop: Header=BB2_129 Depth=2
	v_cmp_lt_i32_e32 vcc_lo, -1, v43
	v_cndmask_b32_e32 v41, 0xfc, v63, vcc_lo
; %bb.720:                              ;   in Loop: Header=BB2_129 Depth=2
	s_or_b32 exec_lo, exec_lo, s12
.LBB2_721:                              ;   in Loop: Header=BB2_129 Depth=2
	s_delay_alu instid0(SALU_CYCLE_1)
	s_or_b32 exec_lo, exec_lo, s11
	v_bfe_u32 v11, v16, 24, 2
	v_lshrrev_b32_e32 v38, 24, v16
	v_cmp_lt_i32_e32 vcc_lo, -1, v16
	v_and_b32_e32 v101, 0x7c000000, v16
	v_cmp_gt_u32_e64 s11, 0x1000000, v16
	v_clz_i32_u32_e32 v14, v11
	v_and_or_b32 v15, v16, s28, 0x38000000
	v_cndmask_b32_e32 v44, 0xff800000, v62, vcc_lo
	v_cmp_eq_u32_e32 vcc_lo, 0, v11
	v_cmp_lt_u32_e64 s15, 0xffffff, v12
	v_min_u32_e32 v100, 32, v14
	v_bfe_u32 v14, v16, 26, 5
	v_cmp_eq_u32_e64 s12, 0x80, v38
	v_cmp_eq_u32_e64 s13, 0x7c000000, v101
	s_mov_b32 s45, -1
	v_subrev_nc_u32_e32 v42, 29, v100
	v_cmp_eq_u32_e64 s14, 0, v14
	v_sub_nc_u32_e32 v100, 30, v100
	s_delay_alu instid0(VALU_DEP_3) | instskip(SKIP_3) | instid1(VALU_DEP_3)
	v_lshlrev_b64_e32 v[42:43], v42, v[38:39]
	v_lshrrev_b32_e32 v10, 24, v12
	v_cndmask_b32_e32 v38, 0x7f800001, v44, vcc_lo
	s_and_b32 vcc_lo, exec_lo, s44
                                        ; implicit-def: $vgpr43
	v_and_b32_e32 v101, 3, v42
	s_cbranch_vccz .LBB2_733
; %bb.722:                              ;   in Loop: Header=BB2_129 Depth=2
	v_mov_b32_e32 v42, 0
	s_and_saveexec_b32 s45, s15
	s_cbranch_execz .LBB2_732
; %bb.723:                              ;   in Loop: Header=BB2_129 Depth=2
	v_bfrev_b32_e32 v42, 1
	s_mov_b32 s46, exec_lo
	v_cmpx_ne_u32_e32 0x80, v10
	s_cbranch_execz .LBB2_731
; %bb.724:                              ;   in Loop: Header=BB2_129 Depth=2
	v_and_b32_e32 v42, 0x7c000000, v12
	v_bfe_u32 v43, v12, 24, 2
	s_delay_alu instid0(VALU_DEP_2) | instskip(SKIP_1) | instid1(SALU_CYCLE_1)
	v_cmp_ne_u32_e32 vcc_lo, 0x7c000000, v42
                                        ; implicit-def: $vgpr42
	s_and_saveexec_b32 s47, vcc_lo
	s_xor_b32 s47, exec_lo, s47
	s_cbranch_execz .LBB2_728
; %bb.725:                              ;   in Loop: Header=BB2_129 Depth=2
	v_bfe_u32 v42, v12, 26, 5
	s_mov_b32 s56, exec_lo
	s_delay_alu instid0(VALU_DEP_1)
	v_cmpx_eq_u32_e32 0, v42
; %bb.726:                              ;   in Loop: Header=BB2_129 Depth=2
	v_clz_i32_u32_e32 v42, v43
	s_delay_alu instid0(VALU_DEP_1) | instskip(NEXT) | instid1(VALU_DEP_1)
	v_min_u32_e32 v42, 32, v42
	v_subrev_nc_u32_e32 v43, 29, v42
	s_delay_alu instid0(VALU_DEP_1) | instskip(NEXT) | instid1(VALU_DEP_1)
	v_lshlrev_b64_e32 v[44:45], v43, v[10:11]
	v_dual_sub_nc_u32 v42, 30, v42 :: v_dual_bitop2_b32 v43, 3, v44 bitop3:0x40
; %bb.727:                              ;   in Loop: Header=BB2_129 Depth=2
	s_or_b32 exec_lo, exec_lo, s56
	v_and_b32_e32 v44, 0x80000000, v12
	s_delay_alu instid0(VALU_DEP_1) | instskip(NEXT) | instid1(VALU_DEP_1)
	v_lshl_add_u32 v42, v42, 23, v44
	v_lshl_or_b32 v42, v43, 21, v42
                                        ; implicit-def: $vgpr43
	s_delay_alu instid0(VALU_DEP_1)
	v_add_nc_u32_e32 v42, 0x38000000, v42
.LBB2_728:                              ;   in Loop: Header=BB2_129 Depth=2
	s_and_not1_saveexec_b32 s47, s47
; %bb.729:                              ;   in Loop: Header=BB2_129 Depth=2
	v_cmp_lt_i32_e32 vcc_lo, -1, v12
	v_cndmask_b32_e32 v42, 0xff800000, v62, vcc_lo
	v_cmp_eq_u32_e32 vcc_lo, 0, v43
	s_delay_alu instid0(VALU_DEP_2)
	v_cndmask_b32_e32 v42, 0x7f800001, v42, vcc_lo
; %bb.730:                              ;   in Loop: Header=BB2_129 Depth=2
	s_or_b32 exec_lo, exec_lo, s47
.LBB2_731:                              ;   in Loop: Header=BB2_129 Depth=2
	s_delay_alu instid0(SALU_CYCLE_1)
	s_or_b32 exec_lo, exec_lo, s46
.LBB2_732:                              ;   in Loop: Header=BB2_129 Depth=2
	s_delay_alu instid0(SALU_CYCLE_1) | instskip(SKIP_3) | instid1(VALU_DEP_2)
	s_or_b32 exec_lo, exec_lo, s45
	v_dual_cndmask_b32 v43, v14, v100, s14 :: v_dual_cndmask_b32 v44, v11, v101, s14
	s_mov_b32 s45, 0
	v_max_num_f32_e32 v42, v42, v42
	v_lshl_add_u32 v43, v43, 23, v15
	s_delay_alu instid0(VALU_DEP_1) | instskip(NEXT) | instid1(VALU_DEP_1)
	v_lshl_or_b32 v43, v44, 21, v43
	v_cndmask_b32_e64 v43, v43, v38, s13
	s_delay_alu instid0(VALU_DEP_1) | instskip(NEXT) | instid1(VALU_DEP_1)
	v_cndmask_b32_e64 v43, v43, 0x80000000, s12
	v_cndmask_b32_e64 v43, v43, 0, s11
	s_delay_alu instid0(VALU_DEP_1) | instskip(NEXT) | instid1(VALU_DEP_1)
	v_max_num_f32_e32 v43, v43, v43
	v_max_num_f32_e32 v43, v42, v43
.LBB2_733:                              ;   in Loop: Header=BB2_129 Depth=2
	s_and_b32 vcc_lo, exec_lo, s45
	s_cbranch_vccz .LBB2_745
; %bb.734:                              ;   in Loop: Header=BB2_129 Depth=2
	v_mov_b32_e32 v42, 0
	s_and_saveexec_b32 s45, s15
	s_cbranch_execz .LBB2_744
; %bb.735:                              ;   in Loop: Header=BB2_129 Depth=2
	v_bfrev_b32_e32 v42, 1
	s_mov_b32 s15, exec_lo
	v_cmpx_ne_u32_e32 0x80, v10
	s_cbranch_execz .LBB2_743
; %bb.736:                              ;   in Loop: Header=BB2_129 Depth=2
	v_and_b32_e32 v42, 0x7c000000, v12
	v_bfe_u32 v43, v12, 24, 2
	s_delay_alu instid0(VALU_DEP_2) | instskip(SKIP_1) | instid1(SALU_CYCLE_1)
	v_cmp_ne_u32_e32 vcc_lo, 0x7c000000, v42
                                        ; implicit-def: $vgpr42
	s_and_saveexec_b32 s46, vcc_lo
	s_xor_b32 s46, exec_lo, s46
	s_cbranch_execz .LBB2_740
; %bb.737:                              ;   in Loop: Header=BB2_129 Depth=2
	v_bfe_u32 v42, v12, 26, 5
	s_mov_b32 s47, exec_lo
	s_delay_alu instid0(VALU_DEP_1)
	v_cmpx_eq_u32_e32 0, v42
; %bb.738:                              ;   in Loop: Header=BB2_129 Depth=2
	v_clz_i32_u32_e32 v42, v43
	s_delay_alu instid0(VALU_DEP_1) | instskip(NEXT) | instid1(VALU_DEP_1)
	v_min_u32_e32 v42, 32, v42
	v_subrev_nc_u32_e32 v43, 29, v42
	s_delay_alu instid0(VALU_DEP_1) | instskip(NEXT) | instid1(VALU_DEP_1)
	v_lshlrev_b64_e32 v[44:45], v43, v[10:11]
	v_dual_sub_nc_u32 v42, 30, v42 :: v_dual_bitop2_b32 v43, 3, v44 bitop3:0x40
; %bb.739:                              ;   in Loop: Header=BB2_129 Depth=2
	s_or_b32 exec_lo, exec_lo, s47
	v_and_b32_e32 v10, 0x80000000, v12
	s_delay_alu instid0(VALU_DEP_1) | instskip(NEXT) | instid1(VALU_DEP_1)
	v_lshl_add_u32 v10, v42, 23, v10
	v_lshl_or_b32 v10, v43, 21, v10
                                        ; implicit-def: $vgpr43
	s_delay_alu instid0(VALU_DEP_1)
	v_add_nc_u32_e32 v42, 0x38000000, v10
.LBB2_740:                              ;   in Loop: Header=BB2_129 Depth=2
	s_and_not1_saveexec_b32 s46, s46
; %bb.741:                              ;   in Loop: Header=BB2_129 Depth=2
	v_cmp_lt_i32_e32 vcc_lo, -1, v12
	v_cndmask_b32_e32 v10, 0xff800000, v62, vcc_lo
	v_cmp_eq_u32_e32 vcc_lo, 0, v43
	s_delay_alu instid0(VALU_DEP_2)
	v_cndmask_b32_e32 v42, 0x7f800001, v10, vcc_lo
; %bb.742:                              ;   in Loop: Header=BB2_129 Depth=2
	s_or_b32 exec_lo, exec_lo, s46
.LBB2_743:                              ;   in Loop: Header=BB2_129 Depth=2
	s_delay_alu instid0(SALU_CYCLE_1)
	s_or_b32 exec_lo, exec_lo, s15
.LBB2_744:                              ;   in Loop: Header=BB2_129 Depth=2
	s_delay_alu instid0(SALU_CYCLE_1) | instskip(SKIP_1) | instid1(VALU_DEP_1)
	s_or_b32 exec_lo, exec_lo, s45
	v_dual_cndmask_b32 v10, v14, v100, s14 :: v_dual_cndmask_b32 v11, v11, v101, s14
	v_lshl_add_u32 v10, v10, 23, v15
	s_delay_alu instid0(VALU_DEP_1) | instskip(SKIP_1) | instid1(VALU_DEP_2)
	v_lshl_or_b32 v10, v11, 21, v10
	v_max_num_f32_e32 v11, v42, v42
	v_cndmask_b32_e64 v10, v10, v38, s13
	s_delay_alu instid0(VALU_DEP_1) | instskip(NEXT) | instid1(VALU_DEP_1)
	v_cndmask_b32_e64 v10, v10, 0x80000000, s12
	v_cndmask_b32_e64 v10, v10, 0, s11
	s_delay_alu instid0(VALU_DEP_1) | instskip(NEXT) | instid1(VALU_DEP_1)
	v_max_num_f32_e32 v10, v10, v10
	v_min_num_f32_e32 v43, v11, v10
.LBB2_745:                              ;   in Loop: Header=BB2_129 Depth=2
	s_delay_alu instid0(VALU_DEP_1) | instskip(SKIP_2) | instid1(VALU_DEP_2)
	v_and_b32_e32 v10, 0x7f800000, v43
	v_mov_b32_e32 v11, v39
	v_and_b32_e32 v38, 0x7fffff, v43
                                        ; implicit-def: $vgpr42
	v_cmp_ne_u64_e32 vcc_lo, 0x7f800000, v[10:11]
	v_lshrrev_b32_e32 v10, 24, v43
	s_and_saveexec_b32 s11, vcc_lo
	s_delay_alu instid0(SALU_CYCLE_1)
	s_xor_b32 s12, exec_lo, s11
	s_cbranch_execz .LBB2_759
; %bb.746:                              ;   in Loop: Header=BB2_129 Depth=2
	v_and_b32_e32 v14, 0x7fffffff, v43
	v_mov_b32_e32 v15, v39
	v_and_b32_e32 v100, 0x80, v10
                                        ; implicit-def: $vgpr42
	s_mov_b32 s11, exec_lo
	s_delay_alu instid0(VALU_DEP_2)
	v_cmpx_gt_u64_e32 0x47600001, v[14:15]
	s_xor_b32 s13, exec_lo, s11
	s_cbranch_execz .LBB2_756
; %bb.747:                              ;   in Loop: Header=BB2_129 Depth=2
	v_mov_b32_e32 v42, 0
	s_mov_b32 s14, exec_lo
	v_cmpx_ne_u32_e32 0, v43
	s_cbranch_execz .LBB2_755
; %bb.748:                              ;   in Loop: Header=BB2_129 Depth=2
	v_bfe_u32 v101, v43, 23, 8
	v_or_b32_e32 v14, 0x800000, v38
	s_delay_alu instid0(VALU_DEP_2) | instskip(SKIP_1) | instid1(VALU_DEP_2)
	v_sub_nc_u32_e32 v10, 0x71, v101
	v_cmp_gt_u32_e32 vcc_lo, 0x72, v101
	v_cndmask_b32_e32 v10, 0, v10, vcc_lo
	v_cmp_eq_u32_e32 vcc_lo, 0, v101
	s_delay_alu instid0(VALU_DEP_2) | instskip(SKIP_1) | instid1(VALU_DEP_2)
	v_cndmask_b32_e64 v42, v10, 0x70, vcc_lo
	v_cndmask_b32_e32 v38, v14, v38, vcc_lo
	v_dual_add_nc_u32 v10, 21, v42 :: v_dual_add_nc_u32 v15, 20, v42
	s_delay_alu instid0(VALU_DEP_1) | instskip(NEXT) | instid1(VALU_DEP_2)
	v_lshlrev_b64_e64 v[10:11], v10, -1
	v_lshlrev_b64_e64 v[14:15], v15, 1
	s_delay_alu instid0(VALU_DEP_2) | instskip(NEXT) | instid1(VALU_DEP_3)
	v_bfi_b32 v45, v11, 0, 0
	v_bfi_b32 v44, v10, 0, v38
	v_lshrrev_b64 v[10:11], v42, v[38:39]
	s_delay_alu instid0(VALU_DEP_2) | instskip(NEXT) | instid1(VALU_DEP_2)
	v_cmp_eq_u64_e64 s11, v[44:45], v[14:15]
	v_mov_b64_e32 v[14:15], v[10:11]
	s_and_saveexec_b32 s15, s11
; %bb.749:                              ;   in Loop: Header=BB2_129 Depth=2
	v_bfe_u32 v38, v10, 21, 1
	s_delay_alu instid0(VALU_DEP_1) | instskip(NEXT) | instid1(VALU_DEP_1)
	v_add_nc_u64_e32 v[14:15], v[10:11], v[38:39]
	v_add_nc_u64_e32 v[14:15], -1, v[14:15]
; %bb.750:                              ;   in Loop: Header=BB2_129 Depth=2
	s_or_b32 exec_lo, exec_lo, s15
	v_add_nc_u32_e32 v11, 0xffffff81, v101
	v_lshrrev_b32_e32 v15, 23, v10
	s_mov_b32 s11, exec_lo
	s_delay_alu instid0(VALU_DEP_2) | instskip(NEXT) | instid1(VALU_DEP_1)
	v_cndmask_b32_e64 v11, v11, 0xffffff82, vcc_lo
	v_add3_u32 v15, v42, v11, v15
	v_and_b32_e32 v11, 0x1fffff, v14
                                        ; implicit-def: $vgpr14
	s_delay_alu instid0(VALU_DEP_1) | instskip(NEXT) | instid1(VALU_DEP_1)
	v_dual_add_nc_u32 v101, 14, v15 :: v_dual_add_nc_u32 v38, v11, v10
                                        ; implicit-def: $vgpr10_vgpr11
	v_cmpx_ne_u32_e32 0, v101
	s_xor_b32 s11, exec_lo, s11
; %bb.751:                              ;   in Loop: Header=BB2_129 Depth=2
	s_delay_alu instid0(VALU_DEP_2) | instskip(SKIP_1) | instid1(VALU_DEP_1)
	v_cmp_lt_u64_e32 vcc_lo, 0xffffff, v[38:39]
	v_add_nc_u32_e32 v10, 15, v15
	v_cndmask_b32_e32 v14, v101, v10, vcc_lo
	v_cndmask_b32_e64 v10, 0, 1, vcc_lo
	s_delay_alu instid0(VALU_DEP_1)
	v_lshrrev_b64 v[10:11], v10, v[38:39]
; %bb.752:                              ;   in Loop: Header=BB2_129 Depth=2
	s_and_not1_saveexec_b32 s11, s11
; %bb.753:                              ;   in Loop: Header=BB2_129 Depth=2
	v_mov_b64_e32 v[10:11], v[38:39]
	v_bfe_u32 v14, v38, 23, 1
; %bb.754:                              ;   in Loop: Header=BB2_129 Depth=2
	s_or_b32 exec_lo, exec_lo, s11
	s_delay_alu instid0(VALU_DEP_2) | instskip(NEXT) | instid1(VALU_DEP_2)
	v_lshrrev_b64 v[10:11], 21, v[10:11]
	v_cmp_gt_i32_e32 vcc_lo, 32, v14
	v_min_i32_e32 v15, 31, v14
	v_cmp_eq_u32_e64 s11, 0, v14
	s_delay_alu instid0(VALU_DEP_4) | instskip(NEXT) | instid1(VALU_DEP_3)
	v_cndmask_b32_e32 v11, 0, v11, vcc_lo
	v_dual_cndmask_b32 v10, 3, v10 :: v_dual_lshlrev_b32 v15, 2, v15
	s_delay_alu instid0(VALU_DEP_1) | instskip(NEXT) | instid1(VALU_DEP_2)
	v_and_b32_e32 v15, 0xfc, v15
	v_cmp_eq_u64_e32 vcc_lo, 0, v[10:11]
	s_delay_alu instid0(VALU_DEP_2)
	v_and_or_b32 v10, v10, 3, v15
	s_and_b32 s11, s11, vcc_lo
	s_delay_alu instid0(VALU_DEP_1) | instid1(SALU_CYCLE_1)
	v_cndmask_b32_e64 v10, v10, 0, s11
	s_delay_alu instid0(VALU_DEP_1)
	v_or_b32_e32 v42, v10, v100
.LBB2_755:                              ;   in Loop: Header=BB2_129 Depth=2
	s_or_b32 exec_lo, exec_lo, s14
                                        ; implicit-def: $vgpr100
.LBB2_756:                              ;   in Loop: Header=BB2_129 Depth=2
	s_and_not1_saveexec_b32 s11, s13
; %bb.757:                              ;   in Loop: Header=BB2_129 Depth=2
	v_or_b32_e32 v42, 0x7b, v100
; %bb.758:                              ;   in Loop: Header=BB2_129 Depth=2
	s_or_b32 exec_lo, exec_lo, s11
                                        ; implicit-def: $vgpr43
                                        ; implicit-def: $vgpr10
.LBB2_759:                              ;   in Loop: Header=BB2_129 Depth=2
	s_and_not1_saveexec_b32 s11, s12
	s_cbranch_execz .LBB2_765
; %bb.760:                              ;   in Loop: Header=BB2_129 Depth=2
	s_mov_b32 s12, exec_lo
                                        ; implicit-def: $vgpr42
	v_cmpx_ne_u64_e32 0, v[38:39]
	s_xor_b32 s12, exec_lo, s12
; %bb.761:                              ;   in Loop: Header=BB2_129 Depth=2
	v_or_b32_e32 v42, 0x7f, v10
                                        ; implicit-def: $vgpr43
; %bb.762:                              ;   in Loop: Header=BB2_129 Depth=2
	s_and_not1_saveexec_b32 s12, s12
; %bb.763:                              ;   in Loop: Header=BB2_129 Depth=2
	v_cmp_lt_i32_e32 vcc_lo, -1, v43
	v_cndmask_b32_e32 v42, 0xfc, v63, vcc_lo
; %bb.764:                              ;   in Loop: Header=BB2_129 Depth=2
	s_or_b32 exec_lo, exec_lo, s12
.LBB2_765:                              ;   in Loop: Header=BB2_129 Depth=2
	s_delay_alu instid0(SALU_CYCLE_1) | instskip(SKIP_3) | instid1(VALU_DEP_3)
	s_or_b32 exec_lo, exec_lo, s11
	v_dual_mov_b32 v38, v13 :: v_dual_bitop2_b32 v14, 3, v17 bitop3:0x40
	v_bfe_i32 v44, v17, 0, 8
	v_dual_mov_b32 v10, v17 :: v_dual_mov_b32 v11, v39
	v_clz_i32_u32_e32 v15, v14
	v_and_b32_e32 v100, 0x7c, v17
	s_delay_alu instid0(VALU_DEP_4)
	v_cmp_lt_i16_e32 vcc_lo, -1, v44
	v_lshlrev_b32_e32 v43, 24, v17
	v_and_b32_e32 v45, 0xff, v13
	v_min_u32_e32 v101, 32, v15
	v_bfe_u32 v15, v17, 2, 5
	v_cmp_eq_u32_e64 s11, 0x7c, v100
	v_cndmask_b32_e32 v100, 0xff800000, v62, vcc_lo
	v_cmp_eq_u32_e32 vcc_lo, 0, v14
	v_subrev_nc_u32_e32 v46, 29, v101
	v_cmp_eq_u32_e64 s12, 0, v15
	v_cmp_ne_u16_e64 s13, 0, v45
	v_dual_cndmask_b32 v100, 0x7f800001, v100 :: v_dual_sub_nc_u32 v101, 30, v101
	s_delay_alu instid0(VALU_DEP_4) | instskip(SKIP_3) | instid1(VALU_DEP_2)
	v_lshlrev_b64_e32 v[46:47], v46, v[10:11]
	v_and_or_b32 v11, v43, s28, 0x38000000
	s_and_b32 vcc_lo, exec_lo, s44
	s_mov_b32 s14, -1
	v_and_b32_e32 v43, 3, v46
                                        ; implicit-def: $vgpr46
	s_cbranch_vccz .LBB2_783
; %bb.766:                              ;   in Loop: Header=BB2_129 Depth=2
	v_mov_b32_e32 v46, 0
	s_and_saveexec_b32 s14, s13
	s_cbranch_execz .LBB2_776
; %bb.767:                              ;   in Loop: Header=BB2_129 Depth=2
	v_bfrev_b32_e32 v46, 1
	s_mov_b32 s15, exec_lo
	v_cmpx_ne_u16_e32 0x80, v45
	s_cbranch_execz .LBB2_775
; %bb.768:                              ;   in Loop: Header=BB2_129 Depth=2
	v_and_b32_e32 v46, 0x7c, v13
	v_and_b32_e32 v47, 3, v13
	s_delay_alu instid0(VALU_DEP_2) | instskip(SKIP_1) | instid1(SALU_CYCLE_1)
	v_cmp_ne_u32_e32 vcc_lo, 0x7c, v46
                                        ; implicit-def: $vgpr46
	s_and_saveexec_b32 s45, vcc_lo
	s_xor_b32 s45, exec_lo, s45
	s_cbranch_execz .LBB2_772
; %bb.769:                              ;   in Loop: Header=BB2_129 Depth=2
	v_bfe_u32 v46, v13, 2, 5
	s_mov_b32 s46, exec_lo
	s_delay_alu instid0(VALU_DEP_1)
	v_cmpx_eq_u32_e32 0, v46
; %bb.770:                              ;   in Loop: Header=BB2_129 Depth=2
	v_clz_i32_u32_e32 v46, v47
	s_delay_alu instid0(VALU_DEP_1) | instskip(NEXT) | instid1(VALU_DEP_1)
	v_min_u32_e32 v46, 32, v46
	v_subrev_nc_u32_e32 v47, 29, v46
	s_delay_alu instid0(VALU_DEP_1) | instskip(NEXT) | instid1(VALU_DEP_1)
	v_lshlrev_b64_e32 v[72:73], v47, v[38:39]
	v_dual_sub_nc_u32 v46, 30, v46 :: v_dual_bitop2_b32 v47, 3, v72 bitop3:0x40
; %bb.771:                              ;   in Loop: Header=BB2_129 Depth=2
	s_or_b32 exec_lo, exec_lo, s46
	v_lshlrev_b32_e32 v72, 24, v13
	s_delay_alu instid0(VALU_DEP_1) | instskip(NEXT) | instid1(VALU_DEP_1)
	v_and_b32_e32 v72, 0x80000000, v72
	v_lshl_add_u32 v46, v46, 23, v72
	s_delay_alu instid0(VALU_DEP_1) | instskip(NEXT) | instid1(VALU_DEP_1)
	v_lshl_or_b32 v46, v47, 21, v46
                                        ; implicit-def: $vgpr47
	v_add_nc_u32_e32 v46, 0x38000000, v46
.LBB2_772:                              ;   in Loop: Header=BB2_129 Depth=2
	s_and_not1_saveexec_b32 s45, s45
; %bb.773:                              ;   in Loop: Header=BB2_129 Depth=2
	v_bfe_i32 v46, v13, 0, 8
	s_delay_alu instid0(VALU_DEP_1) | instskip(SKIP_2) | instid1(VALU_DEP_2)
	v_cmp_lt_i16_e32 vcc_lo, -1, v46
	v_cndmask_b32_e32 v46, 0xff800000, v62, vcc_lo
	v_cmp_eq_u32_e32 vcc_lo, 0, v47
	v_cndmask_b32_e32 v46, 0x7f800001, v46, vcc_lo
; %bb.774:                              ;   in Loop: Header=BB2_129 Depth=2
	s_or_b32 exec_lo, exec_lo, s45
.LBB2_775:                              ;   in Loop: Header=BB2_129 Depth=2
	s_delay_alu instid0(SALU_CYCLE_1)
	s_or_b32 exec_lo, exec_lo, s15
.LBB2_776:                              ;   in Loop: Header=BB2_129 Depth=2
	s_delay_alu instid0(SALU_CYCLE_1) | instskip(SKIP_3) | instid1(VALU_DEP_1)
	s_or_b32 exec_lo, exec_lo, s14
	v_and_b32_e32 v72, 0xff, v44
	s_mov_b32 s14, 0
	s_mov_b32 s15, exec_lo
	v_cmpx_lt_i16_e32 0x7f, v72
	s_xor_b32 s15, exec_lo, s15
	s_cbranch_execz .LBB2_1012
; %bb.777:                              ;   in Loop: Header=BB2_129 Depth=2
	s_mov_b32 s14, -1
	s_mov_b32 s45, exec_lo
	v_cmpx_eq_u16_e32 0x80, v72
; %bb.778:                              ;   in Loop: Header=BB2_129 Depth=2
	s_xor_b32 s14, exec_lo, -1
; %bb.779:                              ;   in Loop: Header=BB2_129 Depth=2
	s_or_b32 exec_lo, exec_lo, s45
	s_delay_alu instid0(SALU_CYCLE_1)
	s_and_b32 s14, s14, exec_lo
                                        ; implicit-def: $vgpr72
	s_or_saveexec_b32 s15, s15
	v_bfrev_b32_e32 v47, 1
	s_xor_b32 exec_lo, exec_lo, s15
	s_cbranch_execnz .LBB2_1013
.LBB2_780:                              ;   in Loop: Header=BB2_129 Depth=2
	s_or_b32 exec_lo, exec_lo, s15
	s_and_saveexec_b32 s15, s14
.LBB2_781:                              ;   in Loop: Header=BB2_129 Depth=2
	v_dual_cndmask_b32 v47, v15, v101, s12 :: v_dual_cndmask_b32 v72, v14, v43, s12
	s_delay_alu instid0(VALU_DEP_1) | instskip(NEXT) | instid1(VALU_DEP_1)
	v_lshl_add_u32 v47, v47, 23, v11
	v_lshl_or_b32 v47, v72, 21, v47
	s_delay_alu instid0(VALU_DEP_1)
	v_cndmask_b32_e64 v47, v47, v100, s11
.LBB2_782:                              ;   in Loop: Header=BB2_129 Depth=2
	s_or_b32 exec_lo, exec_lo, s15
	s_delay_alu instid0(VALU_DEP_1) | instskip(SKIP_1) | instid1(VALU_DEP_1)
	v_dual_max_num_f32 v47, v47, v47 :: v_dual_max_num_f32 v46, v46, v46
	s_mov_b32 s14, 0
	v_max_num_f32_e32 v46, v46, v47
.LBB2_783:                              ;   in Loop: Header=BB2_129 Depth=2
	s_and_b32 vcc_lo, exec_lo, s14
	s_cbranch_vccz .LBB2_801
; %bb.784:                              ;   in Loop: Header=BB2_129 Depth=2
	v_mov_b32_e32 v46, 0
	s_and_saveexec_b32 s14, s13
	s_cbranch_execz .LBB2_794
; %bb.785:                              ;   in Loop: Header=BB2_129 Depth=2
	v_bfrev_b32_e32 v46, 1
	s_mov_b32 s13, exec_lo
	v_cmpx_ne_u16_e32 0x80, v45
	s_cbranch_execz .LBB2_793
; %bb.786:                              ;   in Loop: Header=BB2_129 Depth=2
	v_and_b32_e32 v46, 0x7c, v13
	v_and_b32_e32 v45, 3, v13
	s_delay_alu instid0(VALU_DEP_2) | instskip(SKIP_1) | instid1(SALU_CYCLE_1)
	v_cmp_ne_u32_e32 vcc_lo, 0x7c, v46
                                        ; implicit-def: $vgpr46
	s_and_saveexec_b32 s15, vcc_lo
	s_xor_b32 s15, exec_lo, s15
	s_cbranch_execz .LBB2_790
; %bb.787:                              ;   in Loop: Header=BB2_129 Depth=2
	v_bfe_u32 v46, v13, 2, 5
	s_mov_b32 s45, exec_lo
	s_delay_alu instid0(VALU_DEP_1)
	v_cmpx_eq_u32_e32 0, v46
; %bb.788:                              ;   in Loop: Header=BB2_129 Depth=2
	v_clz_i32_u32_e32 v45, v45
	s_delay_alu instid0(VALU_DEP_1) | instskip(NEXT) | instid1(VALU_DEP_1)
	v_min_u32_e32 v45, 32, v45
	v_subrev_nc_u32_e32 v46, 29, v45
	s_delay_alu instid0(VALU_DEP_1) | instskip(NEXT) | instid1(VALU_DEP_1)
	v_lshlrev_b64_e32 v[72:73], v46, v[38:39]
	v_dual_sub_nc_u32 v46, 30, v45 :: v_dual_bitop2_b32 v45, 3, v72 bitop3:0x40
; %bb.789:                              ;   in Loop: Header=BB2_129 Depth=2
	s_or_b32 exec_lo, exec_lo, s45
	v_lshlrev_b32_e32 v47, 24, v13
	s_delay_alu instid0(VALU_DEP_1) | instskip(NEXT) | instid1(VALU_DEP_1)
	v_and_b32_e32 v47, 0x80000000, v47
	v_lshl_add_u32 v46, v46, 23, v47
	s_delay_alu instid0(VALU_DEP_1) | instskip(NEXT) | instid1(VALU_DEP_1)
	v_lshl_or_b32 v45, v45, 21, v46
	v_add_nc_u32_e32 v46, 0x38000000, v45
                                        ; implicit-def: $vgpr45
.LBB2_790:                              ;   in Loop: Header=BB2_129 Depth=2
	s_and_not1_saveexec_b32 s15, s15
; %bb.791:                              ;   in Loop: Header=BB2_129 Depth=2
	v_bfe_i32 v46, v13, 0, 8
	s_delay_alu instid0(VALU_DEP_1) | instskip(SKIP_2) | instid1(VALU_DEP_2)
	v_cmp_lt_i16_e32 vcc_lo, -1, v46
	v_cndmask_b32_e32 v46, 0xff800000, v62, vcc_lo
	v_cmp_eq_u32_e32 vcc_lo, 0, v45
	v_cndmask_b32_e32 v46, 0x7f800001, v46, vcc_lo
; %bb.792:                              ;   in Loop: Header=BB2_129 Depth=2
	s_or_b32 exec_lo, exec_lo, s15
.LBB2_793:                              ;   in Loop: Header=BB2_129 Depth=2
	s_delay_alu instid0(SALU_CYCLE_1)
	s_or_b32 exec_lo, exec_lo, s13
.LBB2_794:                              ;   in Loop: Header=BB2_129 Depth=2
	s_delay_alu instid0(SALU_CYCLE_1) | instskip(SKIP_3) | instid1(VALU_DEP_1)
	s_or_b32 exec_lo, exec_lo, s14
	v_and_b32_e32 v45, 0xff, v44
	s_mov_b32 s13, 0
	s_mov_b32 s14, exec_lo
	v_cmpx_lt_i16_e32 0x7f, v45
	s_xor_b32 s14, exec_lo, s14
	s_cbranch_execz .LBB2_1014
; %bb.795:                              ;   in Loop: Header=BB2_129 Depth=2
	s_mov_b32 s13, -1
	s_mov_b32 s15, exec_lo
	v_cmpx_eq_u16_e32 0x80, v45
; %bb.796:                              ;   in Loop: Header=BB2_129 Depth=2
	s_xor_b32 s13, exec_lo, -1
; %bb.797:                              ;   in Loop: Header=BB2_129 Depth=2
	s_or_b32 exec_lo, exec_lo, s15
	s_delay_alu instid0(SALU_CYCLE_1)
	s_and_b32 s13, s13, exec_lo
                                        ; implicit-def: $vgpr45
	s_or_saveexec_b32 s14, s14
	v_bfrev_b32_e32 v44, 1
	s_xor_b32 exec_lo, exec_lo, s14
	s_cbranch_execnz .LBB2_1015
.LBB2_798:                              ;   in Loop: Header=BB2_129 Depth=2
	s_or_b32 exec_lo, exec_lo, s14
	s_and_saveexec_b32 s14, s13
.LBB2_799:                              ;   in Loop: Header=BB2_129 Depth=2
	v_dual_cndmask_b32 v15, v15, v101, s12 :: v_dual_cndmask_b32 v14, v14, v43, s12
	s_delay_alu instid0(VALU_DEP_1) | instskip(NEXT) | instid1(VALU_DEP_1)
	v_lshl_add_u32 v11, v15, 23, v11
	v_lshl_or_b32 v11, v14, 21, v11
	s_delay_alu instid0(VALU_DEP_1)
	v_cndmask_b32_e64 v44, v11, v100, s11
.LBB2_800:                              ;   in Loop: Header=BB2_129 Depth=2
	s_or_b32 exec_lo, exec_lo, s14
	s_delay_alu instid0(VALU_DEP_1) | instskip(NEXT) | instid1(VALU_DEP_1)
	v_dual_max_num_f32 v11, v44, v44 :: v_dual_max_num_f32 v14, v46, v46
	v_min_num_f32_e32 v46, v14, v11
.LBB2_801:                              ;   in Loop: Header=BB2_129 Depth=2
	s_delay_alu instid0(VALU_DEP_1) | instskip(SKIP_4) | instid1(VALU_DEP_3)
	v_and_b32_e32 v100, 0x7f800000, v46
	v_dual_mov_b32 v101, v39 :: v_dual_mov_b32 v15, v39
	v_and_b32_e32 v14, 0x7fffff, v46
	v_lshrrev_b32_e32 v11, 24, v46
                                        ; implicit-def: $vgpr43
	s_mov_b32 s11, exec_lo
	v_cmpx_ne_u64_e32 0x7f800000, v[100:101]
	s_xor_b32 s12, exec_lo, s11
	s_cbranch_execz .LBB2_815
; %bb.802:                              ;   in Loop: Header=BB2_129 Depth=2
	v_and_b32_e32 v100, 0x7fffffff, v46
	v_mov_b32_e32 v101, v39
	v_and_b32_e32 v11, 0x80, v11
                                        ; implicit-def: $vgpr43
	s_mov_b32 s11, exec_lo
	s_delay_alu instid0(VALU_DEP_2)
	v_cmpx_gt_u64_e32 0x47600001, v[100:101]
	s_xor_b32 s13, exec_lo, s11
	s_cbranch_execz .LBB2_812
; %bb.803:                              ;   in Loop: Header=BB2_129 Depth=2
	v_mov_b32_e32 v43, 0
	s_mov_b32 s14, exec_lo
	v_cmpx_ne_u32_e32 0, v46
	s_cbranch_execz .LBB2_811
; %bb.804:                              ;   in Loop: Header=BB2_129 Depth=2
	v_bfe_u32 v43, v46, 23, 8
	v_or_b32_e32 v45, 0x800000, v14
	s_delay_alu instid0(VALU_DEP_2) | instskip(SKIP_1) | instid1(VALU_DEP_2)
	v_sub_nc_u32_e32 v100, 0x71, v43
	v_cmp_gt_u32_e32 vcc_lo, 0x72, v43
	v_cndmask_b32_e32 v100, 0, v100, vcc_lo
	v_cmp_eq_u32_e32 vcc_lo, 0, v43
	v_cndmask_b32_e32 v14, v45, v14, vcc_lo
	s_delay_alu instid0(VALU_DEP_3) | instskip(NEXT) | instid1(VALU_DEP_1)
	v_cndmask_b32_e64 v44, v100, 0x70, vcc_lo
	v_dual_add_nc_u32 v100, 21, v44 :: v_dual_add_nc_u32 v46, 20, v44
	s_delay_alu instid0(VALU_DEP_1) | instskip(NEXT) | instid1(VALU_DEP_2)
	v_lshlrev_b64_e64 v[100:101], v100, -1
	v_lshlrev_b64_e64 v[46:47], v46, 1
	s_delay_alu instid0(VALU_DEP_2) | instskip(SKIP_1) | instid1(VALU_DEP_4)
	v_bfi_b32 v100, v100, 0, v14
	v_lshrrev_b64 v[14:15], v44, v[14:15]
	v_bfi_b32 v101, v101, 0, 0
	s_delay_alu instid0(VALU_DEP_1) | instskip(NEXT) | instid1(VALU_DEP_3)
	v_cmp_eq_u64_e64 s11, v[100:101], v[46:47]
	v_mov_b64_e32 v[100:101], v[14:15]
	s_and_saveexec_b32 s15, s11
; %bb.805:                              ;   in Loop: Header=BB2_129 Depth=2
	v_bfe_u32 v100, v14, 21, 1
	v_mov_b32_e32 v101, v39
	s_delay_alu instid0(VALU_DEP_1) | instskip(NEXT) | instid1(VALU_DEP_1)
	v_add_nc_u64_e32 v[100:101], v[14:15], v[100:101]
	v_add_nc_u64_e32 v[100:101], -1, v[100:101]
; %bb.806:                              ;   in Loop: Header=BB2_129 Depth=2
	s_or_b32 exec_lo, exec_lo, s15
	v_add_nc_u32_e32 v15, 0xffffff81, v43
	v_lshrrev_b32_e32 v101, 23, v14
	s_mov_b32 s11, exec_lo
	s_delay_alu instid0(VALU_DEP_2) | instskip(NEXT) | instid1(VALU_DEP_1)
	v_cndmask_b32_e64 v15, v15, 0xffffff82, vcc_lo
	v_add3_u32 v101, v44, v15, v101
	v_and_b32_e32 v15, 0x1fffff, v100
                                        ; implicit-def: $vgpr100
	s_delay_alu instid0(VALU_DEP_1) | instskip(SKIP_1) | instid1(VALU_DEP_2)
	v_dual_add_nc_u32 v43, 14, v101 :: v_dual_add_nc_u32 v14, v15, v14
	v_mov_b32_e32 v15, v39
	v_cmpx_ne_u32_e32 0, v43
	s_xor_b32 s11, exec_lo, s11
; %bb.807:                              ;   in Loop: Header=BB2_129 Depth=2
	s_delay_alu instid0(VALU_DEP_2) | instskip(SKIP_2) | instid1(VALU_DEP_2)
	v_cmp_lt_u64_e32 vcc_lo, 0xffffff, v[14:15]
	v_add_nc_u32_e32 v100, 15, v101
	v_cndmask_b32_e64 v101, 0, 1, vcc_lo
	v_cndmask_b32_e32 v100, v43, v100, vcc_lo
	s_delay_alu instid0(VALU_DEP_2)
	v_lshrrev_b64 v[14:15], v101, v[14:15]
; %bb.808:                              ;   in Loop: Header=BB2_129 Depth=2
	s_and_not1_saveexec_b32 s11, s11
; %bb.809:                              ;   in Loop: Header=BB2_129 Depth=2
	s_delay_alu instid0(VALU_DEP_1)
	v_bfe_u32 v100, v14, 23, 1
; %bb.810:                              ;   in Loop: Header=BB2_129 Depth=2
	s_or_b32 exec_lo, exec_lo, s11
	s_delay_alu instid0(VALU_DEP_2) | instskip(NEXT) | instid1(VALU_DEP_2)
	v_lshrrev_b64 v[14:15], 21, v[14:15]
	v_cmp_gt_i32_e32 vcc_lo, 32, v100
	v_min_i32_e32 v101, 31, v100
	v_cmp_eq_u32_e64 s11, 0, v100
	s_delay_alu instid0(VALU_DEP_2) | instskip(SKIP_1) | instid1(VALU_DEP_2)
	v_dual_cndmask_b32 v15, 0, v15, vcc_lo :: v_dual_lshlrev_b32 v101, 2, v101
	v_cndmask_b32_e32 v14, 3, v14, vcc_lo
	v_and_b32_e32 v101, 0xfc, v101
	s_delay_alu instid0(VALU_DEP_2) | instskip(NEXT) | instid1(VALU_DEP_2)
	v_cmp_eq_u64_e32 vcc_lo, 0, v[14:15]
	v_and_or_b32 v14, v14, 3, v101
	s_and_b32 s11, s11, vcc_lo
	s_delay_alu instid0(VALU_DEP_1) | instid1(SALU_CYCLE_1)
	v_cndmask_b32_e64 v14, v14, 0, s11
	s_delay_alu instid0(VALU_DEP_1)
	v_or_b32_e32 v43, v14, v11
.LBB2_811:                              ;   in Loop: Header=BB2_129 Depth=2
	s_or_b32 exec_lo, exec_lo, s14
                                        ; implicit-def: $vgpr11
.LBB2_812:                              ;   in Loop: Header=BB2_129 Depth=2
	s_and_not1_saveexec_b32 s11, s13
; %bb.813:                              ;   in Loop: Header=BB2_129 Depth=2
	v_or_b32_e32 v43, 0x7b, v11
; %bb.814:                              ;   in Loop: Header=BB2_129 Depth=2
	s_or_b32 exec_lo, exec_lo, s11
                                        ; implicit-def: $vgpr46
                                        ; implicit-def: $vgpr14_vgpr15
                                        ; implicit-def: $vgpr11
.LBB2_815:                              ;   in Loop: Header=BB2_129 Depth=2
	s_and_not1_saveexec_b32 s11, s12
	s_cbranch_execz .LBB2_821
; %bb.816:                              ;   in Loop: Header=BB2_129 Depth=2
	s_mov_b32 s12, exec_lo
                                        ; implicit-def: $vgpr43
	v_cmpx_ne_u64_e32 0, v[14:15]
	s_xor_b32 s12, exec_lo, s12
; %bb.817:                              ;   in Loop: Header=BB2_129 Depth=2
	v_or_b32_e32 v43, 0x7f, v11
                                        ; implicit-def: $vgpr46
; %bb.818:                              ;   in Loop: Header=BB2_129 Depth=2
	s_and_not1_saveexec_b32 s12, s12
; %bb.819:                              ;   in Loop: Header=BB2_129 Depth=2
	v_cmp_lt_i32_e32 vcc_lo, -1, v46
	v_cndmask_b32_e32 v43, 0xfc, v63, vcc_lo
; %bb.820:                              ;   in Loop: Header=BB2_129 Depth=2
	s_or_b32 exec_lo, exec_lo, s12
.LBB2_821:                              ;   in Loop: Header=BB2_129 Depth=2
	s_delay_alu instid0(SALU_CYCLE_1) | instskip(SKIP_4) | instid1(VALU_DEP_3)
	s_or_b32 exec_lo, exec_lo, s11
	v_lshrrev_b16 v14, 8, v10
	v_cmp_lt_i16_e32 vcc_lo, -1, v10
	v_lshrrev_b16 v100, 8, v38
	s_mov_b32 s14, -1
	v_and_b32_e32 v101, 0xffff, v14
	v_lshlrev_b32_e32 v46, 24, v14
	s_delay_alu instid0(VALU_DEP_3) | instskip(SKIP_1) | instid1(VALU_DEP_4)
	v_and_b32_e32 v47, 0xffff, v100
	v_cmp_ne_u16_e64 s13, 0, v100
	v_and_b32_e32 v11, 3, v101
	v_and_b32_e32 v74, 0x7c, v101
	v_bfe_u32 v10, v101, 2, 5
	s_delay_alu instid0(VALU_DEP_3) | instskip(NEXT) | instid1(VALU_DEP_3)
	v_clz_i32_u32_e32 v15, v11
	v_cmp_eq_u32_e64 s11, 0x7c, v74
	s_delay_alu instid0(VALU_DEP_3) | instskip(NEXT) | instid1(VALU_DEP_3)
	v_cmp_eq_u32_e64 s12, 0, v10
	v_min_u32_e32 v45, 32, v15
	v_dual_mov_b32 v15, v39 :: v_dual_cndmask_b32 v44, 0xff800000, v62
	v_cmp_eq_u32_e32 vcc_lo, 0, v11
	s_delay_alu instid0(VALU_DEP_3) | instskip(NEXT) | instid1(VALU_DEP_3)
	v_subrev_nc_u32_e32 v72, 29, v45
	v_dual_cndmask_b32 v44, 0x7f800001, v44 :: v_dual_sub_nc_u32 v45, 30, v45
	s_and_b32 vcc_lo, exec_lo, s44
	s_delay_alu instid0(VALU_DEP_2) | instskip(SKIP_1) | instid1(VALU_DEP_2)
	v_lshlrev_b64_e32 v[72:73], v72, v[14:15]
	v_and_or_b32 v15, v46, s28, 0x38000000
	v_and_b32_e32 v46, 3, v72
                                        ; implicit-def: $vgpr72
	s_cbranch_vccz .LBB2_839
; %bb.822:                              ;   in Loop: Header=BB2_129 Depth=2
	v_mov_b32_e32 v101, 0
	s_and_saveexec_b32 s14, s13
	s_cbranch_execz .LBB2_832
; %bb.823:                              ;   in Loop: Header=BB2_129 Depth=2
	v_bfrev_b32_e32 v101, 1
	s_mov_b32 s15, exec_lo
	v_cmpx_ne_u16_e32 0x80, v100
	s_cbranch_execz .LBB2_831
; %bb.824:                              ;   in Loop: Header=BB2_129 Depth=2
	v_and_b32_e32 v101, 0x7c, v47
	v_and_b32_e32 v72, 3, v47
	s_delay_alu instid0(VALU_DEP_2) | instskip(SKIP_1) | instid1(SALU_CYCLE_1)
	v_cmp_ne_u32_e32 vcc_lo, 0x7c, v101
                                        ; implicit-def: $vgpr101
	s_and_saveexec_b32 s45, vcc_lo
	s_xor_b32 s45, exec_lo, s45
	s_cbranch_execz .LBB2_828
; %bb.825:                              ;   in Loop: Header=BB2_129 Depth=2
	v_bfe_u32 v101, v47, 2, 5
	s_mov_b32 s46, exec_lo
	s_delay_alu instid0(VALU_DEP_1)
	v_cmpx_eq_u32_e32 0, v101
; %bb.826:                              ;   in Loop: Header=BB2_129 Depth=2
	v_clz_i32_u32_e32 v101, v72
	s_delay_alu instid0(VALU_DEP_1) | instskip(SKIP_1) | instid1(VALU_DEP_2)
	v_min_u32_e32 v74, 32, v101
	v_mov_b32_e32 v101, v39
	v_subrev_nc_u32_e32 v72, 29, v74
	s_delay_alu instid0(VALU_DEP_1) | instskip(NEXT) | instid1(VALU_DEP_1)
	v_lshlrev_b64_e32 v[72:73], v72, v[100:101]
	v_dual_sub_nc_u32 v101, 30, v74 :: v_dual_bitop2_b32 v72, 3, v72 bitop3:0x40
; %bb.827:                              ;   in Loop: Header=BB2_129 Depth=2
	s_or_b32 exec_lo, exec_lo, s46
	v_lshlrev_b32_e32 v73, 16, v38
	s_delay_alu instid0(VALU_DEP_1) | instskip(NEXT) | instid1(VALU_DEP_1)
	v_and_b32_e32 v73, 0x80000000, v73
	v_lshl_add_u32 v101, v101, 23, v73
	s_delay_alu instid0(VALU_DEP_1) | instskip(NEXT) | instid1(VALU_DEP_1)
	v_lshl_or_b32 v101, v72, 21, v101
                                        ; implicit-def: $vgpr72
	v_add_nc_u32_e32 v101, 0x38000000, v101
.LBB2_828:                              ;   in Loop: Header=BB2_129 Depth=2
	s_and_not1_saveexec_b32 s45, s45
; %bb.829:                              ;   in Loop: Header=BB2_129 Depth=2
	v_cmp_lt_i16_e32 vcc_lo, -1, v38
	v_cndmask_b32_e32 v101, 0xff800000, v62, vcc_lo
	v_cmp_eq_u32_e32 vcc_lo, 0, v72
	s_delay_alu instid0(VALU_DEP_2)
	v_cndmask_b32_e32 v101, 0x7f800001, v101, vcc_lo
; %bb.830:                              ;   in Loop: Header=BB2_129 Depth=2
	s_or_b32 exec_lo, exec_lo, s45
.LBB2_831:                              ;   in Loop: Header=BB2_129 Depth=2
	s_delay_alu instid0(SALU_CYCLE_1)
	s_or_b32 exec_lo, exec_lo, s15
.LBB2_832:                              ;   in Loop: Header=BB2_129 Depth=2
	s_delay_alu instid0(SALU_CYCLE_1)
	s_or_b32 exec_lo, exec_lo, s14
	s_mov_b32 s14, 0
	s_mov_b32 s15, exec_lo
	v_cmpx_lt_i16_e32 0x7f, v14
	s_xor_b32 s15, exec_lo, s15
	s_cbranch_execz .LBB2_1016
; %bb.833:                              ;   in Loop: Header=BB2_129 Depth=2
	s_mov_b32 s14, -1
	s_mov_b32 s45, exec_lo
	v_cmpx_eq_u16_e32 0x80, v14
; %bb.834:                              ;   in Loop: Header=BB2_129 Depth=2
	s_xor_b32 s14, exec_lo, -1
; %bb.835:                              ;   in Loop: Header=BB2_129 Depth=2
	s_or_b32 exec_lo, exec_lo, s45
	s_delay_alu instid0(SALU_CYCLE_1)
	s_and_b32 s14, s14, exec_lo
	s_or_saveexec_b32 s15, s15
	v_bfrev_b32_e32 v72, 1
	s_xor_b32 exec_lo, exec_lo, s15
	s_cbranch_execnz .LBB2_1017
.LBB2_836:                              ;   in Loop: Header=BB2_129 Depth=2
	s_or_b32 exec_lo, exec_lo, s15
	s_and_saveexec_b32 s15, s14
.LBB2_837:                              ;   in Loop: Header=BB2_129 Depth=2
	v_dual_cndmask_b32 v72, v10, v45, s12 :: v_dual_cndmask_b32 v73, v11, v46, s12
	s_delay_alu instid0(VALU_DEP_1) | instskip(NEXT) | instid1(VALU_DEP_1)
	v_lshl_add_u32 v72, v72, 23, v15
	v_lshl_or_b32 v72, v73, 21, v72
	s_delay_alu instid0(VALU_DEP_1)
	v_cndmask_b32_e64 v72, v72, v44, s11
.LBB2_838:                              ;   in Loop: Header=BB2_129 Depth=2
	s_or_b32 exec_lo, exec_lo, s15
	s_delay_alu instid0(VALU_DEP_1) | instskip(SKIP_1) | instid1(VALU_DEP_1)
	v_dual_max_num_f32 v72, v72, v72 :: v_dual_max_num_f32 v101, v101, v101
	s_mov_b32 s14, 0
	v_max_num_f32_e32 v72, v101, v72
.LBB2_839:                              ;   in Loop: Header=BB2_129 Depth=2
	s_and_b32 vcc_lo, exec_lo, s14
	s_cbranch_vccz .LBB2_857
; %bb.840:                              ;   in Loop: Header=BB2_129 Depth=2
	v_mov_b32_e32 v101, 0
	s_and_saveexec_b32 s14, s13
	s_cbranch_execz .LBB2_850
; %bb.841:                              ;   in Loop: Header=BB2_129 Depth=2
	v_bfrev_b32_e32 v101, 1
	s_mov_b32 s13, exec_lo
	v_cmpx_ne_u16_e32 0x80, v100
	s_cbranch_execz .LBB2_849
; %bb.842:                              ;   in Loop: Header=BB2_129 Depth=2
	v_and_b32_e32 v101, 0x7c, v47
	v_and_b32_e32 v72, 3, v47
	s_delay_alu instid0(VALU_DEP_2) | instskip(SKIP_1) | instid1(SALU_CYCLE_1)
	v_cmp_ne_u32_e32 vcc_lo, 0x7c, v101
                                        ; implicit-def: $vgpr101
	s_and_saveexec_b32 s15, vcc_lo
	s_xor_b32 s15, exec_lo, s15
	s_cbranch_execz .LBB2_846
; %bb.843:                              ;   in Loop: Header=BB2_129 Depth=2
	v_bfe_u32 v101, v47, 2, 5
	s_mov_b32 s45, exec_lo
	s_delay_alu instid0(VALU_DEP_1)
	v_cmpx_eq_u32_e32 0, v101
; %bb.844:                              ;   in Loop: Header=BB2_129 Depth=2
	v_clz_i32_u32_e32 v101, v72
	s_delay_alu instid0(VALU_DEP_1) | instskip(SKIP_1) | instid1(VALU_DEP_2)
	v_min_u32_e32 v47, 32, v101
	v_mov_b32_e32 v101, v39
	v_subrev_nc_u32_e32 v72, 29, v47
	s_delay_alu instid0(VALU_DEP_1) | instskip(NEXT) | instid1(VALU_DEP_1)
	v_lshlrev_b64_e32 v[100:101], v72, v[100:101]
	v_dual_sub_nc_u32 v101, 30, v47 :: v_dual_bitop2_b32 v72, 3, v100 bitop3:0x40
; %bb.845:                              ;   in Loop: Header=BB2_129 Depth=2
	s_or_b32 exec_lo, exec_lo, s45
	v_lshlrev_b32_e32 v38, 16, v38
	s_delay_alu instid0(VALU_DEP_1) | instskip(NEXT) | instid1(VALU_DEP_1)
	v_and_b32_e32 v38, 0x80000000, v38
	v_lshl_add_u32 v38, v101, 23, v38
	s_delay_alu instid0(VALU_DEP_1) | instskip(NEXT) | instid1(VALU_DEP_1)
	v_lshl_or_b32 v38, v72, 21, v38
                                        ; implicit-def: $vgpr72
	v_add_nc_u32_e32 v101, 0x38000000, v38
.LBB2_846:                              ;   in Loop: Header=BB2_129 Depth=2
	s_and_not1_saveexec_b32 s15, s15
; %bb.847:                              ;   in Loop: Header=BB2_129 Depth=2
	v_cmp_lt_i16_e32 vcc_lo, -1, v38
	v_cndmask_b32_e32 v38, 0xff800000, v62, vcc_lo
	v_cmp_eq_u32_e32 vcc_lo, 0, v72
	s_delay_alu instid0(VALU_DEP_2)
	v_cndmask_b32_e32 v101, 0x7f800001, v38, vcc_lo
; %bb.848:                              ;   in Loop: Header=BB2_129 Depth=2
	s_or_b32 exec_lo, exec_lo, s15
.LBB2_849:                              ;   in Loop: Header=BB2_129 Depth=2
	s_delay_alu instid0(SALU_CYCLE_1)
	s_or_b32 exec_lo, exec_lo, s13
.LBB2_850:                              ;   in Loop: Header=BB2_129 Depth=2
	s_delay_alu instid0(SALU_CYCLE_1)
	s_or_b32 exec_lo, exec_lo, s14
	s_mov_b32 s13, 0
	s_mov_b32 s14, exec_lo
	v_cmpx_lt_i16_e32 0x7f, v14
	s_xor_b32 s14, exec_lo, s14
	s_cbranch_execz .LBB2_1018
; %bb.851:                              ;   in Loop: Header=BB2_129 Depth=2
	s_mov_b32 s13, -1
	s_mov_b32 s15, exec_lo
	v_cmpx_eq_u16_e32 0x80, v14
; %bb.852:                              ;   in Loop: Header=BB2_129 Depth=2
	s_xor_b32 s13, exec_lo, -1
; %bb.853:                              ;   in Loop: Header=BB2_129 Depth=2
	s_or_b32 exec_lo, exec_lo, s15
	s_delay_alu instid0(SALU_CYCLE_1)
	s_and_b32 s13, s13, exec_lo
                                        ; implicit-def: $vgpr14
	s_or_saveexec_b32 s14, s14
	v_bfrev_b32_e32 v38, 1
	s_xor_b32 exec_lo, exec_lo, s14
	s_cbranch_execnz .LBB2_1019
.LBB2_854:                              ;   in Loop: Header=BB2_129 Depth=2
	s_or_b32 exec_lo, exec_lo, s14
	s_and_saveexec_b32 s14, s13
.LBB2_855:                              ;   in Loop: Header=BB2_129 Depth=2
	v_dual_cndmask_b32 v10, v10, v45, s12 :: v_dual_cndmask_b32 v11, v11, v46, s12
	s_delay_alu instid0(VALU_DEP_1) | instskip(NEXT) | instid1(VALU_DEP_1)
	v_lshl_add_u32 v10, v10, 23, v15
	v_lshl_or_b32 v10, v11, 21, v10
	s_delay_alu instid0(VALU_DEP_1)
	v_cndmask_b32_e64 v38, v10, v44, s11
.LBB2_856:                              ;   in Loop: Header=BB2_129 Depth=2
	s_or_b32 exec_lo, exec_lo, s14
	s_delay_alu instid0(VALU_DEP_1) | instskip(NEXT) | instid1(VALU_DEP_1)
	v_dual_max_num_f32 v10, v38, v38 :: v_dual_max_num_f32 v11, v101, v101
	v_min_num_f32_e32 v72, v11, v10
.LBB2_857:                              ;   in Loop: Header=BB2_129 Depth=2
	s_delay_alu instid0(VALU_DEP_1) | instskip(SKIP_2) | instid1(VALU_DEP_2)
	v_and_b32_e32 v10, 0x7f800000, v72
	v_mov_b32_e32 v11, v39
	v_and_b32_e32 v38, 0x7fffff, v72
                                        ; implicit-def: $vgpr100
	v_cmp_ne_u64_e32 vcc_lo, 0x7f800000, v[10:11]
	v_lshrrev_b32_e32 v10, 24, v72
	s_and_saveexec_b32 s11, vcc_lo
	s_delay_alu instid0(SALU_CYCLE_1)
	s_xor_b32 s12, exec_lo, s11
	s_cbranch_execz .LBB2_871
; %bb.858:                              ;   in Loop: Header=BB2_129 Depth=2
	v_and_b32_e32 v14, 0x7fffffff, v72
	v_mov_b32_e32 v15, v39
	v_and_b32_e32 v101, 0x80, v10
                                        ; implicit-def: $vgpr100
	s_mov_b32 s11, exec_lo
	s_delay_alu instid0(VALU_DEP_2)
	v_cmpx_gt_u64_e32 0x47600001, v[14:15]
	s_xor_b32 s13, exec_lo, s11
	s_cbranch_execz .LBB2_868
; %bb.859:                              ;   in Loop: Header=BB2_129 Depth=2
	v_mov_b32_e32 v100, 0
	s_mov_b32 s14, exec_lo
	v_cmpx_ne_u32_e32 0, v72
	s_cbranch_execz .LBB2_867
; %bb.860:                              ;   in Loop: Header=BB2_129 Depth=2
	v_bfe_u32 v100, v72, 23, 8
	v_or_b32_e32 v14, 0x800000, v38
	s_delay_alu instid0(VALU_DEP_2) | instskip(SKIP_1) | instid1(VALU_DEP_2)
	v_sub_nc_u32_e32 v10, 0x71, v100
	v_cmp_gt_u32_e32 vcc_lo, 0x72, v100
	v_cndmask_b32_e32 v10, 0, v10, vcc_lo
	v_cmp_eq_u32_e32 vcc_lo, 0, v100
	s_delay_alu instid0(VALU_DEP_2) | instskip(NEXT) | instid1(VALU_DEP_1)
	v_cndmask_b32_e64 v44, v10, 0x70, vcc_lo
	v_dual_cndmask_b32 v38, v14, v38, vcc_lo :: v_dual_add_nc_u32 v10, 21, v44
	v_add_nc_u32_e32 v15, 20, v44
	s_delay_alu instid0(VALU_DEP_2) | instskip(NEXT) | instid1(VALU_DEP_2)
	v_lshlrev_b64_e64 v[10:11], v10, -1
	v_lshlrev_b64_e64 v[14:15], v15, 1
	s_delay_alu instid0(VALU_DEP_2) | instskip(NEXT) | instid1(VALU_DEP_3)
	v_bfi_b32 v47, v11, 0, 0
	v_bfi_b32 v46, v10, 0, v38
	v_lshrrev_b64 v[10:11], v44, v[38:39]
	s_delay_alu instid0(VALU_DEP_2) | instskip(NEXT) | instid1(VALU_DEP_2)
	v_cmp_eq_u64_e64 s11, v[46:47], v[14:15]
	v_mov_b64_e32 v[14:15], v[10:11]
	s_and_saveexec_b32 s15, s11
; %bb.861:                              ;   in Loop: Header=BB2_129 Depth=2
	v_bfe_u32 v38, v10, 21, 1
	s_delay_alu instid0(VALU_DEP_1) | instskip(NEXT) | instid1(VALU_DEP_1)
	v_add_nc_u64_e32 v[14:15], v[10:11], v[38:39]
	v_add_nc_u64_e32 v[14:15], -1, v[14:15]
; %bb.862:                              ;   in Loop: Header=BB2_129 Depth=2
	s_or_b32 exec_lo, exec_lo, s15
	v_add_nc_u32_e32 v11, 0xffffff81, v100
	v_lshrrev_b32_e32 v15, 23, v10
	s_mov_b32 s11, exec_lo
	s_delay_alu instid0(VALU_DEP_2) | instskip(NEXT) | instid1(VALU_DEP_1)
	v_cndmask_b32_e64 v11, v11, 0xffffff82, vcc_lo
	v_add3_u32 v15, v44, v11, v15
	v_and_b32_e32 v11, 0x1fffff, v14
                                        ; implicit-def: $vgpr14
	s_delay_alu instid0(VALU_DEP_1) | instskip(NEXT) | instid1(VALU_DEP_1)
	v_dual_add_nc_u32 v100, 14, v15 :: v_dual_add_nc_u32 v38, v11, v10
                                        ; implicit-def: $vgpr10_vgpr11
	v_cmpx_ne_u32_e32 0, v100
	s_xor_b32 s11, exec_lo, s11
; %bb.863:                              ;   in Loop: Header=BB2_129 Depth=2
	s_delay_alu instid0(VALU_DEP_2) | instskip(SKIP_1) | instid1(VALU_DEP_1)
	v_cmp_lt_u64_e32 vcc_lo, 0xffffff, v[38:39]
	v_add_nc_u32_e32 v10, 15, v15
	v_cndmask_b32_e32 v14, v100, v10, vcc_lo
	v_cndmask_b32_e64 v10, 0, 1, vcc_lo
	s_delay_alu instid0(VALU_DEP_1)
	v_lshrrev_b64 v[10:11], v10, v[38:39]
; %bb.864:                              ;   in Loop: Header=BB2_129 Depth=2
	s_and_not1_saveexec_b32 s11, s11
; %bb.865:                              ;   in Loop: Header=BB2_129 Depth=2
	v_mov_b64_e32 v[10:11], v[38:39]
	v_bfe_u32 v14, v38, 23, 1
; %bb.866:                              ;   in Loop: Header=BB2_129 Depth=2
	s_or_b32 exec_lo, exec_lo, s11
	s_delay_alu instid0(VALU_DEP_2) | instskip(NEXT) | instid1(VALU_DEP_2)
	v_lshrrev_b64 v[10:11], 21, v[10:11]
	v_cmp_gt_i32_e32 vcc_lo, 32, v14
	v_min_i32_e32 v15, 31, v14
	v_cmp_eq_u32_e64 s11, 0, v14
	s_delay_alu instid0(VALU_DEP_4) | instskip(NEXT) | instid1(VALU_DEP_3)
	v_cndmask_b32_e32 v11, 0, v11, vcc_lo
	v_dual_cndmask_b32 v10, 3, v10 :: v_dual_lshlrev_b32 v15, 2, v15
	s_delay_alu instid0(VALU_DEP_1) | instskip(NEXT) | instid1(VALU_DEP_2)
	v_and_b32_e32 v15, 0xfc, v15
	v_cmp_eq_u64_e32 vcc_lo, 0, v[10:11]
	s_delay_alu instid0(VALU_DEP_2)
	v_and_or_b32 v10, v10, 3, v15
	s_and_b32 s11, s11, vcc_lo
	s_delay_alu instid0(VALU_DEP_1) | instid1(SALU_CYCLE_1)
	v_cndmask_b32_e64 v10, v10, 0, s11
	s_delay_alu instid0(VALU_DEP_1)
	v_or_b32_e32 v100, v10, v101
.LBB2_867:                              ;   in Loop: Header=BB2_129 Depth=2
	s_or_b32 exec_lo, exec_lo, s14
                                        ; implicit-def: $vgpr101
.LBB2_868:                              ;   in Loop: Header=BB2_129 Depth=2
	s_and_not1_saveexec_b32 s11, s13
; %bb.869:                              ;   in Loop: Header=BB2_129 Depth=2
	v_or_b32_e32 v100, 0x7b, v101
; %bb.870:                              ;   in Loop: Header=BB2_129 Depth=2
	s_or_b32 exec_lo, exec_lo, s11
                                        ; implicit-def: $vgpr72
                                        ; implicit-def: $vgpr10
.LBB2_871:                              ;   in Loop: Header=BB2_129 Depth=2
	s_and_not1_saveexec_b32 s11, s12
	s_cbranch_execz .LBB2_877
; %bb.872:                              ;   in Loop: Header=BB2_129 Depth=2
	s_mov_b32 s12, exec_lo
                                        ; implicit-def: $vgpr100
	v_cmpx_ne_u64_e32 0, v[38:39]
	s_xor_b32 s12, exec_lo, s12
; %bb.873:                              ;   in Loop: Header=BB2_129 Depth=2
	v_or_b32_e32 v100, 0x7f, v10
                                        ; implicit-def: $vgpr72
; %bb.874:                              ;   in Loop: Header=BB2_129 Depth=2
	s_and_not1_saveexec_b32 s12, s12
; %bb.875:                              ;   in Loop: Header=BB2_129 Depth=2
	v_cmp_lt_i32_e32 vcc_lo, -1, v72
	v_cndmask_b32_e32 v100, 0xfc, v63, vcc_lo
; %bb.876:                              ;   in Loop: Header=BB2_129 Depth=2
	s_or_b32 exec_lo, exec_lo, s12
.LBB2_877:                              ;   in Loop: Header=BB2_129 Depth=2
	s_delay_alu instid0(SALU_CYCLE_1) | instskip(SKIP_4) | instid1(VALU_DEP_3)
	s_or_b32 exec_lo, exec_lo, s11
	v_bfe_u32 v11, v17, 16, 2
	v_dual_lshrrev_b32 v38, 16, v17 :: v_dual_lshlrev_b32 v44, 8, v17
	v_and_b32_e32 v15, 0x7c0000, v17
	s_mov_b32 s14, -1
	v_clz_i32_u32_e32 v14, v11
	s_delay_alu instid0(VALU_DEP_3) | instskip(NEXT) | instid1(VALU_DEP_3)
	v_bfe_i32 v45, v38, 0, 8
	v_cmp_eq_u32_e64 s11, 0x7c0000, v15
	v_and_or_b32 v15, v44, s28, 0x38000000
	s_delay_alu instid0(VALU_DEP_4) | instskip(NEXT) | instid1(VALU_DEP_4)
	v_min_u32_e32 v101, 32, v14
	v_cmp_lt_i16_e32 vcc_lo, -1, v45
	v_bfe_u32 v14, v17, 18, 5
	s_delay_alu instid0(VALU_DEP_3) | instskip(SKIP_1) | instid1(VALU_DEP_3)
	v_subrev_nc_u32_e32 v47, 29, v101
	v_sub_nc_u32_e32 v101, 30, v101
	v_cmp_eq_u32_e64 s12, 0, v14
	s_delay_alu instid0(VALU_DEP_3) | instskip(SKIP_3) | instid1(VALU_DEP_4)
	v_lshlrev_b64_e32 v[72:73], v47, v[38:39]
	v_lshrrev_b32_e32 v10, 16, v13
	v_cndmask_b32_e32 v38, 0xff800000, v62, vcc_lo
	v_cmp_eq_u32_e32 vcc_lo, 0, v11
                                        ; implicit-def: $vgpr47
	v_and_b32_e32 v44, 3, v72
	s_delay_alu instid0(VALU_DEP_4) | instskip(NEXT) | instid1(VALU_DEP_4)
	v_and_b32_e32 v46, 0xff, v10
	v_cndmask_b32_e32 v38, 0x7f800001, v38, vcc_lo
	s_and_b32 vcc_lo, exec_lo, s44
	s_delay_alu instid0(VALU_DEP_2)
	v_cmp_ne_u16_e64 s13, 0, v46
	s_cbranch_vccz .LBB2_895
; %bb.878:                              ;   in Loop: Header=BB2_129 Depth=2
	v_mov_b32_e32 v47, 0
	s_and_saveexec_b32 s14, s13
	s_cbranch_execz .LBB2_888
; %bb.879:                              ;   in Loop: Header=BB2_129 Depth=2
	v_bfrev_b32_e32 v47, 1
	s_mov_b32 s15, exec_lo
	v_cmpx_ne_u16_e32 0x80, v46
	s_cbranch_execz .LBB2_887
; %bb.880:                              ;   in Loop: Header=BB2_129 Depth=2
	v_and_b32_e32 v47, 0x7c0000, v13
	v_bfe_u32 v72, v13, 16, 2
	s_delay_alu instid0(VALU_DEP_2) | instskip(SKIP_1) | instid1(SALU_CYCLE_1)
	v_cmp_ne_u32_e32 vcc_lo, 0x7c0000, v47
                                        ; implicit-def: $vgpr47
	s_and_saveexec_b32 s45, vcc_lo
	s_xor_b32 s45, exec_lo, s45
	s_cbranch_execz .LBB2_884
; %bb.881:                              ;   in Loop: Header=BB2_129 Depth=2
	v_bfe_u32 v47, v13, 18, 5
	s_mov_b32 s46, exec_lo
	s_delay_alu instid0(VALU_DEP_1)
	v_cmpx_eq_u32_e32 0, v47
; %bb.882:                              ;   in Loop: Header=BB2_129 Depth=2
	v_clz_i32_u32_e32 v47, v72
	s_delay_alu instid0(VALU_DEP_1) | instskip(NEXT) | instid1(VALU_DEP_1)
	v_min_u32_e32 v47, 32, v47
	v_subrev_nc_u32_e32 v72, 29, v47
	s_delay_alu instid0(VALU_DEP_1) | instskip(NEXT) | instid1(VALU_DEP_1)
	v_lshlrev_b64_e32 v[72:73], v72, v[10:11]
	v_dual_sub_nc_u32 v47, 30, v47 :: v_dual_bitop2_b32 v72, 3, v72 bitop3:0x40
; %bb.883:                              ;   in Loop: Header=BB2_129 Depth=2
	s_or_b32 exec_lo, exec_lo, s46
	v_lshlrev_b32_e32 v73, 24, v10
	s_delay_alu instid0(VALU_DEP_1) | instskip(NEXT) | instid1(VALU_DEP_1)
	v_and_b32_e32 v73, 0x80000000, v73
	v_lshl_add_u32 v47, v47, 23, v73
	s_delay_alu instid0(VALU_DEP_1) | instskip(NEXT) | instid1(VALU_DEP_1)
	v_lshl_or_b32 v47, v72, 21, v47
                                        ; implicit-def: $vgpr72
	v_add_nc_u32_e32 v47, 0x38000000, v47
.LBB2_884:                              ;   in Loop: Header=BB2_129 Depth=2
	s_and_not1_saveexec_b32 s45, s45
; %bb.885:                              ;   in Loop: Header=BB2_129 Depth=2
	v_bfe_i32 v47, v10, 0, 8
	s_delay_alu instid0(VALU_DEP_1) | instskip(SKIP_2) | instid1(VALU_DEP_2)
	v_cmp_lt_i16_e32 vcc_lo, -1, v47
	v_cndmask_b32_e32 v47, 0xff800000, v62, vcc_lo
	v_cmp_eq_u32_e32 vcc_lo, 0, v72
	v_cndmask_b32_e32 v47, 0x7f800001, v47, vcc_lo
; %bb.886:                              ;   in Loop: Header=BB2_129 Depth=2
	s_or_b32 exec_lo, exec_lo, s45
.LBB2_887:                              ;   in Loop: Header=BB2_129 Depth=2
	s_delay_alu instid0(SALU_CYCLE_1)
	s_or_b32 exec_lo, exec_lo, s15
.LBB2_888:                              ;   in Loop: Header=BB2_129 Depth=2
	s_delay_alu instid0(SALU_CYCLE_1) | instskip(SKIP_3) | instid1(VALU_DEP_1)
	s_or_b32 exec_lo, exec_lo, s14
	v_and_b32_e32 v73, 0xff, v45
	s_mov_b32 s14, 0
	s_mov_b32 s15, exec_lo
	v_cmpx_lt_i16_e32 0x7f, v73
	s_xor_b32 s15, exec_lo, s15
	s_cbranch_execz .LBB2_1020
; %bb.889:                              ;   in Loop: Header=BB2_129 Depth=2
	s_mov_b32 s14, -1
	s_mov_b32 s45, exec_lo
	v_cmpx_eq_u16_e32 0x80, v73
; %bb.890:                              ;   in Loop: Header=BB2_129 Depth=2
	s_xor_b32 s14, exec_lo, -1
; %bb.891:                              ;   in Loop: Header=BB2_129 Depth=2
	s_or_b32 exec_lo, exec_lo, s45
	s_delay_alu instid0(SALU_CYCLE_1)
	s_and_b32 s14, s14, exec_lo
                                        ; implicit-def: $vgpr73
	s_or_saveexec_b32 s15, s15
	v_bfrev_b32_e32 v72, 1
	s_xor_b32 exec_lo, exec_lo, s15
	s_cbranch_execnz .LBB2_1021
.LBB2_892:                              ;   in Loop: Header=BB2_129 Depth=2
	s_or_b32 exec_lo, exec_lo, s15
	s_and_saveexec_b32 s15, s14
.LBB2_893:                              ;   in Loop: Header=BB2_129 Depth=2
	v_dual_cndmask_b32 v72, v14, v101, s12 :: v_dual_cndmask_b32 v73, v11, v44, s12
	s_delay_alu instid0(VALU_DEP_1) | instskip(NEXT) | instid1(VALU_DEP_1)
	v_lshl_add_u32 v72, v72, 23, v15
	v_lshl_or_b32 v72, v73, 21, v72
	s_delay_alu instid0(VALU_DEP_1)
	v_cndmask_b32_e64 v72, v72, v38, s11
.LBB2_894:                              ;   in Loop: Header=BB2_129 Depth=2
	s_or_b32 exec_lo, exec_lo, s15
	s_delay_alu instid0(VALU_DEP_1) | instskip(SKIP_1) | instid1(VALU_DEP_1)
	v_dual_max_num_f32 v72, v72, v72 :: v_dual_max_num_f32 v47, v47, v47
	s_mov_b32 s14, 0
	v_max_num_f32_e32 v47, v47, v72
.LBB2_895:                              ;   in Loop: Header=BB2_129 Depth=2
	s_and_b32 vcc_lo, exec_lo, s14
	s_cbranch_vccz .LBB2_913
; %bb.896:                              ;   in Loop: Header=BB2_129 Depth=2
	v_mov_b32_e32 v47, 0
	s_and_saveexec_b32 s14, s13
	s_cbranch_execz .LBB2_906
; %bb.897:                              ;   in Loop: Header=BB2_129 Depth=2
	v_bfrev_b32_e32 v47, 1
	s_mov_b32 s13, exec_lo
	v_cmpx_ne_u16_e32 0x80, v46
	s_cbranch_execz .LBB2_905
; %bb.898:                              ;   in Loop: Header=BB2_129 Depth=2
	v_and_b32_e32 v47, 0x7c0000, v13
	v_bfe_u32 v46, v13, 16, 2
	s_delay_alu instid0(VALU_DEP_2) | instskip(SKIP_1) | instid1(SALU_CYCLE_1)
	v_cmp_ne_u32_e32 vcc_lo, 0x7c0000, v47
                                        ; implicit-def: $vgpr47
	s_and_saveexec_b32 s15, vcc_lo
	s_xor_b32 s15, exec_lo, s15
	s_cbranch_execz .LBB2_902
; %bb.899:                              ;   in Loop: Header=BB2_129 Depth=2
	v_bfe_u32 v47, v13, 18, 5
	s_mov_b32 s45, exec_lo
	s_delay_alu instid0(VALU_DEP_1)
	v_cmpx_eq_u32_e32 0, v47
; %bb.900:                              ;   in Loop: Header=BB2_129 Depth=2
	v_clz_i32_u32_e32 v46, v46
	s_delay_alu instid0(VALU_DEP_1) | instskip(NEXT) | instid1(VALU_DEP_1)
	v_min_u32_e32 v72, 32, v46
	v_subrev_nc_u32_e32 v46, 29, v72
	s_delay_alu instid0(VALU_DEP_1) | instskip(NEXT) | instid1(VALU_DEP_1)
	v_lshlrev_b64_e32 v[46:47], v46, v[10:11]
	v_dual_sub_nc_u32 v47, 30, v72 :: v_dual_bitop2_b32 v46, 3, v46 bitop3:0x40
; %bb.901:                              ;   in Loop: Header=BB2_129 Depth=2
	s_or_b32 exec_lo, exec_lo, s45
	v_lshlrev_b32_e32 v10, 24, v10
	s_delay_alu instid0(VALU_DEP_1) | instskip(NEXT) | instid1(VALU_DEP_1)
	v_and_b32_e32 v10, 0x80000000, v10
	v_lshl_add_u32 v10, v47, 23, v10
	s_delay_alu instid0(VALU_DEP_1) | instskip(NEXT) | instid1(VALU_DEP_1)
	v_lshl_or_b32 v10, v46, 21, v10
                                        ; implicit-def: $vgpr46
	v_add_nc_u32_e32 v47, 0x38000000, v10
                                        ; implicit-def: $vgpr10
.LBB2_902:                              ;   in Loop: Header=BB2_129 Depth=2
	s_and_not1_saveexec_b32 s15, s15
; %bb.903:                              ;   in Loop: Header=BB2_129 Depth=2
	v_bfe_i32 v10, v10, 0, 8
	s_delay_alu instid0(VALU_DEP_1) | instskip(SKIP_2) | instid1(VALU_DEP_2)
	v_cmp_lt_i16_e32 vcc_lo, -1, v10
	v_cndmask_b32_e32 v10, 0xff800000, v62, vcc_lo
	v_cmp_eq_u32_e32 vcc_lo, 0, v46
	v_cndmask_b32_e32 v47, 0x7f800001, v10, vcc_lo
; %bb.904:                              ;   in Loop: Header=BB2_129 Depth=2
	s_or_b32 exec_lo, exec_lo, s15
.LBB2_905:                              ;   in Loop: Header=BB2_129 Depth=2
	s_delay_alu instid0(SALU_CYCLE_1)
	s_or_b32 exec_lo, exec_lo, s13
.LBB2_906:                              ;   in Loop: Header=BB2_129 Depth=2
	s_delay_alu instid0(SALU_CYCLE_1) | instskip(SKIP_3) | instid1(VALU_DEP_1)
	s_or_b32 exec_lo, exec_lo, s14
	v_and_b32_e32 v45, 0xff, v45
	s_mov_b32 s13, 0
	s_mov_b32 s14, exec_lo
	v_cmpx_lt_i16_e32 0x7f, v45
	s_xor_b32 s14, exec_lo, s14
	s_cbranch_execz .LBB2_1022
; %bb.907:                              ;   in Loop: Header=BB2_129 Depth=2
	s_mov_b32 s13, -1
	s_mov_b32 s15, exec_lo
	v_cmpx_eq_u16_e32 0x80, v45
; %bb.908:                              ;   in Loop: Header=BB2_129 Depth=2
	s_xor_b32 s13, exec_lo, -1
; %bb.909:                              ;   in Loop: Header=BB2_129 Depth=2
	s_or_b32 exec_lo, exec_lo, s15
	s_delay_alu instid0(SALU_CYCLE_1)
	s_and_b32 s13, s13, exec_lo
                                        ; implicit-def: $vgpr45
	s_or_saveexec_b32 s14, s14
	v_bfrev_b32_e32 v10, 1
	s_xor_b32 exec_lo, exec_lo, s14
	s_cbranch_execnz .LBB2_1023
.LBB2_910:                              ;   in Loop: Header=BB2_129 Depth=2
	s_or_b32 exec_lo, exec_lo, s14
	s_and_saveexec_b32 s14, s13
.LBB2_911:                              ;   in Loop: Header=BB2_129 Depth=2
	v_dual_cndmask_b32 v10, v14, v101, s12 :: v_dual_cndmask_b32 v11, v11, v44, s12
	s_delay_alu instid0(VALU_DEP_1) | instskip(NEXT) | instid1(VALU_DEP_1)
	v_lshl_add_u32 v10, v10, 23, v15
	v_lshl_or_b32 v10, v11, 21, v10
	s_delay_alu instid0(VALU_DEP_1)
	v_cndmask_b32_e64 v10, v10, v38, s11
.LBB2_912:                              ;   in Loop: Header=BB2_129 Depth=2
	s_or_b32 exec_lo, exec_lo, s14
	s_delay_alu instid0(VALU_DEP_1) | instskip(NEXT) | instid1(VALU_DEP_1)
	v_dual_max_num_f32 v10, v10, v10 :: v_dual_max_num_f32 v11, v47, v47
	v_min_num_f32_e32 v47, v11, v10
.LBB2_913:                              ;   in Loop: Header=BB2_129 Depth=2
	s_delay_alu instid0(VALU_DEP_1) | instskip(SKIP_2) | instid1(VALU_DEP_2)
	v_and_b32_e32 v10, 0x7f800000, v47
	v_mov_b32_e32 v11, v39
	v_and_b32_e32 v38, 0x7fffff, v47
                                        ; implicit-def: $vgpr14
	v_cmp_ne_u64_e32 vcc_lo, 0x7f800000, v[10:11]
	v_lshrrev_b32_e32 v10, 24, v47
	s_and_saveexec_b32 s11, vcc_lo
	s_delay_alu instid0(SALU_CYCLE_1)
	s_xor_b32 s12, exec_lo, s11
	s_cbranch_execz .LBB2_927
; %bb.914:                              ;   in Loop: Header=BB2_129 Depth=2
	v_and_b32_e32 v14, 0x7fffffff, v47
	v_mov_b32_e32 v15, v39
	v_and_b32_e32 v101, 0x80, v10
	s_delay_alu instid0(VALU_DEP_2) | instskip(SKIP_1) | instid1(SALU_CYCLE_1)
	v_cmp_gt_u64_e32 vcc_lo, 0x47600001, v[14:15]
                                        ; implicit-def: $vgpr14
	s_and_saveexec_b32 s11, vcc_lo
	s_xor_b32 s13, exec_lo, s11
	s_cbranch_execz .LBB2_924
; %bb.915:                              ;   in Loop: Header=BB2_129 Depth=2
	v_mov_b32_e32 v14, 0
	s_mov_b32 s14, exec_lo
	v_cmpx_ne_u32_e32 0, v47
	s_cbranch_execz .LBB2_923
; %bb.916:                              ;   in Loop: Header=BB2_129 Depth=2
	v_bfe_u32 v44, v47, 23, 8
	v_or_b32_e32 v14, 0x800000, v38
	s_delay_alu instid0(VALU_DEP_2) | instskip(SKIP_1) | instid1(VALU_DEP_2)
	v_sub_nc_u32_e32 v10, 0x71, v44
	v_cmp_gt_u32_e32 vcc_lo, 0x72, v44
	v_cndmask_b32_e32 v10, 0, v10, vcc_lo
	v_cmp_eq_u32_e32 vcc_lo, 0, v44
	s_delay_alu instid0(VALU_DEP_2) | instskip(NEXT) | instid1(VALU_DEP_1)
	v_cndmask_b32_e64 v45, v10, 0x70, vcc_lo
	v_dual_cndmask_b32 v38, v14, v38, vcc_lo :: v_dual_add_nc_u32 v10, 21, v45
	v_add_nc_u32_e32 v15, 20, v45
	s_delay_alu instid0(VALU_DEP_2) | instskip(NEXT) | instid1(VALU_DEP_2)
	v_lshlrev_b64_e64 v[10:11], v10, -1
	v_lshlrev_b64_e64 v[14:15], v15, 1
	s_delay_alu instid0(VALU_DEP_2) | instskip(NEXT) | instid1(VALU_DEP_3)
	v_bfi_b32 v47, v11, 0, 0
	v_bfi_b32 v46, v10, 0, v38
	v_lshrrev_b64 v[10:11], v45, v[38:39]
	s_delay_alu instid0(VALU_DEP_2) | instskip(NEXT) | instid1(VALU_DEP_2)
	v_cmp_eq_u64_e64 s11, v[46:47], v[14:15]
	v_mov_b64_e32 v[14:15], v[10:11]
	s_and_saveexec_b32 s15, s11
; %bb.917:                              ;   in Loop: Header=BB2_129 Depth=2
	v_bfe_u32 v38, v10, 21, 1
	s_delay_alu instid0(VALU_DEP_1) | instskip(NEXT) | instid1(VALU_DEP_1)
	v_add_nc_u64_e32 v[14:15], v[10:11], v[38:39]
	v_add_nc_u64_e32 v[14:15], -1, v[14:15]
; %bb.918:                              ;   in Loop: Header=BB2_129 Depth=2
	s_or_b32 exec_lo, exec_lo, s15
	v_add_nc_u32_e32 v11, 0xffffff81, v44
	v_lshrrev_b32_e32 v15, 23, v10
	s_mov_b32 s11, exec_lo
	s_delay_alu instid0(VALU_DEP_2) | instskip(NEXT) | instid1(VALU_DEP_1)
	v_cndmask_b32_e64 v11, v11, 0xffffff82, vcc_lo
	v_add3_u32 v15, v45, v11, v15
	v_and_b32_e32 v11, 0x1fffff, v14
                                        ; implicit-def: $vgpr14
	s_delay_alu instid0(VALU_DEP_1) | instskip(NEXT) | instid1(VALU_DEP_1)
	v_dual_add_nc_u32 v44, 14, v15 :: v_dual_add_nc_u32 v38, v11, v10
                                        ; implicit-def: $vgpr10_vgpr11
	v_cmpx_ne_u32_e32 0, v44
	s_xor_b32 s11, exec_lo, s11
; %bb.919:                              ;   in Loop: Header=BB2_129 Depth=2
	s_delay_alu instid0(VALU_DEP_2) | instskip(SKIP_1) | instid1(VALU_DEP_1)
	v_cmp_lt_u64_e32 vcc_lo, 0xffffff, v[38:39]
	v_add_nc_u32_e32 v10, 15, v15
	v_cndmask_b32_e32 v14, v44, v10, vcc_lo
	v_cndmask_b32_e64 v10, 0, 1, vcc_lo
	s_delay_alu instid0(VALU_DEP_1)
	v_lshrrev_b64 v[10:11], v10, v[38:39]
; %bb.920:                              ;   in Loop: Header=BB2_129 Depth=2
	s_and_not1_saveexec_b32 s11, s11
; %bb.921:                              ;   in Loop: Header=BB2_129 Depth=2
	v_mov_b64_e32 v[10:11], v[38:39]
	v_bfe_u32 v14, v38, 23, 1
; %bb.922:                              ;   in Loop: Header=BB2_129 Depth=2
	s_or_b32 exec_lo, exec_lo, s11
	s_delay_alu instid0(VALU_DEP_2) | instskip(NEXT) | instid1(VALU_DEP_2)
	v_lshrrev_b64 v[10:11], 21, v[10:11]
	v_cmp_gt_i32_e32 vcc_lo, 32, v14
	v_min_i32_e32 v15, 31, v14
	v_cmp_eq_u32_e64 s11, 0, v14
	s_delay_alu instid0(VALU_DEP_4) | instskip(NEXT) | instid1(VALU_DEP_3)
	v_cndmask_b32_e32 v11, 0, v11, vcc_lo
	v_dual_cndmask_b32 v10, 3, v10 :: v_dual_lshlrev_b32 v15, 2, v15
	s_delay_alu instid0(VALU_DEP_1) | instskip(NEXT) | instid1(VALU_DEP_2)
	v_and_b32_e32 v15, 0xfc, v15
	v_cmp_eq_u64_e32 vcc_lo, 0, v[10:11]
	s_delay_alu instid0(VALU_DEP_2)
	v_and_or_b32 v10, v10, 3, v15
	s_and_b32 s11, s11, vcc_lo
	s_delay_alu instid0(VALU_DEP_1) | instid1(SALU_CYCLE_1)
	v_cndmask_b32_e64 v10, v10, 0, s11
	s_delay_alu instid0(VALU_DEP_1)
	v_or_b32_e32 v14, v10, v101
.LBB2_923:                              ;   in Loop: Header=BB2_129 Depth=2
	s_or_b32 exec_lo, exec_lo, s14
                                        ; implicit-def: $vgpr101
.LBB2_924:                              ;   in Loop: Header=BB2_129 Depth=2
	s_and_not1_saveexec_b32 s11, s13
; %bb.925:                              ;   in Loop: Header=BB2_129 Depth=2
	v_or_b32_e32 v14, 0x7b, v101
; %bb.926:                              ;   in Loop: Header=BB2_129 Depth=2
	s_or_b32 exec_lo, exec_lo, s11
                                        ; implicit-def: $vgpr47
                                        ; implicit-def: $vgpr10
.LBB2_927:                              ;   in Loop: Header=BB2_129 Depth=2
	s_and_not1_saveexec_b32 s11, s12
	s_cbranch_execz .LBB2_933
; %bb.928:                              ;   in Loop: Header=BB2_129 Depth=2
	s_mov_b32 s12, exec_lo
                                        ; implicit-def: $vgpr14
	v_cmpx_ne_u64_e32 0, v[38:39]
	s_xor_b32 s12, exec_lo, s12
; %bb.929:                              ;   in Loop: Header=BB2_129 Depth=2
	v_or_b32_e32 v14, 0x7f, v10
                                        ; implicit-def: $vgpr47
; %bb.930:                              ;   in Loop: Header=BB2_129 Depth=2
	s_and_not1_saveexec_b32 s12, s12
; %bb.931:                              ;   in Loop: Header=BB2_129 Depth=2
	v_cmp_lt_i32_e32 vcc_lo, -1, v47
	v_cndmask_b32_e32 v14, 0xfc, v63, vcc_lo
; %bb.932:                              ;   in Loop: Header=BB2_129 Depth=2
	s_or_b32 exec_lo, exec_lo, s12
.LBB2_933:                              ;   in Loop: Header=BB2_129 Depth=2
	s_delay_alu instid0(SALU_CYCLE_1)
	s_or_b32 exec_lo, exec_lo, s11
	v_bfe_u32 v11, v17, 24, 2
	v_lshrrev_b32_e32 v44, 24, v17
	v_and_b32_e32 v45, 0x7c000000, v17
	v_cmp_lt_i64_e32 vcc_lo, -1, v[16:17]
	v_cmp_gt_u64_e64 s11, s[16:17], v[16:17]
	v_clz_i32_u32_e32 v15, v11
	v_cmp_lt_u64_e64 s15, s[18:19], v[12:13]
	v_and_or_b32 v38, v17, s28, 0x38000000
	v_cmp_eq_u32_e64 s12, 0x80, v44
	v_cmp_eq_u32_e64 s13, 0x7c000000, v45
	v_min_u32_e32 v101, 32, v15
	v_bfe_u32 v15, v17, 26, 5
	v_cndmask_b32_e32 v16, 0xff800000, v62, vcc_lo
	v_cmp_eq_u32_e32 vcc_lo, 0, v11
	s_mov_b32 s45, -1
	v_subrev_nc_u32_e32 v46, 29, v101
	v_cmp_eq_u32_e64 s14, 0, v15
	v_dual_cndmask_b32 v16, 0x7f800001, v16 :: v_dual_sub_nc_u32 v17, 30, v101
	s_and_b32 vcc_lo, exec_lo, s44
	v_lshlrev_b64_e32 v[46:47], v46, v[44:45]
	v_lshrrev_b32_e32 v10, 24, v13
                                        ; implicit-def: $vgpr44
	s_delay_alu instid0(VALU_DEP_2)
	v_and_b32_e32 v101, 3, v46
	s_cbranch_vccz .LBB2_945
; %bb.934:                              ;   in Loop: Header=BB2_129 Depth=2
	v_mov_b32_e32 v44, 0
	s_and_saveexec_b32 s45, s15
	s_cbranch_execz .LBB2_944
; %bb.935:                              ;   in Loop: Header=BB2_129 Depth=2
	v_bfrev_b32_e32 v44, 1
	s_mov_b32 s46, exec_lo
	v_cmpx_ne_u32_e32 0x80, v10
	s_cbranch_execz .LBB2_943
; %bb.936:                              ;   in Loop: Header=BB2_129 Depth=2
	v_and_b32_e32 v44, 0x7c000000, v13
	v_bfe_u32 v45, v13, 24, 2
	s_delay_alu instid0(VALU_DEP_2) | instskip(SKIP_1) | instid1(SALU_CYCLE_1)
	v_cmp_ne_u32_e32 vcc_lo, 0x7c000000, v44
                                        ; implicit-def: $vgpr44
	s_and_saveexec_b32 s47, vcc_lo
	s_xor_b32 s47, exec_lo, s47
	s_cbranch_execz .LBB2_940
; %bb.937:                              ;   in Loop: Header=BB2_129 Depth=2
	v_bfe_u32 v44, v13, 26, 5
	s_mov_b32 s56, exec_lo
	s_delay_alu instid0(VALU_DEP_1)
	v_cmpx_eq_u32_e32 0, v44
; %bb.938:                              ;   in Loop: Header=BB2_129 Depth=2
	v_clz_i32_u32_e32 v44, v45
	s_delay_alu instid0(VALU_DEP_1) | instskip(NEXT) | instid1(VALU_DEP_1)
	v_min_u32_e32 v44, 32, v44
	v_subrev_nc_u32_e32 v45, 29, v44
	s_delay_alu instid0(VALU_DEP_1) | instskip(NEXT) | instid1(VALU_DEP_1)
	v_lshlrev_b64_e32 v[46:47], v45, v[10:11]
	v_dual_sub_nc_u32 v44, 30, v44 :: v_dual_bitop2_b32 v45, 3, v46 bitop3:0x40
; %bb.939:                              ;   in Loop: Header=BB2_129 Depth=2
	s_or_b32 exec_lo, exec_lo, s56
	v_and_b32_e32 v46, 0x80000000, v13
	s_delay_alu instid0(VALU_DEP_1) | instskip(NEXT) | instid1(VALU_DEP_1)
	v_lshl_add_u32 v44, v44, 23, v46
	v_lshl_or_b32 v44, v45, 21, v44
                                        ; implicit-def: $vgpr45
	s_delay_alu instid0(VALU_DEP_1)
	v_add_nc_u32_e32 v44, 0x38000000, v44
.LBB2_940:                              ;   in Loop: Header=BB2_129 Depth=2
	s_and_not1_saveexec_b32 s47, s47
; %bb.941:                              ;   in Loop: Header=BB2_129 Depth=2
	v_cmp_lt_i64_e32 vcc_lo, -1, v[12:13]
	v_cndmask_b32_e32 v44, 0xff800000, v62, vcc_lo
	v_cmp_eq_u32_e32 vcc_lo, 0, v45
	s_delay_alu instid0(VALU_DEP_2)
	v_cndmask_b32_e32 v44, 0x7f800001, v44, vcc_lo
; %bb.942:                              ;   in Loop: Header=BB2_129 Depth=2
	s_or_b32 exec_lo, exec_lo, s47
.LBB2_943:                              ;   in Loop: Header=BB2_129 Depth=2
	s_delay_alu instid0(SALU_CYCLE_1)
	s_or_b32 exec_lo, exec_lo, s46
.LBB2_944:                              ;   in Loop: Header=BB2_129 Depth=2
	s_delay_alu instid0(SALU_CYCLE_1) | instskip(NEXT) | instid1(VALU_DEP_1)
	s_or_b32 exec_lo, exec_lo, s45
	v_dual_cndmask_b32 v45, v15, v17, s14 :: v_dual_max_num_f32 v44, v44, v44
	v_cndmask_b32_e64 v46, v11, v101, s14
	s_mov_b32 s45, 0
	s_delay_alu instid0(VALU_DEP_2) | instskip(NEXT) | instid1(VALU_DEP_1)
	v_lshl_add_u32 v45, v45, 23, v38
	v_lshl_or_b32 v45, v46, 21, v45
	s_delay_alu instid0(VALU_DEP_1) | instskip(NEXT) | instid1(VALU_DEP_1)
	v_cndmask_b32_e64 v45, v45, v16, s13
	v_cndmask_b32_e64 v45, v45, 0x80000000, s12
	s_delay_alu instid0(VALU_DEP_1) | instskip(NEXT) | instid1(VALU_DEP_1)
	v_cndmask_b32_e64 v45, v45, 0, s11
	v_max_num_f32_e32 v45, v45, v45
	s_delay_alu instid0(VALU_DEP_1)
	v_max_num_f32_e32 v44, v44, v45
.LBB2_945:                              ;   in Loop: Header=BB2_129 Depth=2
	s_and_b32 vcc_lo, exec_lo, s45
	s_cbranch_vccz .LBB2_957
; %bb.946:                              ;   in Loop: Header=BB2_129 Depth=2
	v_mov_b32_e32 v44, 0
	s_and_saveexec_b32 s45, s15
	s_cbranch_execz .LBB2_956
; %bb.947:                              ;   in Loop: Header=BB2_129 Depth=2
	v_bfrev_b32_e32 v44, 1
	s_mov_b32 s15, exec_lo
	v_cmpx_ne_u32_e32 0x80, v10
	s_cbranch_execz .LBB2_955
; %bb.948:                              ;   in Loop: Header=BB2_129 Depth=2
	v_and_b32_e32 v44, 0x7c000000, v13
	v_bfe_u32 v45, v13, 24, 2
	s_delay_alu instid0(VALU_DEP_2) | instskip(SKIP_1) | instid1(SALU_CYCLE_1)
	v_cmp_ne_u32_e32 vcc_lo, 0x7c000000, v44
                                        ; implicit-def: $vgpr44
	s_and_saveexec_b32 s46, vcc_lo
	s_xor_b32 s46, exec_lo, s46
	s_cbranch_execz .LBB2_952
; %bb.949:                              ;   in Loop: Header=BB2_129 Depth=2
	v_bfe_u32 v12, v13, 26, 5
	s_mov_b32 s47, exec_lo
	s_delay_alu instid0(VALU_DEP_1)
	v_cmpx_eq_u32_e32 0, v12
; %bb.950:                              ;   in Loop: Header=BB2_129 Depth=2
	v_clz_i32_u32_e32 v12, v45
	s_delay_alu instid0(VALU_DEP_1) | instskip(NEXT) | instid1(VALU_DEP_1)
	v_min_u32_e32 v12, 32, v12
	v_subrev_nc_u32_e32 v44, 29, v12
	v_sub_nc_u32_e32 v12, 30, v12
	s_delay_alu instid0(VALU_DEP_2) | instskip(NEXT) | instid1(VALU_DEP_1)
	v_lshlrev_b64_e32 v[44:45], v44, v[10:11]
	v_and_b32_e32 v45, 3, v44
; %bb.951:                              ;   in Loop: Header=BB2_129 Depth=2
	s_or_b32 exec_lo, exec_lo, s47
	v_and_b32_e32 v10, 0x80000000, v13
	s_delay_alu instid0(VALU_DEP_1) | instskip(NEXT) | instid1(VALU_DEP_1)
	v_lshl_add_u32 v10, v12, 23, v10
                                        ; implicit-def: $vgpr12_vgpr13
	v_lshl_or_b32 v10, v45, 21, v10
                                        ; implicit-def: $vgpr45
	s_delay_alu instid0(VALU_DEP_1)
	v_add_nc_u32_e32 v44, 0x38000000, v10
.LBB2_952:                              ;   in Loop: Header=BB2_129 Depth=2
	s_and_not1_saveexec_b32 s46, s46
; %bb.953:                              ;   in Loop: Header=BB2_129 Depth=2
	v_cmp_lt_i64_e32 vcc_lo, -1, v[12:13]
	v_cndmask_b32_e32 v10, 0xff800000, v62, vcc_lo
	v_cmp_eq_u32_e32 vcc_lo, 0, v45
	s_delay_alu instid0(VALU_DEP_2)
	v_cndmask_b32_e32 v44, 0x7f800001, v10, vcc_lo
; %bb.954:                              ;   in Loop: Header=BB2_129 Depth=2
	s_or_b32 exec_lo, exec_lo, s46
.LBB2_955:                              ;   in Loop: Header=BB2_129 Depth=2
	s_delay_alu instid0(SALU_CYCLE_1)
	s_or_b32 exec_lo, exec_lo, s15
.LBB2_956:                              ;   in Loop: Header=BB2_129 Depth=2
	s_delay_alu instid0(SALU_CYCLE_1) | instskip(SKIP_2) | instid1(VALU_DEP_2)
	s_or_b32 exec_lo, exec_lo, s45
	v_cndmask_b32_e64 v10, v15, v17, s14
	v_cndmask_b32_e64 v11, v11, v101, s14
	v_lshl_add_u32 v10, v10, 23, v38
	s_delay_alu instid0(VALU_DEP_1) | instskip(SKIP_1) | instid1(VALU_DEP_2)
	v_lshl_or_b32 v10, v11, 21, v10
	v_max_num_f32_e32 v11, v44, v44
	v_cndmask_b32_e64 v10, v10, v16, s13
	s_delay_alu instid0(VALU_DEP_1) | instskip(NEXT) | instid1(VALU_DEP_1)
	v_cndmask_b32_e64 v10, v10, 0x80000000, s12
	v_cndmask_b32_e64 v10, v10, 0, s11
	s_delay_alu instid0(VALU_DEP_1) | instskip(NEXT) | instid1(VALU_DEP_1)
	v_max_num_f32_e32 v10, v10, v10
	v_min_num_f32_e32 v44, v11, v10
.LBB2_957:                              ;   in Loop: Header=BB2_129 Depth=2
	s_delay_alu instid0(VALU_DEP_1) | instskip(SKIP_2) | instid1(VALU_DEP_2)
	v_and_b32_e32 v10, 0x7f800000, v44
	v_mov_b32_e32 v11, v39
	v_and_b32_e32 v38, 0x7fffff, v44
	v_cmp_ne_u64_e32 vcc_lo, 0x7f800000, v[10:11]
	v_lshrrev_b32_e32 v11, 24, v44
                                        ; implicit-def: $vgpr10
	s_and_saveexec_b32 s11, vcc_lo
	s_delay_alu instid0(SALU_CYCLE_1)
	s_xor_b32 s12, exec_lo, s11
	s_cbranch_execz .LBB2_971
; %bb.958:                              ;   in Loop: Header=BB2_129 Depth=2
	v_and_b32_e32 v12, 0x7fffffff, v44
	v_mov_b32_e32 v13, v39
	v_and_b32_e32 v15, 0x80, v11
                                        ; implicit-def: $vgpr10
	s_mov_b32 s11, exec_lo
	s_delay_alu instid0(VALU_DEP_2)
	v_cmpx_gt_u64_e32 0x47600001, v[12:13]
	s_xor_b32 s13, exec_lo, s11
	s_cbranch_execz .LBB2_968
; %bb.959:                              ;   in Loop: Header=BB2_129 Depth=2
	v_mov_b32_e32 v10, 0
	s_mov_b32 s14, exec_lo
	v_cmpx_ne_u32_e32 0, v44
	s_cbranch_execz .LBB2_967
; %bb.960:                              ;   in Loop: Header=BB2_129 Depth=2
	v_bfe_u32 v16, v44, 23, 8
	v_or_b32_e32 v12, 0x800000, v38
	s_delay_alu instid0(VALU_DEP_2) | instskip(SKIP_1) | instid1(VALU_DEP_2)
	v_sub_nc_u32_e32 v10, 0x71, v16
	v_cmp_gt_u32_e32 vcc_lo, 0x72, v16
	v_cndmask_b32_e32 v10, 0, v10, vcc_lo
	v_cmp_eq_u32_e32 vcc_lo, 0, v16
	s_delay_alu instid0(VALU_DEP_2) | instskip(NEXT) | instid1(VALU_DEP_1)
	v_cndmask_b32_e64 v17, v10, 0x70, vcc_lo
	v_dual_cndmask_b32 v38, v12, v38, vcc_lo :: v_dual_add_nc_u32 v10, 21, v17
	v_add_nc_u32_e32 v13, 20, v17
	s_delay_alu instid0(VALU_DEP_2) | instskip(NEXT) | instid1(VALU_DEP_2)
	v_lshlrev_b64_e64 v[10:11], v10, -1
	v_lshlrev_b64_e64 v[12:13], v13, 1
	s_delay_alu instid0(VALU_DEP_2) | instskip(NEXT) | instid1(VALU_DEP_3)
	v_bfi_b32 v45, v11, 0, 0
	v_bfi_b32 v44, v10, 0, v38
	v_lshrrev_b64 v[10:11], v17, v[38:39]
	s_delay_alu instid0(VALU_DEP_2) | instskip(NEXT) | instid1(VALU_DEP_2)
	v_cmp_eq_u64_e64 s11, v[44:45], v[12:13]
	v_mov_b64_e32 v[12:13], v[10:11]
	s_and_saveexec_b32 s15, s11
; %bb.961:                              ;   in Loop: Header=BB2_129 Depth=2
	v_bfe_u32 v38, v10, 21, 1
	s_delay_alu instid0(VALU_DEP_1) | instskip(NEXT) | instid1(VALU_DEP_1)
	v_add_nc_u64_e32 v[12:13], v[10:11], v[38:39]
	v_add_nc_u64_e32 v[12:13], -1, v[12:13]
; %bb.962:                              ;   in Loop: Header=BB2_129 Depth=2
	s_or_b32 exec_lo, exec_lo, s15
	v_add_nc_u32_e32 v11, 0xffffff81, v16
	v_lshrrev_b32_e32 v13, 23, v10
	s_mov_b32 s11, exec_lo
	s_delay_alu instid0(VALU_DEP_2) | instskip(NEXT) | instid1(VALU_DEP_1)
	v_cndmask_b32_e64 v11, v11, 0xffffff82, vcc_lo
	v_add3_u32 v13, v17, v11, v13
	v_and_b32_e32 v11, 0x1fffff, v12
                                        ; implicit-def: $vgpr12
	s_delay_alu instid0(VALU_DEP_1) | instskip(NEXT) | instid1(VALU_DEP_1)
	v_dual_add_nc_u32 v16, 14, v13 :: v_dual_add_nc_u32 v38, v11, v10
                                        ; implicit-def: $vgpr10_vgpr11
	v_cmpx_ne_u32_e32 0, v16
	s_xor_b32 s11, exec_lo, s11
; %bb.963:                              ;   in Loop: Header=BB2_129 Depth=2
	s_delay_alu instid0(VALU_DEP_2) | instskip(SKIP_1) | instid1(VALU_DEP_1)
	v_cmp_lt_u64_e32 vcc_lo, 0xffffff, v[38:39]
	v_add_nc_u32_e32 v10, 15, v13
	v_cndmask_b32_e32 v12, v16, v10, vcc_lo
	v_cndmask_b32_e64 v10, 0, 1, vcc_lo
	s_delay_alu instid0(VALU_DEP_1)
	v_lshrrev_b64 v[10:11], v10, v[38:39]
; %bb.964:                              ;   in Loop: Header=BB2_129 Depth=2
	s_and_not1_saveexec_b32 s11, s11
; %bb.965:                              ;   in Loop: Header=BB2_129 Depth=2
	v_mov_b64_e32 v[10:11], v[38:39]
	v_bfe_u32 v12, v38, 23, 1
; %bb.966:                              ;   in Loop: Header=BB2_129 Depth=2
	s_or_b32 exec_lo, exec_lo, s11
	s_delay_alu instid0(VALU_DEP_2) | instskip(NEXT) | instid1(VALU_DEP_2)
	v_lshrrev_b64 v[10:11], 21, v[10:11]
	v_cmp_gt_i32_e32 vcc_lo, 32, v12
	v_min_i32_e32 v13, 31, v12
	v_cmp_eq_u32_e64 s11, 0, v12
	s_delay_alu instid0(VALU_DEP_2) | instskip(SKIP_1) | instid1(VALU_DEP_2)
	v_dual_cndmask_b32 v11, 0, v11, vcc_lo :: v_dual_lshlrev_b32 v13, 2, v13
	v_cndmask_b32_e32 v10, 3, v10, vcc_lo
	v_and_b32_e32 v13, 0xfc, v13
	s_delay_alu instid0(VALU_DEP_2) | instskip(NEXT) | instid1(VALU_DEP_2)
	v_cmp_eq_u64_e32 vcc_lo, 0, v[10:11]
	v_and_or_b32 v10, v10, 3, v13
	s_and_b32 s11, s11, vcc_lo
	s_delay_alu instid0(VALU_DEP_1) | instid1(SALU_CYCLE_1)
	v_cndmask_b32_e64 v10, v10, 0, s11
	s_delay_alu instid0(VALU_DEP_1)
	v_or_b32_e32 v10, v10, v15
.LBB2_967:                              ;   in Loop: Header=BB2_129 Depth=2
	s_or_b32 exec_lo, exec_lo, s14
                                        ; implicit-def: $vgpr15
.LBB2_968:                              ;   in Loop: Header=BB2_129 Depth=2
	s_and_not1_saveexec_b32 s11, s13
; %bb.969:                              ;   in Loop: Header=BB2_129 Depth=2
	v_or_b32_e32 v10, 0x7b, v15
; %bb.970:                              ;   in Loop: Header=BB2_129 Depth=2
	s_or_b32 exec_lo, exec_lo, s11
                                        ; implicit-def: $vgpr44
                                        ; implicit-def: $vgpr11
.LBB2_971:                              ;   in Loop: Header=BB2_129 Depth=2
	s_and_not1_saveexec_b32 s11, s12
	s_cbranch_execz .LBB2_128
; %bb.972:                              ;   in Loop: Header=BB2_129 Depth=2
	s_mov_b32 s12, exec_lo
                                        ; implicit-def: $vgpr10
	v_cmpx_ne_u64_e32 0, v[38:39]
	s_xor_b32 s12, exec_lo, s12
; %bb.973:                              ;   in Loop: Header=BB2_129 Depth=2
	v_or_b32_e32 v10, 0x7f, v11
                                        ; implicit-def: $vgpr44
; %bb.974:                              ;   in Loop: Header=BB2_129 Depth=2
	s_and_not1_saveexec_b32 s12, s12
	s_cbranch_execz .LBB2_127
; %bb.975:                              ;   in Loop: Header=BB2_129 Depth=2
	v_cmp_lt_i32_e32 vcc_lo, -1, v44
	v_cndmask_b32_e32 v10, 0xfc, v63, vcc_lo
	s_branch .LBB2_127
.LBB2_976:                              ;   in Loop: Header=BB2_129 Depth=2
	s_or_saveexec_b32 s15, s15
	v_bfrev_b32_e32 v117, 1
	s_xor_b32 exec_lo, exec_lo, s15
	s_cbranch_execz .LBB2_144
.LBB2_977:                              ;   in Loop: Header=BB2_129 Depth=2
	v_cmp_ne_u16_e32 vcc_lo, 0, v118
	v_mov_b32_e32 v117, 0
	s_and_not1_b32 s14, s14, exec_lo
	s_and_b32 s45, vcc_lo, exec_lo
	s_delay_alu instid0(SALU_CYCLE_1)
	s_or_b32 s14, s14, s45
	s_or_b32 exec_lo, exec_lo, s15
	s_and_saveexec_b32 s15, s14
	s_cbranch_execnz .LBB2_145
	s_branch .LBB2_146
.LBB2_978:                              ;   in Loop: Header=BB2_129 Depth=2
	s_or_saveexec_b32 s14, s14
	v_bfrev_b32_e32 v112, 1
	s_xor_b32 exec_lo, exec_lo, s14
	s_cbranch_execz .LBB2_162
.LBB2_979:                              ;   in Loop: Header=BB2_129 Depth=2
	v_cmp_ne_u16_e32 vcc_lo, 0, v113
	v_mov_b32_e32 v112, 0
	s_and_not1_b32 s13, s13, exec_lo
	s_and_b32 s15, vcc_lo, exec_lo
	s_delay_alu instid0(SALU_CYCLE_1)
	s_or_b32 s13, s13, s15
	s_or_b32 exec_lo, exec_lo, s14
	s_and_saveexec_b32 s14, s13
	s_cbranch_execnz .LBB2_163
	s_branch .LBB2_164
.LBB2_980:                              ;   in Loop: Header=BB2_129 Depth=2
	s_or_saveexec_b32 s15, s15
	v_bfrev_b32_e32 v119, 1
	s_xor_b32 exec_lo, exec_lo, s15
	s_cbranch_execz .LBB2_200
.LBB2_981:                              ;   in Loop: Header=BB2_129 Depth=2
	v_cmp_ne_u16_e32 vcc_lo, 0, v38
	v_mov_b32_e32 v119, 0
	s_and_not1_b32 s14, s14, exec_lo
	s_and_b32 s45, vcc_lo, exec_lo
	s_delay_alu instid0(SALU_CYCLE_1)
	s_or_b32 s14, s14, s45
	s_or_b32 exec_lo, exec_lo, s15
	s_and_saveexec_b32 s15, s14
	s_cbranch_execnz .LBB2_201
	s_branch .LBB2_202
.LBB2_982:                              ;   in Loop: Header=BB2_129 Depth=2
	s_or_saveexec_b32 s14, s14
	v_bfrev_b32_e32 v100, 1
	s_xor_b32 exec_lo, exec_lo, s14
	s_cbranch_execz .LBB2_218
.LBB2_983:                              ;   in Loop: Header=BB2_129 Depth=2
	v_cmp_ne_u16_e32 vcc_lo, 0, v38
	v_mov_b32_e32 v100, 0
	s_and_not1_b32 s13, s13, exec_lo
	s_and_b32 s15, vcc_lo, exec_lo
	s_delay_alu instid0(SALU_CYCLE_1)
	s_or_b32 s13, s13, s15
	s_or_b32 exec_lo, exec_lo, s14
	s_and_saveexec_b32 s14, s13
	s_cbranch_execnz .LBB2_219
	s_branch .LBB2_220
.LBB2_984:                              ;   in Loop: Header=BB2_129 Depth=2
	s_or_saveexec_b32 s15, s15
	v_bfrev_b32_e32 v40, 1
	s_xor_b32 exec_lo, exec_lo, s15
	s_cbranch_execz .LBB2_256
.LBB2_985:                              ;   in Loop: Header=BB2_129 Depth=2
	v_cmp_ne_u16_e32 vcc_lo, 0, v41
	v_mov_b32_e32 v40, 0
	s_and_not1_b32 s14, s14, exec_lo
	s_and_b32 s45, vcc_lo, exec_lo
	s_delay_alu instid0(SALU_CYCLE_1)
	s_or_b32 s14, s14, s45
	s_or_b32 exec_lo, exec_lo, s15
	s_and_saveexec_b32 s15, s14
	s_cbranch_execnz .LBB2_257
	s_branch .LBB2_258
.LBB2_986:                              ;   in Loop: Header=BB2_129 Depth=2
	s_or_saveexec_b32 s14, s14
	v_bfrev_b32_e32 v30, 1
	s_xor_b32 exec_lo, exec_lo, s14
	s_cbranch_execz .LBB2_274
.LBB2_987:                              ;   in Loop: Header=BB2_129 Depth=2
	v_cmp_ne_u16_e32 vcc_lo, 0, v113
	v_mov_b32_e32 v30, 0
	s_and_not1_b32 s13, s13, exec_lo
	s_and_b32 s15, vcc_lo, exec_lo
	s_delay_alu instid0(SALU_CYCLE_1)
	s_or_b32 s13, s13, s15
	s_or_b32 exec_lo, exec_lo, s14
	s_and_saveexec_b32 s14, s13
	s_cbranch_execnz .LBB2_275
	s_branch .LBB2_276
.LBB2_988:                              ;   in Loop: Header=BB2_129 Depth=2
	s_or_saveexec_b32 s15, s15
	v_bfrev_b32_e32 v44, 1
	s_xor_b32 exec_lo, exec_lo, s15
	s_cbranch_execz .LBB2_356
.LBB2_989:                              ;   in Loop: Header=BB2_129 Depth=2
	v_cmp_ne_u16_e32 vcc_lo, 0, v45
	v_mov_b32_e32 v44, 0
	s_and_not1_b32 s14, s14, exec_lo
	s_and_b32 s45, vcc_lo, exec_lo
	s_delay_alu instid0(SALU_CYCLE_1)
	s_or_b32 s14, s14, s45
	s_or_b32 exec_lo, exec_lo, s15
	s_and_saveexec_b32 s15, s14
	s_cbranch_execnz .LBB2_357
	s_branch .LBB2_358
.LBB2_990:                              ;   in Loop: Header=BB2_129 Depth=2
	s_or_saveexec_b32 s14, s14
	v_bfrev_b32_e32 v101, 1
	s_xor_b32 exec_lo, exec_lo, s14
	s_cbranch_execz .LBB2_374
.LBB2_991:                              ;   in Loop: Header=BB2_129 Depth=2
	v_cmp_ne_u16_e32 vcc_lo, 0, v41
	v_mov_b32_e32 v101, 0
	s_and_not1_b32 s13, s13, exec_lo
	s_and_b32 s15, vcc_lo, exec_lo
	s_delay_alu instid0(SALU_CYCLE_1)
	s_or_b32 s13, s13, s15
	s_or_b32 exec_lo, exec_lo, s14
	s_and_saveexec_b32 s14, s13
	s_cbranch_execnz .LBB2_375
	s_branch .LBB2_376
.LBB2_992:                              ;   in Loop: Header=BB2_129 Depth=2
	s_or_saveexec_b32 s15, s15
	v_bfrev_b32_e32 v44, 1
	s_xor_b32 exec_lo, exec_lo, s15
	s_cbranch_execz .LBB2_412
.LBB2_993:                              ;   in Loop: Header=BB2_129 Depth=2
	v_cmp_ne_u16_e32 vcc_lo, 0, v102
	v_mov_b32_e32 v44, 0
	s_and_not1_b32 s14, s14, exec_lo
	s_and_b32 s45, vcc_lo, exec_lo
	s_delay_alu instid0(SALU_CYCLE_1)
	s_or_b32 s14, s14, s45
	s_or_b32 exec_lo, exec_lo, s15
	s_and_saveexec_b32 s15, s14
	s_cbranch_execnz .LBB2_413
	s_branch .LBB2_414
.LBB2_994:                              ;   in Loop: Header=BB2_129 Depth=2
	s_or_saveexec_b32 s14, s14
	v_bfrev_b32_e32 v100, 1
	s_xor_b32 exec_lo, exec_lo, s14
	s_cbranch_execz .LBB2_430
.LBB2_995:                              ;   in Loop: Header=BB2_129 Depth=2
	v_cmp_ne_u16_e32 vcc_lo, 0, v102
	v_mov_b32_e32 v100, 0
	s_and_not1_b32 s13, s13, exec_lo
	s_and_b32 s15, vcc_lo, exec_lo
	s_delay_alu instid0(SALU_CYCLE_1)
	s_or_b32 s13, s13, s15
	s_or_b32 exec_lo, exec_lo, s14
	s_and_saveexec_b32 s14, s13
	s_cbranch_execnz .LBB2_431
	s_branch .LBB2_432
.LBB2_996:                              ;   in Loop: Header=BB2_129 Depth=2
	s_or_saveexec_b32 s15, s15
	v_bfrev_b32_e32 v44, 1
	s_xor_b32 exec_lo, exec_lo, s15
	s_cbranch_execz .LBB2_468
.LBB2_997:                              ;   in Loop: Header=BB2_129 Depth=2
	v_cmp_ne_u16_e32 vcc_lo, 0, v45
	v_mov_b32_e32 v44, 0
	s_and_not1_b32 s14, s14, exec_lo
	s_and_b32 s45, vcc_lo, exec_lo
	s_delay_alu instid0(SALU_CYCLE_1)
	s_or_b32 s14, s14, s45
	s_or_b32 exec_lo, exec_lo, s15
	s_and_saveexec_b32 s15, s14
	s_cbranch_execnz .LBB2_469
	s_branch .LBB2_470
.LBB2_998:                              ;   in Loop: Header=BB2_129 Depth=2
	s_or_saveexec_b32 s14, s14
	v_bfrev_b32_e32 v30, 1
	s_xor_b32 exec_lo, exec_lo, s14
	s_cbranch_execz .LBB2_486
.LBB2_999:                              ;   in Loop: Header=BB2_129 Depth=2
	v_cmp_ne_u16_e32 vcc_lo, 0, v41
	v_mov_b32_e32 v30, 0
	s_and_not1_b32 s13, s13, exec_lo
	s_and_b32 s15, vcc_lo, exec_lo
	s_delay_alu instid0(SALU_CYCLE_1)
	s_or_b32 s13, s13, s15
	s_or_b32 exec_lo, exec_lo, s14
	s_and_saveexec_b32 s14, s13
	s_cbranch_execnz .LBB2_487
	s_branch .LBB2_488
.LBB2_1000:                             ;   in Loop: Header=BB2_129 Depth=2
	s_or_saveexec_b32 s15, s15
	v_bfrev_b32_e32 v41, 1
	s_xor_b32 exec_lo, exec_lo, s15
	s_cbranch_execz .LBB2_568
.LBB2_1001:                             ;   in Loop: Header=BB2_129 Depth=2
	v_cmp_ne_u16_e32 vcc_lo, 0, v42
	v_mov_b32_e32 v41, 0
	s_and_not1_b32 s14, s14, exec_lo
	s_and_b32 s45, vcc_lo, exec_lo
	s_delay_alu instid0(SALU_CYCLE_1)
	s_or_b32 s14, s14, s45
	s_or_b32 exec_lo, exec_lo, s15
	s_and_saveexec_b32 s15, s14
	s_cbranch_execnz .LBB2_569
	s_branch .LBB2_570
.LBB2_1002:                             ;   in Loop: Header=BB2_129 Depth=2
	s_or_saveexec_b32 s14, s14
	v_bfrev_b32_e32 v101, 1
	s_xor_b32 exec_lo, exec_lo, s14
	s_cbranch_execz .LBB2_586
.LBB2_1003:                             ;   in Loop: Header=BB2_129 Depth=2
	v_cmp_ne_u16_e32 vcc_lo, 0, v103
	v_mov_b32_e32 v101, 0
	s_and_not1_b32 s13, s13, exec_lo
	s_and_b32 s15, vcc_lo, exec_lo
	s_delay_alu instid0(SALU_CYCLE_1)
	s_or_b32 s13, s13, s15
	s_or_b32 exec_lo, exec_lo, s14
	s_and_saveexec_b32 s14, s13
	s_cbranch_execnz .LBB2_587
	s_branch .LBB2_588
.LBB2_1004:                             ;   in Loop: Header=BB2_129 Depth=2
	s_or_saveexec_b32 s15, s15
	v_bfrev_b32_e32 v43, 1
	s_xor_b32 exec_lo, exec_lo, s15
	s_cbranch_execz .LBB2_624
.LBB2_1005:                             ;   in Loop: Header=BB2_129 Depth=2
	v_cmp_ne_u16_e32 vcc_lo, 0, v38
	v_mov_b32_e32 v43, 0
	s_and_not1_b32 s14, s14, exec_lo
	s_and_b32 s45, vcc_lo, exec_lo
	s_delay_alu instid0(SALU_CYCLE_1)
	s_or_b32 s14, s14, s45
	s_or_b32 exec_lo, exec_lo, s15
	s_and_saveexec_b32 s15, s14
	s_cbranch_execnz .LBB2_625
	s_branch .LBB2_626
.LBB2_1006:                             ;   in Loop: Header=BB2_129 Depth=2
	s_or_saveexec_b32 s14, s14
	v_bfrev_b32_e32 v10, 1
	s_xor_b32 exec_lo, exec_lo, s14
	s_cbranch_execz .LBB2_642
.LBB2_1007:                             ;   in Loop: Header=BB2_129 Depth=2
	v_cmp_ne_u16_e32 vcc_lo, 0, v38
	v_mov_b32_e32 v10, 0
	s_and_not1_b32 s13, s13, exec_lo
	s_and_b32 s15, vcc_lo, exec_lo
	s_delay_alu instid0(SALU_CYCLE_1)
	s_or_b32 s13, s13, s15
	s_or_b32 exec_lo, exec_lo, s14
	s_and_saveexec_b32 s14, s13
	s_cbranch_execnz .LBB2_643
	s_branch .LBB2_644
.LBB2_1008:                             ;   in Loop: Header=BB2_129 Depth=2
	s_or_saveexec_b32 s15, s15
	v_bfrev_b32_e32 v44, 1
	s_xor_b32 exec_lo, exec_lo, s15
	s_cbranch_execz .LBB2_680
.LBB2_1009:                             ;   in Loop: Header=BB2_129 Depth=2
	v_cmp_ne_u16_e32 vcc_lo, 0, v45
	v_mov_b32_e32 v44, 0
	s_and_not1_b32 s14, s14, exec_lo
	s_and_b32 s45, vcc_lo, exec_lo
	s_delay_alu instid0(SALU_CYCLE_1)
	s_or_b32 s14, s14, s45
	s_or_b32 exec_lo, exec_lo, s15
	s_and_saveexec_b32 s15, s14
	s_cbranch_execnz .LBB2_681
	s_branch .LBB2_682
.LBB2_1010:                             ;   in Loop: Header=BB2_129 Depth=2
	s_or_saveexec_b32 s14, s14
	v_bfrev_b32_e32 v10, 1
	s_xor_b32 exec_lo, exec_lo, s14
	s_cbranch_execz .LBB2_698
.LBB2_1011:                             ;   in Loop: Header=BB2_129 Depth=2
	v_cmp_ne_u16_e32 vcc_lo, 0, v41
	v_mov_b32_e32 v10, 0
	s_and_not1_b32 s13, s13, exec_lo
	s_and_b32 s15, vcc_lo, exec_lo
	s_delay_alu instid0(SALU_CYCLE_1)
	s_or_b32 s13, s13, s15
	s_or_b32 exec_lo, exec_lo, s14
	s_and_saveexec_b32 s14, s13
	s_cbranch_execnz .LBB2_699
	s_branch .LBB2_700
.LBB2_1012:                             ;   in Loop: Header=BB2_129 Depth=2
	s_or_saveexec_b32 s15, s15
	v_bfrev_b32_e32 v47, 1
	s_xor_b32 exec_lo, exec_lo, s15
	s_cbranch_execz .LBB2_780
.LBB2_1013:                             ;   in Loop: Header=BB2_129 Depth=2
	v_cmp_ne_u16_e32 vcc_lo, 0, v72
	v_mov_b32_e32 v47, 0
	s_and_not1_b32 s14, s14, exec_lo
	s_and_b32 s45, vcc_lo, exec_lo
	s_delay_alu instid0(SALU_CYCLE_1)
	s_or_b32 s14, s14, s45
	s_or_b32 exec_lo, exec_lo, s15
	s_and_saveexec_b32 s15, s14
	s_cbranch_execnz .LBB2_781
	s_branch .LBB2_782
.LBB2_1014:                             ;   in Loop: Header=BB2_129 Depth=2
	s_or_saveexec_b32 s14, s14
	v_bfrev_b32_e32 v44, 1
	s_xor_b32 exec_lo, exec_lo, s14
	s_cbranch_execz .LBB2_798
.LBB2_1015:                             ;   in Loop: Header=BB2_129 Depth=2
	v_cmp_ne_u16_e32 vcc_lo, 0, v45
	v_mov_b32_e32 v44, 0
	s_and_not1_b32 s13, s13, exec_lo
	s_and_b32 s15, vcc_lo, exec_lo
	s_delay_alu instid0(SALU_CYCLE_1)
	s_or_b32 s13, s13, s15
	s_or_b32 exec_lo, exec_lo, s14
	s_and_saveexec_b32 s14, s13
	s_cbranch_execnz .LBB2_799
	s_branch .LBB2_800
.LBB2_1016:                             ;   in Loop: Header=BB2_129 Depth=2
	s_or_saveexec_b32 s15, s15
	v_bfrev_b32_e32 v72, 1
	s_xor_b32 exec_lo, exec_lo, s15
	s_cbranch_execz .LBB2_836
.LBB2_1017:                             ;   in Loop: Header=BB2_129 Depth=2
	v_cmp_ne_u16_e32 vcc_lo, 0, v14
	v_mov_b32_e32 v72, 0
	s_and_not1_b32 s14, s14, exec_lo
	s_and_b32 s45, vcc_lo, exec_lo
	s_delay_alu instid0(SALU_CYCLE_1)
	s_or_b32 s14, s14, s45
	s_or_b32 exec_lo, exec_lo, s15
	s_and_saveexec_b32 s15, s14
	s_cbranch_execnz .LBB2_837
	s_branch .LBB2_838
.LBB2_1018:                             ;   in Loop: Header=BB2_129 Depth=2
	s_or_saveexec_b32 s14, s14
	v_bfrev_b32_e32 v38, 1
	s_xor_b32 exec_lo, exec_lo, s14
	s_cbranch_execz .LBB2_854
.LBB2_1019:                             ;   in Loop: Header=BB2_129 Depth=2
	v_cmp_ne_u16_e32 vcc_lo, 0, v14
	v_mov_b32_e32 v38, 0
	s_and_not1_b32 s13, s13, exec_lo
	s_and_b32 s15, vcc_lo, exec_lo
	s_delay_alu instid0(SALU_CYCLE_1)
	s_or_b32 s13, s13, s15
	s_or_b32 exec_lo, exec_lo, s14
	s_and_saveexec_b32 s14, s13
	s_cbranch_execnz .LBB2_855
	s_branch .LBB2_856
.LBB2_1020:                             ;   in Loop: Header=BB2_129 Depth=2
	s_or_saveexec_b32 s15, s15
	v_bfrev_b32_e32 v72, 1
	s_xor_b32 exec_lo, exec_lo, s15
	s_cbranch_execz .LBB2_892
.LBB2_1021:                             ;   in Loop: Header=BB2_129 Depth=2
	v_cmp_ne_u16_e32 vcc_lo, 0, v73
	v_mov_b32_e32 v72, 0
	s_and_not1_b32 s14, s14, exec_lo
	s_and_b32 s45, vcc_lo, exec_lo
	s_delay_alu instid0(SALU_CYCLE_1)
	s_or_b32 s14, s14, s45
	s_or_b32 exec_lo, exec_lo, s15
	s_and_saveexec_b32 s15, s14
	s_cbranch_execnz .LBB2_893
	s_branch .LBB2_894
.LBB2_1022:                             ;   in Loop: Header=BB2_129 Depth=2
	s_or_saveexec_b32 s14, s14
	v_bfrev_b32_e32 v10, 1
	s_xor_b32 exec_lo, exec_lo, s14
	s_cbranch_execz .LBB2_910
.LBB2_1023:                             ;   in Loop: Header=BB2_129 Depth=2
	v_cmp_ne_u16_e32 vcc_lo, 0, v45
	v_mov_b32_e32 v10, 0
	s_and_not1_b32 s13, s13, exec_lo
	s_and_b32 s15, vcc_lo, exec_lo
	s_delay_alu instid0(SALU_CYCLE_1)
	s_or_b32 s13, s13, s15
	s_or_b32 exec_lo, exec_lo, s14
	s_and_saveexec_b32 s14, s13
	s_cbranch_execnz .LBB2_911
	s_branch .LBB2_912
.LBB2_1024:                             ;   in Loop: Header=BB2_49 Depth=1
	s_or_b32 exec_lo, exec_lo, s43
.LBB2_1025:                             ;   in Loop: Header=BB2_49 Depth=1
	s_delay_alu instid0(SALU_CYCLE_1) | instskip(SKIP_3) | instid1(VALU_DEP_1)
	s_or_b32 exec_lo, exec_lo, s42
	v_and_b32_e32 v10, 15, v71
	s_mov_b32 s11, 0
	s_mov_b32 s15, exec_lo
                                        ; implicit-def: $vgpr30
	v_dual_cndmask_b32 v72, v81, v10, s10 :: v_dual_mov_b32 v81, 0
	s_delay_alu instid0(VALU_DEP_1)
	v_cmpx_ne_u32_e32 0, v72
	s_cbranch_execz .LBB2_1927
; %bb.1026:                             ;   in Loop: Header=BB2_49 Depth=1
	v_cmp_lt_i32_e32 vcc_lo, 0, v114
	s_mov_b32 s42, exec_lo
	v_cndmask_b32_e32 v10, 0, v48, vcc_lo
	s_delay_alu instid0(VALU_DEP_1) | instskip(NEXT) | instid1(VALU_DEP_1)
	v_sub_nc_u32_e32 v10, v10, v114
	v_lshl_or_b32 v10, v10, 5, v58
	s_delay_alu instid0(VALU_DEP_1) | instskip(NEXT) | instid1(VALU_DEP_1)
	v_ashrrev_i32_e32 v11, 31, v10
	v_lshrrev_b32_e32 v11, 27, v11
	s_delay_alu instid0(VALU_DEP_1) | instskip(NEXT) | instid1(VALU_DEP_1)
	v_add_nc_u32_e32 v11, v10, v11
	v_and_b32_e32 v12, 0xffffffe0, v11
	s_delay_alu instid0(VALU_DEP_1) | instskip(SKIP_1) | instid1(VALU_DEP_2)
	v_sub_nc_u32_e32 v114, v10, v12
	v_and_b32_e32 v12, 0x1f0, v71
	v_dual_lshlrev_b32 v10, 4, v114 :: v_dual_ashrrev_i32 v11, 5, v11
	s_delay_alu instid0(VALU_DEP_1) | instskip(NEXT) | instid1(VALU_DEP_3)
	v_lshl_add_u32 v10, v11, 9, v10
	v_dual_cndmask_b32 v12, 0, v12, s10 :: v_dual_sub_nc_u32 v115, 0, v11
	s_delay_alu instid0(VALU_DEP_2) | instskip(NEXT) | instid1(VALU_DEP_2)
	v_sub_nc_u32_e32 v116, v72, v10
	v_and_or_b32 v81, 0x3ffffe00, v71, v12
	s_delay_alu instid0(VALU_DEP_2)
	v_cmpx_lt_i32_e32 15, v116
	s_cbranch_execz .LBB2_1926
; %bb.1027:                             ;   in Loop: Header=BB2_49 Depth=1
	s_trap 2
	ds_load_b64 v[12:13], v0
	v_add_nc_u32_e32 v10, v10, v81
	s_bitcmp1_b32 s41, 0
	s_mov_b32 s43, 0
	s_cselect_b32 s44, -1, 0
	s_delay_alu instid0(VALU_DEP_1) | instskip(NEXT) | instid1(VALU_DEP_1)
	v_ashrrev_i32_e32 v11, 31, v10
	v_add_nc_u64_e32 v[86:87], v[10:11], v[82:83]
	v_add_nc_u64_e32 v[98:99], v[10:11], v[84:85]
	s_wait_dscnt 0x0
	v_add_nc_u64_e32 v[96:97], v[12:13], v[10:11]
	s_branch .LBB2_1030
.LBB2_1028:                             ;   in Loop: Header=BB2_1030 Depth=2
	s_or_b32 exec_lo, exec_lo, s11
.LBB2_1029:                             ;   in Loop: Header=BB2_1030 Depth=2
	s_delay_alu instid0(SALU_CYCLE_1)
	s_or_b32 exec_lo, exec_lo, s10
	v_lshl_or_b32 v11, v112, 8, v41
	v_dual_lshlrev_b32 v12, 16, v102 :: v_dual_lshlrev_b32 v16, 16, v119
	v_dual_lshlrev_b32 v13, 24, v30 :: v_dual_lshlrev_b32 v17, 24, v40
	v_lshl_or_b32 v15, v118, 8, v117
	v_lshl_or_b32 v30, v113, 8, v103
	v_dual_lshlrev_b32 v38, 16, v42 :: v_dual_lshlrev_b32 v101, 24, v43
	v_dual_lshlrev_b32 v102, 24, v10 :: v_dual_sub_nc_u32 v116, v116, v52
	v_dual_lshlrev_b32 v14, 16, v14 :: v_dual_sub_nc_u32 v115, v115, v48
	v_lshl_or_b32 v100, v100, 8, v44
	v_or3_b32 v11, v11, v12, v13
	v_or3_b32 v10, v15, v16, v17
	;; [unrolled: 1-line block ×3, first 2 shown]
	v_add_nc_u64_e32 v[86:87], v[86:87], v[52:53]
	v_or3_b32 v13, v100, v14, v102
	v_add_nc_u64_e32 v[96:97], v[96:97], v[52:53]
	v_cmp_gt_i32_e32 vcc_lo, 16, v116
	global_store_b128 v[98:99], v[10:13], off th:TH_STORE_NT
	s_wait_xcnt 0x0
	v_add_nc_u64_e32 v[98:99], v[98:99], v[52:53]
	s_or_b32 s43, vcc_lo, s43
	s_delay_alu instid0(SALU_CYCLE_1)
	s_and_not1_b32 exec_lo, exec_lo, s43
	s_cbranch_execz .LBB2_1925
.LBB2_1030:                             ;   Parent Loop BB2_49 Depth=1
                                        ; =>  This Inner Loop Header: Depth=2
	global_load_b128 v[14:17], v[96:97], off th:TH_LOAD_NT
	global_load_b128 v[10:13], v[86:87], off th:TH_LOAD_NT
	s_mov_b32 s13, -1
	s_wait_loadcnt 0x1
	v_dual_lshlrev_b32 v101, 24, v14 :: v_dual_bitop2_b32 v30, 3, v14 bitop3:0x40
	v_bfe_i32 v112, v14, 0, 8
	v_and_b32_e32 v100, 0x7c, v14
	s_wait_loadcnt 0x0
	v_and_b32_e32 v103, 0xff, v10
	v_clz_i32_u32_e32 v38, v30
	v_bfe_i32 v113, v10, 0, 8
	v_cmp_lt_i16_e32 vcc_lo, -1, v112
	v_cmp_eq_u32_e64 s10, 0x7c, v100
	v_and_or_b32 v100, v101, s28, 0x38000000
	v_min_u32_e32 v102, 32, v38
	v_bfe_u32 v38, v14, 2, 5
	v_cndmask_b32_e32 v40, 0xff800000, v62, vcc_lo
	v_cmp_eq_u32_e32 vcc_lo, 0, v30
	v_cmp_ne_u16_e64 s12, 0, v103
	v_subrev_nc_u32_e32 v117, 29, v102
	v_cmp_eq_u32_e64 s11, 0, v38
	v_dual_cndmask_b32 v101, 0x7f800001, v40 :: v_dual_sub_nc_u32 v102, 30, v102
	s_and_b32 vcc_lo, exec_lo, s44
	v_lshlrev_b64_e32 v[118:119], v117, v[14:15]
	s_delay_alu instid0(VALU_DEP_1)
	v_and_b32_e32 v103, 3, v118
                                        ; implicit-def: $vgpr118
	s_cbranch_vccz .LBB2_1048
; %bb.1031:                             ;   in Loop: Header=BB2_1030 Depth=2
	v_mov_b32_e32 v117, 0
	s_wait_xcnt 0x0
	s_and_saveexec_b32 s13, s12
	s_cbranch_execz .LBB2_1041
; %bb.1032:                             ;   in Loop: Header=BB2_1030 Depth=2
	v_bfrev_b32_e32 v117, 1
	s_mov_b32 s14, exec_lo
	v_cmpx_ne_u16_e32 0xff80, v113
	s_cbranch_execz .LBB2_1040
; %bb.1033:                             ;   in Loop: Header=BB2_1030 Depth=2
	v_and_b32_e32 v117, 0x7c, v10
	v_and_b32_e32 v118, 3, v10
	s_delay_alu instid0(VALU_DEP_2) | instskip(SKIP_1) | instid1(SALU_CYCLE_1)
	v_cmp_ne_u32_e32 vcc_lo, 0x7c, v117
                                        ; implicit-def: $vgpr117
	s_and_saveexec_b32 s45, vcc_lo
	s_xor_b32 s45, exec_lo, s45
	s_cbranch_execz .LBB2_1037
; %bb.1034:                             ;   in Loop: Header=BB2_1030 Depth=2
	v_bfe_u32 v117, v10, 2, 5
	s_mov_b32 s46, exec_lo
	s_delay_alu instid0(VALU_DEP_1)
	v_cmpx_eq_u32_e32 0, v117
; %bb.1035:                             ;   in Loop: Header=BB2_1030 Depth=2
	v_clz_i32_u32_e32 v117, v118
	s_delay_alu instid0(VALU_DEP_1) | instskip(NEXT) | instid1(VALU_DEP_1)
	v_min_u32_e32 v117, 32, v117
	v_subrev_nc_u32_e32 v118, 29, v117
	s_delay_alu instid0(VALU_DEP_1) | instskip(NEXT) | instid1(VALU_DEP_1)
	v_lshlrev_b64_e32 v[118:119], v118, v[10:11]
	v_dual_sub_nc_u32 v117, 30, v117 :: v_dual_bitop2_b32 v118, 3, v118 bitop3:0x40
; %bb.1036:                             ;   in Loop: Header=BB2_1030 Depth=2
	s_or_b32 exec_lo, exec_lo, s46
	v_lshlrev_b32_e32 v119, 24, v10
	s_delay_alu instid0(VALU_DEP_1) | instskip(NEXT) | instid1(VALU_DEP_1)
	v_and_b32_e32 v119, 0x80000000, v119
	v_lshl_add_u32 v117, v117, 23, v119
	s_delay_alu instid0(VALU_DEP_1) | instskip(NEXT) | instid1(VALU_DEP_1)
	v_lshl_or_b32 v117, v118, 21, v117
                                        ; implicit-def: $vgpr118
	v_add_nc_u32_e32 v117, 0x38000000, v117
.LBB2_1037:                             ;   in Loop: Header=BB2_1030 Depth=2
	s_and_not1_saveexec_b32 s45, s45
; %bb.1038:                             ;   in Loop: Header=BB2_1030 Depth=2
	v_cmp_lt_i16_e32 vcc_lo, -1, v113
	v_cndmask_b32_e32 v117, 0xff800000, v62, vcc_lo
	v_cmp_eq_u32_e32 vcc_lo, 0, v118
	s_delay_alu instid0(VALU_DEP_2)
	v_cndmask_b32_e32 v117, 0x7f800001, v117, vcc_lo
; %bb.1039:                             ;   in Loop: Header=BB2_1030 Depth=2
	s_or_b32 exec_lo, exec_lo, s45
.LBB2_1040:                             ;   in Loop: Header=BB2_1030 Depth=2
	s_delay_alu instid0(SALU_CYCLE_1)
	s_or_b32 exec_lo, exec_lo, s14
.LBB2_1041:                             ;   in Loop: Header=BB2_1030 Depth=2
	s_delay_alu instid0(SALU_CYCLE_1) | instskip(SKIP_3) | instid1(VALU_DEP_1)
	s_or_b32 exec_lo, exec_lo, s13
	v_and_b32_e32 v119, 0xff, v112
	s_mov_b32 s13, 0
	s_mov_b32 s14, exec_lo
	v_cmpx_lt_i16_e32 0x7f, v119
	s_xor_b32 s14, exec_lo, s14
	s_cbranch_execz .LBB2_1877
; %bb.1042:                             ;   in Loop: Header=BB2_1030 Depth=2
	s_mov_b32 s13, -1
	s_mov_b32 s45, exec_lo
	v_cmpx_eq_u16_e32 0x80, v119
; %bb.1043:                             ;   in Loop: Header=BB2_1030 Depth=2
	s_xor_b32 s13, exec_lo, -1
; %bb.1044:                             ;   in Loop: Header=BB2_1030 Depth=2
	s_or_b32 exec_lo, exec_lo, s45
	s_delay_alu instid0(SALU_CYCLE_1)
	s_and_b32 s13, s13, exec_lo
                                        ; implicit-def: $vgpr119
	s_or_saveexec_b32 s14, s14
	v_bfrev_b32_e32 v118, 1
	s_xor_b32 exec_lo, exec_lo, s14
	s_cbranch_execnz .LBB2_1878
.LBB2_1045:                             ;   in Loop: Header=BB2_1030 Depth=2
	s_or_b32 exec_lo, exec_lo, s14
	s_and_saveexec_b32 s14, s13
.LBB2_1046:                             ;   in Loop: Header=BB2_1030 Depth=2
	v_cndmask_b32_e64 v118, v38, v102, s11
	v_cndmask_b32_e64 v119, v30, v103, s11
	s_delay_alu instid0(VALU_DEP_2) | instskip(NEXT) | instid1(VALU_DEP_1)
	v_lshl_add_u32 v118, v118, 23, v100
	v_lshl_or_b32 v118, v119, 21, v118
	s_delay_alu instid0(VALU_DEP_1)
	v_cndmask_b32_e64 v118, v118, v101, s10
.LBB2_1047:                             ;   in Loop: Header=BB2_1030 Depth=2
	s_or_b32 exec_lo, exec_lo, s14
	s_delay_alu instid0(VALU_DEP_1) | instskip(SKIP_1) | instid1(VALU_DEP_1)
	v_dual_max_num_f32 v118, v118, v118 :: v_dual_max_num_f32 v117, v117, v117
	s_mov_b32 s13, 0
	v_max_num_f32_e32 v118, v117, v118
.LBB2_1048:                             ;   in Loop: Header=BB2_1030 Depth=2
	s_and_b32 vcc_lo, exec_lo, s13
	s_cbranch_vccz .LBB2_1066
; %bb.1049:                             ;   in Loop: Header=BB2_1030 Depth=2
	v_mov_b32_e32 v117, 0
	s_wait_xcnt 0x0
	s_and_saveexec_b32 s13, s12
	s_cbranch_execz .LBB2_1059
; %bb.1050:                             ;   in Loop: Header=BB2_1030 Depth=2
	v_bfrev_b32_e32 v117, 1
	s_mov_b32 s12, exec_lo
	v_cmpx_ne_u16_e32 0xff80, v113
	s_cbranch_execz .LBB2_1058
; %bb.1051:                             ;   in Loop: Header=BB2_1030 Depth=2
	v_and_b32_e32 v117, 0x7c, v10
	v_and_b32_e32 v118, 3, v10
	s_delay_alu instid0(VALU_DEP_2) | instskip(SKIP_1) | instid1(SALU_CYCLE_1)
	v_cmp_ne_u32_e32 vcc_lo, 0x7c, v117
                                        ; implicit-def: $vgpr117
	s_and_saveexec_b32 s14, vcc_lo
	s_xor_b32 s14, exec_lo, s14
	s_cbranch_execz .LBB2_1055
; %bb.1052:                             ;   in Loop: Header=BB2_1030 Depth=2
	v_bfe_u32 v113, v10, 2, 5
	s_mov_b32 s45, exec_lo
	s_delay_alu instid0(VALU_DEP_1)
	v_cmpx_eq_u32_e32 0, v113
; %bb.1053:                             ;   in Loop: Header=BB2_1030 Depth=2
	v_clz_i32_u32_e32 v113, v118
	s_delay_alu instid0(VALU_DEP_1) | instskip(NEXT) | instid1(VALU_DEP_1)
	v_min_u32_e32 v113, 32, v113
	v_subrev_nc_u32_e32 v117, 29, v113
	s_delay_alu instid0(VALU_DEP_1) | instskip(NEXT) | instid1(VALU_DEP_1)
	v_lshlrev_b64_e32 v[118:119], v117, v[10:11]
	v_dual_sub_nc_u32 v113, 30, v113 :: v_dual_bitop2_b32 v118, 3, v118 bitop3:0x40
; %bb.1054:                             ;   in Loop: Header=BB2_1030 Depth=2
	s_or_b32 exec_lo, exec_lo, s45
	v_lshlrev_b32_e32 v117, 24, v10
	s_delay_alu instid0(VALU_DEP_1) | instskip(NEXT) | instid1(VALU_DEP_1)
	v_and_b32_e32 v117, 0x80000000, v117
	v_lshl_add_u32 v113, v113, 23, v117
	s_delay_alu instid0(VALU_DEP_1) | instskip(NEXT) | instid1(VALU_DEP_1)
	v_lshl_or_b32 v113, v118, 21, v113
                                        ; implicit-def: $vgpr118
	v_add_nc_u32_e32 v117, 0x38000000, v113
                                        ; implicit-def: $vgpr113
.LBB2_1055:                             ;   in Loop: Header=BB2_1030 Depth=2
	s_and_not1_saveexec_b32 s14, s14
; %bb.1056:                             ;   in Loop: Header=BB2_1030 Depth=2
	v_cmp_lt_i16_e32 vcc_lo, -1, v113
	v_cndmask_b32_e32 v113, 0xff800000, v62, vcc_lo
	v_cmp_eq_u32_e32 vcc_lo, 0, v118
	s_delay_alu instid0(VALU_DEP_2)
	v_cndmask_b32_e32 v117, 0x7f800001, v113, vcc_lo
; %bb.1057:                             ;   in Loop: Header=BB2_1030 Depth=2
	s_or_b32 exec_lo, exec_lo, s14
.LBB2_1058:                             ;   in Loop: Header=BB2_1030 Depth=2
	s_delay_alu instid0(SALU_CYCLE_1)
	s_or_b32 exec_lo, exec_lo, s12
.LBB2_1059:                             ;   in Loop: Header=BB2_1030 Depth=2
	s_delay_alu instid0(SALU_CYCLE_1) | instskip(SKIP_3) | instid1(VALU_DEP_1)
	s_or_b32 exec_lo, exec_lo, s13
	v_and_b32_e32 v113, 0xff, v112
	s_mov_b32 s12, 0
	s_mov_b32 s13, exec_lo
	v_cmpx_lt_i16_e32 0x7f, v113
	s_xor_b32 s13, exec_lo, s13
	s_cbranch_execz .LBB2_1879
; %bb.1060:                             ;   in Loop: Header=BB2_1030 Depth=2
	s_mov_b32 s12, -1
	s_mov_b32 s14, exec_lo
	v_cmpx_eq_u16_e32 0x80, v113
; %bb.1061:                             ;   in Loop: Header=BB2_1030 Depth=2
	s_xor_b32 s12, exec_lo, -1
; %bb.1062:                             ;   in Loop: Header=BB2_1030 Depth=2
	s_or_b32 exec_lo, exec_lo, s14
	s_delay_alu instid0(SALU_CYCLE_1)
	s_and_b32 s12, s12, exec_lo
                                        ; implicit-def: $vgpr113
	s_or_saveexec_b32 s13, s13
	v_bfrev_b32_e32 v112, 1
	s_xor_b32 exec_lo, exec_lo, s13
	s_cbranch_execnz .LBB2_1880
.LBB2_1063:                             ;   in Loop: Header=BB2_1030 Depth=2
	s_or_b32 exec_lo, exec_lo, s13
	s_and_saveexec_b32 s13, s12
.LBB2_1064:                             ;   in Loop: Header=BB2_1030 Depth=2
	v_cndmask_b32_e64 v38, v38, v102, s11
	v_cndmask_b32_e64 v30, v30, v103, s11
	s_delay_alu instid0(VALU_DEP_2) | instskip(NEXT) | instid1(VALU_DEP_1)
	v_lshl_add_u32 v38, v38, 23, v100
	v_lshl_or_b32 v30, v30, 21, v38
	s_delay_alu instid0(VALU_DEP_1)
	v_cndmask_b32_e64 v112, v30, v101, s10
.LBB2_1065:                             ;   in Loop: Header=BB2_1030 Depth=2
	s_or_b32 exec_lo, exec_lo, s13
	s_delay_alu instid0(VALU_DEP_1) | instskip(NEXT) | instid1(VALU_DEP_1)
	v_dual_max_num_f32 v30, v112, v112 :: v_dual_max_num_f32 v38, v117, v117
	v_min_num_f32_e32 v118, v38, v30
.LBB2_1066:                             ;   in Loop: Header=BB2_1030 Depth=2
	s_delay_alu instid0(VALU_DEP_1) | instskip(SKIP_4) | instid1(VALU_DEP_2)
	v_and_b32_e32 v100, 0x7f800000, v118
	v_dual_mov_b32 v101, v39 :: v_dual_lshrrev_b32 v30, 24, v118
	v_and_b32_e32 v38, 0x7fffff, v118
                                        ; implicit-def: $vgpr117
	s_mov_b32 s10, exec_lo
	s_wait_xcnt 0x0
	v_cmpx_ne_u64_e32 0x7f800000, v[100:101]
	s_xor_b32 s11, exec_lo, s10
	s_cbranch_execz .LBB2_1080
; %bb.1067:                             ;   in Loop: Header=BB2_1030 Depth=2
	v_and_b32_e32 v100, 0x7fffffff, v118
	v_mov_b32_e32 v101, v39
	v_and_b32_e32 v30, 0x80, v30
                                        ; implicit-def: $vgpr117
	s_mov_b32 s10, exec_lo
	s_delay_alu instid0(VALU_DEP_2)
	v_cmpx_gt_u64_e32 0x47600001, v[100:101]
	s_xor_b32 s12, exec_lo, s10
	s_cbranch_execz .LBB2_1077
; %bb.1068:                             ;   in Loop: Header=BB2_1030 Depth=2
	v_mov_b32_e32 v117, 0
	s_mov_b32 s13, exec_lo
	v_cmpx_ne_u32_e32 0, v118
	s_cbranch_execz .LBB2_1076
; %bb.1069:                             ;   in Loop: Header=BB2_1030 Depth=2
	v_bfe_u32 v112, v118, 23, 8
	v_or_b32_e32 v102, 0x800000, v38
	s_delay_alu instid0(VALU_DEP_2) | instskip(SKIP_1) | instid1(VALU_DEP_2)
	v_sub_nc_u32_e32 v100, 0x71, v112
	v_cmp_gt_u32_e32 vcc_lo, 0x72, v112
	v_cndmask_b32_e32 v100, 0, v100, vcc_lo
	v_cmp_eq_u32_e32 vcc_lo, 0, v112
	s_delay_alu instid0(VALU_DEP_2) | instskip(NEXT) | instid1(VALU_DEP_1)
	v_cndmask_b32_e64 v113, v100, 0x70, vcc_lo
	v_dual_cndmask_b32 v38, v102, v38, vcc_lo :: v_dual_add_nc_u32 v100, 21, v113
	v_add_nc_u32_e32 v103, 20, v113
	s_delay_alu instid0(VALU_DEP_2) | instskip(NEXT) | instid1(VALU_DEP_2)
	v_lshlrev_b64_e64 v[100:101], v100, -1
	v_lshlrev_b64_e64 v[102:103], v103, 1
	s_delay_alu instid0(VALU_DEP_2) | instskip(NEXT) | instid1(VALU_DEP_3)
	v_bfi_b32 v119, v101, 0, 0
	v_bfi_b32 v118, v100, 0, v38
	v_lshrrev_b64 v[100:101], v113, v[38:39]
	s_delay_alu instid0(VALU_DEP_2) | instskip(NEXT) | instid1(VALU_DEP_2)
	v_cmp_eq_u64_e64 s10, v[118:119], v[102:103]
	v_mov_b64_e32 v[102:103], v[100:101]
	s_and_saveexec_b32 s14, s10
; %bb.1070:                             ;   in Loop: Header=BB2_1030 Depth=2
	v_bfe_u32 v38, v100, 21, 1
	s_delay_alu instid0(VALU_DEP_1) | instskip(NEXT) | instid1(VALU_DEP_1)
	v_add_nc_u64_e32 v[102:103], v[100:101], v[38:39]
	v_add_nc_u64_e32 v[102:103], -1, v[102:103]
; %bb.1071:                             ;   in Loop: Header=BB2_1030 Depth=2
	s_or_b32 exec_lo, exec_lo, s14
	v_add_nc_u32_e32 v38, 0xffffff81, v112
	v_lshrrev_b32_e32 v101, 23, v100
	s_mov_b32 s10, exec_lo
	s_delay_alu instid0(VALU_DEP_2) | instskip(NEXT) | instid1(VALU_DEP_1)
	v_cndmask_b32_e64 v38, v38, 0xffffff82, vcc_lo
	v_add3_u32 v103, v113, v38, v101
	v_and_b32_e32 v38, 0x1fffff, v102
                                        ; implicit-def: $vgpr102
	s_delay_alu instid0(VALU_DEP_1) | instskip(NEXT) | instid1(VALU_DEP_1)
	v_dual_add_nc_u32 v112, 14, v103 :: v_dual_add_nc_u32 v38, v38, v100
                                        ; implicit-def: $vgpr100_vgpr101
	v_cmpx_ne_u32_e32 0, v112
	s_xor_b32 s10, exec_lo, s10
; %bb.1072:                             ;   in Loop: Header=BB2_1030 Depth=2
	s_delay_alu instid0(VALU_DEP_2) | instskip(SKIP_1) | instid1(VALU_DEP_1)
	v_cmp_lt_u64_e32 vcc_lo, 0xffffff, v[38:39]
	v_add_nc_u32_e32 v100, 15, v103
	v_cndmask_b32_e32 v102, v112, v100, vcc_lo
	v_cndmask_b32_e64 v100, 0, 1, vcc_lo
	s_delay_alu instid0(VALU_DEP_1)
	v_lshrrev_b64 v[100:101], v100, v[38:39]
; %bb.1073:                             ;   in Loop: Header=BB2_1030 Depth=2
	s_and_not1_saveexec_b32 s10, s10
; %bb.1074:                             ;   in Loop: Header=BB2_1030 Depth=2
	v_mov_b64_e32 v[100:101], v[38:39]
	v_bfe_u32 v102, v38, 23, 1
; %bb.1075:                             ;   in Loop: Header=BB2_1030 Depth=2
	s_or_b32 exec_lo, exec_lo, s10
	s_delay_alu instid0(VALU_DEP_2) | instskip(NEXT) | instid1(VALU_DEP_2)
	v_lshrrev_b64 v[100:101], 21, v[100:101]
	v_cmp_gt_i32_e32 vcc_lo, 32, v102
	v_min_i32_e32 v38, 31, v102
	v_cmp_eq_u32_e64 s10, 0, v102
	s_delay_alu instid0(VALU_DEP_2) | instskip(SKIP_1) | instid1(VALU_DEP_2)
	v_dual_cndmask_b32 v101, 0, v101 :: v_dual_lshlrev_b32 v38, 2, v38
	v_cndmask_b32_e32 v100, 3, v100, vcc_lo
	v_and_b32_e32 v38, 0xfc, v38
	s_delay_alu instid0(VALU_DEP_2) | instskip(NEXT) | instid1(VALU_DEP_2)
	v_cmp_eq_u64_e32 vcc_lo, 0, v[100:101]
	v_and_or_b32 v38, v100, 3, v38
	s_and_b32 s10, s10, vcc_lo
	s_delay_alu instid0(VALU_DEP_1) | instid1(SALU_CYCLE_1)
	v_cndmask_b32_e64 v38, v38, 0, s10
	s_delay_alu instid0(VALU_DEP_1)
	v_or_b32_e32 v117, v38, v30
.LBB2_1076:                             ;   in Loop: Header=BB2_1030 Depth=2
	s_or_b32 exec_lo, exec_lo, s13
                                        ; implicit-def: $vgpr30
.LBB2_1077:                             ;   in Loop: Header=BB2_1030 Depth=2
	s_and_not1_saveexec_b32 s10, s12
; %bb.1078:                             ;   in Loop: Header=BB2_1030 Depth=2
	v_or_b32_e32 v117, 0x7b, v30
; %bb.1079:                             ;   in Loop: Header=BB2_1030 Depth=2
	s_or_b32 exec_lo, exec_lo, s10
                                        ; implicit-def: $vgpr118
                                        ; implicit-def: $vgpr30
.LBB2_1080:                             ;   in Loop: Header=BB2_1030 Depth=2
	s_and_not1_saveexec_b32 s10, s11
	s_cbranch_execz .LBB2_1086
; %bb.1081:                             ;   in Loop: Header=BB2_1030 Depth=2
	s_mov_b32 s11, exec_lo
                                        ; implicit-def: $vgpr117
	v_cmpx_ne_u64_e32 0, v[38:39]
	s_xor_b32 s11, exec_lo, s11
; %bb.1082:                             ;   in Loop: Header=BB2_1030 Depth=2
	v_or_b32_e32 v117, 0x7f, v30
                                        ; implicit-def: $vgpr118
; %bb.1083:                             ;   in Loop: Header=BB2_1030 Depth=2
	s_and_not1_saveexec_b32 s11, s11
; %bb.1084:                             ;   in Loop: Header=BB2_1030 Depth=2
	v_cmp_lt_i32_e32 vcc_lo, -1, v118
	v_cndmask_b32_e32 v117, 0xfc, v63, vcc_lo
; %bb.1085:                             ;   in Loop: Header=BB2_1030 Depth=2
	s_or_b32 exec_lo, exec_lo, s11
.LBB2_1086:                             ;   in Loop: Header=BB2_1030 Depth=2
	s_delay_alu instid0(SALU_CYCLE_1) | instskip(SKIP_3) | instid1(VALU_DEP_2)
	s_or_b32 exec_lo, exec_lo, s10
	v_lshrrev_b16 v38, 8, v14
	v_cmp_lt_i16_e32 vcc_lo, -1, v14
	s_mov_b32 s13, -1
	v_and_b32_e32 v101, 0xffff, v38
	s_delay_alu instid0(VALU_DEP_1) | instskip(SKIP_2) | instid1(VALU_DEP_3)
	v_dual_lshlrev_b32 v103, 24, v38 :: v_dual_bitop2_b32 v30, 3, v101 bitop3:0x40
	v_and_b32_e32 v42, 0x7c, v101
	v_bfe_u32 v102, v101, 2, 5
                                        ; implicit-def: $vgpr101
	v_and_or_b32 v103, v103, s28, 0x38000000
	s_delay_alu instid0(VALU_DEP_4) | instskip(NEXT) | instid1(VALU_DEP_4)
	v_clz_i32_u32_e32 v100, v30
	v_cmp_eq_u32_e64 s10, 0x7c, v42
	s_delay_alu instid0(VALU_DEP_4) | instskip(NEXT) | instid1(VALU_DEP_3)
	v_cmp_eq_u32_e64 s11, 0, v102
	v_min_u32_e32 v113, 32, v100
	v_lshrrev_b16 v100, 8, v10
	v_cndmask_b32_e32 v112, 0xff800000, v62, vcc_lo
	v_cmp_eq_u32_e32 vcc_lo, 0, v30
	s_delay_alu instid0(VALU_DEP_4) | instskip(NEXT) | instid1(VALU_DEP_4)
	v_subrev_nc_u32_e32 v118, 29, v113
	v_and_b32_e32 v119, 0xffff, v100
	v_cmp_ne_u16_e64 s12, 0, v100
	v_dual_cndmask_b32 v112, 0x7f800001, v112 :: v_dual_sub_nc_u32 v113, 30, v113
	s_delay_alu instid0(VALU_DEP_4) | instskip(SKIP_1) | instid1(VALU_DEP_1)
	v_lshlrev_b64_e32 v[40:41], v118, v[38:39]
	s_and_b32 vcc_lo, exec_lo, s44
	v_and_b32_e32 v118, 3, v40
	s_cbranch_vccz .LBB2_1104
; %bb.1087:                             ;   in Loop: Header=BB2_1030 Depth=2
	v_mov_b32_e32 v101, 0
	s_and_saveexec_b32 s13, s12
	s_cbranch_execz .LBB2_1097
; %bb.1088:                             ;   in Loop: Header=BB2_1030 Depth=2
	v_bfrev_b32_e32 v101, 1
	s_mov_b32 s14, exec_lo
	v_cmpx_ne_u16_e32 0x80, v100
	s_cbranch_execz .LBB2_1096
; %bb.1089:                             ;   in Loop: Header=BB2_1030 Depth=2
	v_and_b32_e32 v101, 0x7c, v119
	v_and_b32_e32 v40, 3, v119
	s_delay_alu instid0(VALU_DEP_2) | instskip(SKIP_1) | instid1(SALU_CYCLE_1)
	v_cmp_ne_u32_e32 vcc_lo, 0x7c, v101
                                        ; implicit-def: $vgpr101
	s_and_saveexec_b32 s45, vcc_lo
	s_xor_b32 s45, exec_lo, s45
	s_cbranch_execz .LBB2_1093
; %bb.1090:                             ;   in Loop: Header=BB2_1030 Depth=2
	v_bfe_u32 v101, v119, 2, 5
	s_mov_b32 s46, exec_lo
	s_delay_alu instid0(VALU_DEP_1)
	v_cmpx_eq_u32_e32 0, v101
; %bb.1091:                             ;   in Loop: Header=BB2_1030 Depth=2
	v_clz_i32_u32_e32 v101, v40
	s_delay_alu instid0(VALU_DEP_1) | instskip(SKIP_1) | instid1(VALU_DEP_2)
	v_min_u32_e32 v42, 32, v101
	v_mov_b32_e32 v101, v39
	v_subrev_nc_u32_e32 v40, 29, v42
	s_delay_alu instid0(VALU_DEP_1) | instskip(NEXT) | instid1(VALU_DEP_1)
	v_lshlrev_b64_e32 v[40:41], v40, v[100:101]
	v_dual_sub_nc_u32 v101, 30, v42 :: v_dual_bitop2_b32 v40, 3, v40 bitop3:0x40
; %bb.1092:                             ;   in Loop: Header=BB2_1030 Depth=2
	s_or_b32 exec_lo, exec_lo, s46
	v_lshlrev_b32_e32 v41, 16, v10
	s_delay_alu instid0(VALU_DEP_1) | instskip(NEXT) | instid1(VALU_DEP_1)
	v_and_b32_e32 v41, 0x80000000, v41
	v_lshl_add_u32 v101, v101, 23, v41
	s_delay_alu instid0(VALU_DEP_1) | instskip(NEXT) | instid1(VALU_DEP_1)
	v_lshl_or_b32 v101, v40, 21, v101
                                        ; implicit-def: $vgpr40
	v_add_nc_u32_e32 v101, 0x38000000, v101
.LBB2_1093:                             ;   in Loop: Header=BB2_1030 Depth=2
	s_and_not1_saveexec_b32 s45, s45
; %bb.1094:                             ;   in Loop: Header=BB2_1030 Depth=2
	v_cmp_lt_i16_e32 vcc_lo, -1, v10
	v_cndmask_b32_e32 v101, 0xff800000, v62, vcc_lo
	v_cmp_eq_u32_e32 vcc_lo, 0, v40
	s_delay_alu instid0(VALU_DEP_2)
	v_cndmask_b32_e32 v101, 0x7f800001, v101, vcc_lo
; %bb.1095:                             ;   in Loop: Header=BB2_1030 Depth=2
	s_or_b32 exec_lo, exec_lo, s45
.LBB2_1096:                             ;   in Loop: Header=BB2_1030 Depth=2
	s_delay_alu instid0(SALU_CYCLE_1)
	s_or_b32 exec_lo, exec_lo, s14
.LBB2_1097:                             ;   in Loop: Header=BB2_1030 Depth=2
	s_delay_alu instid0(SALU_CYCLE_1)
	s_or_b32 exec_lo, exec_lo, s13
	s_mov_b32 s13, 0
	s_mov_b32 s14, exec_lo
	v_cmpx_lt_i16_e32 0x7f, v38
	s_xor_b32 s14, exec_lo, s14
	s_cbranch_execz .LBB2_1881
; %bb.1098:                             ;   in Loop: Header=BB2_1030 Depth=2
	s_mov_b32 s13, -1
	s_mov_b32 s45, exec_lo
	v_cmpx_eq_u16_e32 0x80, v38
; %bb.1099:                             ;   in Loop: Header=BB2_1030 Depth=2
	s_xor_b32 s13, exec_lo, -1
; %bb.1100:                             ;   in Loop: Header=BB2_1030 Depth=2
	s_or_b32 exec_lo, exec_lo, s45
	s_delay_alu instid0(SALU_CYCLE_1)
	s_and_b32 s13, s13, exec_lo
	s_or_saveexec_b32 s14, s14
	v_bfrev_b32_e32 v40, 1
	s_xor_b32 exec_lo, exec_lo, s14
	s_cbranch_execnz .LBB2_1882
.LBB2_1101:                             ;   in Loop: Header=BB2_1030 Depth=2
	s_or_b32 exec_lo, exec_lo, s14
	s_and_saveexec_b32 s14, s13
.LBB2_1102:                             ;   in Loop: Header=BB2_1030 Depth=2
	v_cndmask_b32_e64 v40, v102, v113, s11
	v_cndmask_b32_e64 v41, v30, v118, s11
	s_delay_alu instid0(VALU_DEP_2) | instskip(NEXT) | instid1(VALU_DEP_1)
	v_lshl_add_u32 v40, v40, 23, v103
	v_lshl_or_b32 v40, v41, 21, v40
	s_delay_alu instid0(VALU_DEP_1)
	v_cndmask_b32_e64 v40, v40, v112, s10
.LBB2_1103:                             ;   in Loop: Header=BB2_1030 Depth=2
	s_or_b32 exec_lo, exec_lo, s14
	s_delay_alu instid0(VALU_DEP_1) | instskip(SKIP_1) | instid1(VALU_DEP_1)
	v_dual_max_num_f32 v40, v40, v40 :: v_dual_max_num_f32 v101, v101, v101
	s_mov_b32 s13, 0
	v_max_num_f32_e32 v101, v101, v40
.LBB2_1104:                             ;   in Loop: Header=BB2_1030 Depth=2
	s_and_b32 vcc_lo, exec_lo, s13
	s_cbranch_vccz .LBB2_1122
; %bb.1105:                             ;   in Loop: Header=BB2_1030 Depth=2
	v_mov_b32_e32 v101, 0
	s_and_saveexec_b32 s13, s12
	s_cbranch_execz .LBB2_1115
; %bb.1106:                             ;   in Loop: Header=BB2_1030 Depth=2
	v_bfrev_b32_e32 v101, 1
	s_mov_b32 s12, exec_lo
	v_cmpx_ne_u16_e32 0x80, v100
	s_cbranch_execz .LBB2_1114
; %bb.1107:                             ;   in Loop: Header=BB2_1030 Depth=2
	v_and_b32_e32 v101, 0x7c, v119
	v_and_b32_e32 v40, 3, v119
	s_delay_alu instid0(VALU_DEP_2) | instskip(SKIP_1) | instid1(SALU_CYCLE_1)
	v_cmp_ne_u32_e32 vcc_lo, 0x7c, v101
                                        ; implicit-def: $vgpr101
	s_and_saveexec_b32 s14, vcc_lo
	s_xor_b32 s14, exec_lo, s14
	s_cbranch_execz .LBB2_1111
; %bb.1108:                             ;   in Loop: Header=BB2_1030 Depth=2
	v_bfe_u32 v101, v119, 2, 5
	s_mov_b32 s45, exec_lo
	s_delay_alu instid0(VALU_DEP_1)
	v_cmpx_eq_u32_e32 0, v101
; %bb.1109:                             ;   in Loop: Header=BB2_1030 Depth=2
	v_clz_i32_u32_e32 v101, v40
	s_delay_alu instid0(VALU_DEP_1) | instskip(SKIP_1) | instid1(VALU_DEP_2)
	v_min_u32_e32 v119, 32, v101
	v_mov_b32_e32 v101, v39
	v_subrev_nc_u32_e32 v40, 29, v119
	s_delay_alu instid0(VALU_DEP_1) | instskip(NEXT) | instid1(VALU_DEP_1)
	v_lshlrev_b64_e32 v[100:101], v40, v[100:101]
	v_dual_sub_nc_u32 v101, 30, v119 :: v_dual_bitop2_b32 v40, 3, v100 bitop3:0x40
; %bb.1110:                             ;   in Loop: Header=BB2_1030 Depth=2
	s_or_b32 exec_lo, exec_lo, s45
	v_lshlrev_b32_e32 v100, 16, v10
	s_delay_alu instid0(VALU_DEP_1) | instskip(NEXT) | instid1(VALU_DEP_1)
	v_and_b32_e32 v100, 0x80000000, v100
	v_lshl_add_u32 v100, v101, 23, v100
	s_delay_alu instid0(VALU_DEP_1) | instskip(NEXT) | instid1(VALU_DEP_1)
	v_lshl_or_b32 v100, v40, 21, v100
                                        ; implicit-def: $vgpr40
	v_add_nc_u32_e32 v101, 0x38000000, v100
.LBB2_1111:                             ;   in Loop: Header=BB2_1030 Depth=2
	s_and_not1_saveexec_b32 s14, s14
; %bb.1112:                             ;   in Loop: Header=BB2_1030 Depth=2
	v_cmp_lt_i16_e32 vcc_lo, -1, v10
	v_cndmask_b32_e32 v100, 0xff800000, v62, vcc_lo
	v_cmp_eq_u32_e32 vcc_lo, 0, v40
	s_delay_alu instid0(VALU_DEP_2)
	v_cndmask_b32_e32 v101, 0x7f800001, v100, vcc_lo
; %bb.1113:                             ;   in Loop: Header=BB2_1030 Depth=2
	s_or_b32 exec_lo, exec_lo, s14
.LBB2_1114:                             ;   in Loop: Header=BB2_1030 Depth=2
	s_delay_alu instid0(SALU_CYCLE_1)
	s_or_b32 exec_lo, exec_lo, s12
.LBB2_1115:                             ;   in Loop: Header=BB2_1030 Depth=2
	s_delay_alu instid0(SALU_CYCLE_1)
	s_or_b32 exec_lo, exec_lo, s13
	s_mov_b32 s12, 0
	s_mov_b32 s13, exec_lo
	v_cmpx_lt_i16_e32 0x7f, v38
	s_xor_b32 s13, exec_lo, s13
	s_cbranch_execz .LBB2_1883
; %bb.1116:                             ;   in Loop: Header=BB2_1030 Depth=2
	s_mov_b32 s12, -1
	s_mov_b32 s14, exec_lo
	v_cmpx_eq_u16_e32 0x80, v38
; %bb.1117:                             ;   in Loop: Header=BB2_1030 Depth=2
	s_xor_b32 s12, exec_lo, -1
; %bb.1118:                             ;   in Loop: Header=BB2_1030 Depth=2
	s_or_b32 exec_lo, exec_lo, s14
	s_delay_alu instid0(SALU_CYCLE_1)
	s_and_b32 s12, s12, exec_lo
	s_or_saveexec_b32 s13, s13
	v_bfrev_b32_e32 v100, 1
	s_xor_b32 exec_lo, exec_lo, s13
	s_cbranch_execnz .LBB2_1884
.LBB2_1119:                             ;   in Loop: Header=BB2_1030 Depth=2
	s_or_b32 exec_lo, exec_lo, s13
	s_and_saveexec_b32 s13, s12
.LBB2_1120:                             ;   in Loop: Header=BB2_1030 Depth=2
	v_cndmask_b32_e64 v38, v102, v113, s11
	v_cndmask_b32_e64 v30, v30, v118, s11
	s_delay_alu instid0(VALU_DEP_2) | instskip(NEXT) | instid1(VALU_DEP_1)
	v_lshl_add_u32 v38, v38, 23, v103
	v_lshl_or_b32 v30, v30, 21, v38
	s_delay_alu instid0(VALU_DEP_1)
	v_cndmask_b32_e64 v100, v30, v112, s10
.LBB2_1121:                             ;   in Loop: Header=BB2_1030 Depth=2
	s_or_b32 exec_lo, exec_lo, s13
	s_delay_alu instid0(VALU_DEP_1) | instskip(NEXT) | instid1(VALU_DEP_1)
	v_dual_max_num_f32 v30, v100, v100 :: v_dual_max_num_f32 v38, v101, v101
	v_min_num_f32_e32 v101, v38, v30
.LBB2_1122:                             ;   in Loop: Header=BB2_1030 Depth=2
	s_delay_alu instid0(VALU_DEP_1) | instskip(SKIP_3) | instid1(VALU_DEP_2)
	v_and_b32_e32 v102, 0x7f800000, v101
	v_dual_mov_b32 v103, v39 :: v_dual_lshrrev_b32 v30, 24, v101
	v_and_b32_e32 v38, 0x7fffff, v101
                                        ; implicit-def: $vgpr118
	s_mov_b32 s10, exec_lo
	v_cmpx_ne_u64_e32 0x7f800000, v[102:103]
	s_xor_b32 s11, exec_lo, s10
	s_cbranch_execz .LBB2_1136
; %bb.1123:                             ;   in Loop: Header=BB2_1030 Depth=2
	v_and_b32_e32 v102, 0x7fffffff, v101
	v_mov_b32_e32 v103, v39
	v_and_b32_e32 v30, 0x80, v30
                                        ; implicit-def: $vgpr118
	s_mov_b32 s10, exec_lo
	s_delay_alu instid0(VALU_DEP_2)
	v_cmpx_gt_u64_e32 0x47600001, v[102:103]
	s_xor_b32 s12, exec_lo, s10
	s_cbranch_execz .LBB2_1133
; %bb.1124:                             ;   in Loop: Header=BB2_1030 Depth=2
	v_mov_b32_e32 v118, 0
	s_mov_b32 s13, exec_lo
	v_cmpx_ne_u32_e32 0, v101
	s_cbranch_execz .LBB2_1132
; %bb.1125:                             ;   in Loop: Header=BB2_1030 Depth=2
	v_bfe_u32 v112, v101, 23, 8
	v_or_b32_e32 v102, 0x800000, v38
	s_delay_alu instid0(VALU_DEP_2) | instskip(SKIP_1) | instid1(VALU_DEP_2)
	v_sub_nc_u32_e32 v100, 0x71, v112
	v_cmp_gt_u32_e32 vcc_lo, 0x72, v112
	v_cndmask_b32_e32 v100, 0, v100, vcc_lo
	v_cmp_eq_u32_e32 vcc_lo, 0, v112
	s_delay_alu instid0(VALU_DEP_2) | instskip(NEXT) | instid1(VALU_DEP_1)
	v_cndmask_b32_e64 v113, v100, 0x70, vcc_lo
	v_dual_cndmask_b32 v38, v102, v38, vcc_lo :: v_dual_add_nc_u32 v100, 21, v113
	v_add_nc_u32_e32 v103, 20, v113
	s_delay_alu instid0(VALU_DEP_2) | instskip(NEXT) | instid1(VALU_DEP_2)
	v_lshlrev_b64_e64 v[100:101], v100, -1
	v_lshlrev_b64_e64 v[102:103], v103, 1
	s_delay_alu instid0(VALU_DEP_2) | instskip(NEXT) | instid1(VALU_DEP_3)
	v_bfi_b32 v119, v101, 0, 0
	v_bfi_b32 v118, v100, 0, v38
	v_lshrrev_b64 v[100:101], v113, v[38:39]
	s_delay_alu instid0(VALU_DEP_2) | instskip(NEXT) | instid1(VALU_DEP_2)
	v_cmp_eq_u64_e64 s10, v[118:119], v[102:103]
	v_mov_b64_e32 v[102:103], v[100:101]
	s_and_saveexec_b32 s14, s10
; %bb.1126:                             ;   in Loop: Header=BB2_1030 Depth=2
	v_bfe_u32 v38, v100, 21, 1
	s_delay_alu instid0(VALU_DEP_1) | instskip(NEXT) | instid1(VALU_DEP_1)
	v_add_nc_u64_e32 v[102:103], v[100:101], v[38:39]
	v_add_nc_u64_e32 v[102:103], -1, v[102:103]
; %bb.1127:                             ;   in Loop: Header=BB2_1030 Depth=2
	s_or_b32 exec_lo, exec_lo, s14
	v_add_nc_u32_e32 v38, 0xffffff81, v112
	v_lshrrev_b32_e32 v101, 23, v100
	s_mov_b32 s10, exec_lo
	s_delay_alu instid0(VALU_DEP_2) | instskip(NEXT) | instid1(VALU_DEP_1)
	v_cndmask_b32_e64 v38, v38, 0xffffff82, vcc_lo
	v_add3_u32 v103, v113, v38, v101
	v_and_b32_e32 v38, 0x1fffff, v102
                                        ; implicit-def: $vgpr102
	s_delay_alu instid0(VALU_DEP_1) | instskip(NEXT) | instid1(VALU_DEP_1)
	v_dual_add_nc_u32 v112, 14, v103 :: v_dual_add_nc_u32 v38, v38, v100
                                        ; implicit-def: $vgpr100_vgpr101
	v_cmpx_ne_u32_e32 0, v112
	s_xor_b32 s10, exec_lo, s10
; %bb.1128:                             ;   in Loop: Header=BB2_1030 Depth=2
	s_delay_alu instid0(VALU_DEP_2) | instskip(SKIP_1) | instid1(VALU_DEP_1)
	v_cmp_lt_u64_e32 vcc_lo, 0xffffff, v[38:39]
	v_add_nc_u32_e32 v100, 15, v103
	v_cndmask_b32_e32 v102, v112, v100, vcc_lo
	v_cndmask_b32_e64 v100, 0, 1, vcc_lo
	s_delay_alu instid0(VALU_DEP_1)
	v_lshrrev_b64 v[100:101], v100, v[38:39]
; %bb.1129:                             ;   in Loop: Header=BB2_1030 Depth=2
	s_and_not1_saveexec_b32 s10, s10
; %bb.1130:                             ;   in Loop: Header=BB2_1030 Depth=2
	v_mov_b64_e32 v[100:101], v[38:39]
	v_bfe_u32 v102, v38, 23, 1
; %bb.1131:                             ;   in Loop: Header=BB2_1030 Depth=2
	s_or_b32 exec_lo, exec_lo, s10
	s_delay_alu instid0(VALU_DEP_2) | instskip(NEXT) | instid1(VALU_DEP_2)
	v_lshrrev_b64 v[100:101], 21, v[100:101]
	v_cmp_gt_i32_e32 vcc_lo, 32, v102
	v_min_i32_e32 v38, 31, v102
	v_cmp_eq_u32_e64 s10, 0, v102
	s_delay_alu instid0(VALU_DEP_2) | instskip(SKIP_1) | instid1(VALU_DEP_2)
	v_dual_cndmask_b32 v101, 0, v101 :: v_dual_lshlrev_b32 v38, 2, v38
	v_cndmask_b32_e32 v100, 3, v100, vcc_lo
	v_and_b32_e32 v38, 0xfc, v38
	s_delay_alu instid0(VALU_DEP_2) | instskip(NEXT) | instid1(VALU_DEP_2)
	v_cmp_eq_u64_e32 vcc_lo, 0, v[100:101]
	v_and_or_b32 v38, v100, 3, v38
	s_and_b32 s10, s10, vcc_lo
	s_delay_alu instid0(VALU_DEP_1) | instid1(SALU_CYCLE_1)
	v_cndmask_b32_e64 v38, v38, 0, s10
	s_delay_alu instid0(VALU_DEP_1)
	v_or_b32_e32 v118, v38, v30
.LBB2_1132:                             ;   in Loop: Header=BB2_1030 Depth=2
	s_or_b32 exec_lo, exec_lo, s13
                                        ; implicit-def: $vgpr30
.LBB2_1133:                             ;   in Loop: Header=BB2_1030 Depth=2
	s_and_not1_saveexec_b32 s10, s12
; %bb.1134:                             ;   in Loop: Header=BB2_1030 Depth=2
	v_or_b32_e32 v118, 0x7b, v30
; %bb.1135:                             ;   in Loop: Header=BB2_1030 Depth=2
	s_or_b32 exec_lo, exec_lo, s10
                                        ; implicit-def: $vgpr101
                                        ; implicit-def: $vgpr30
.LBB2_1136:                             ;   in Loop: Header=BB2_1030 Depth=2
	s_and_not1_saveexec_b32 s10, s11
	s_cbranch_execz .LBB2_1142
; %bb.1137:                             ;   in Loop: Header=BB2_1030 Depth=2
	s_mov_b32 s11, exec_lo
                                        ; implicit-def: $vgpr118
	v_cmpx_ne_u64_e32 0, v[38:39]
	s_xor_b32 s11, exec_lo, s11
; %bb.1138:                             ;   in Loop: Header=BB2_1030 Depth=2
	v_or_b32_e32 v118, 0x7f, v30
                                        ; implicit-def: $vgpr101
; %bb.1139:                             ;   in Loop: Header=BB2_1030 Depth=2
	s_and_not1_saveexec_b32 s11, s11
; %bb.1140:                             ;   in Loop: Header=BB2_1030 Depth=2
	v_cmp_lt_i32_e32 vcc_lo, -1, v101
	v_cndmask_b32_e32 v118, 0xfc, v63, vcc_lo
; %bb.1141:                             ;   in Loop: Header=BB2_1030 Depth=2
	s_or_b32 exec_lo, exec_lo, s11
.LBB2_1142:                             ;   in Loop: Header=BB2_1030 Depth=2
	s_delay_alu instid0(SALU_CYCLE_1) | instskip(SKIP_4) | instid1(VALU_DEP_4)
	s_or_b32 exec_lo, exec_lo, s10
	v_bfe_u32 v38, v14, 16, 2
	v_dual_lshrrev_b32 v102, 16, v14 :: v_dual_lshlrev_b32 v112, 8, v14
	v_bfe_u32 v100, v14, 18, 5
	v_and_b32_e32 v101, 0x7c0000, v14
	v_clz_i32_u32_e32 v30, v38
	s_delay_alu instid0(VALU_DEP_4)
	v_bfe_i32 v113, v102, 0, 8
	s_mov_b32 s13, -1
	v_cmp_eq_u32_e64 s11, 0, v100
	v_cmp_eq_u32_e64 s10, 0x7c0000, v101
	v_min_u32_e32 v103, 32, v30
	v_lshrrev_b32_e32 v30, 16, v10
	v_cmp_lt_i16_e32 vcc_lo, -1, v113
	v_and_or_b32 v101, v112, s28, 0x38000000
	s_delay_alu instid0(VALU_DEP_4) | instskip(NEXT) | instid1(VALU_DEP_1)
	v_subrev_nc_u32_e32 v40, 29, v103
	v_lshlrev_b64_e32 v[40:41], v40, v[102:103]
	v_dual_cndmask_b32 v102, 0xff800000, v62 :: v_dual_sub_nc_u32 v103, 30, v103
	v_and_b32_e32 v119, 0xff, v30
	v_cmp_eq_u32_e32 vcc_lo, 0, v38
	s_delay_alu instid0(VALU_DEP_4) | instskip(NEXT) | instid1(VALU_DEP_3)
	v_and_b32_e32 v112, 3, v40
	v_cmp_ne_u16_e64 s12, 0, v119
	v_cndmask_b32_e32 v102, 0x7f800001, v102, vcc_lo
	s_and_b32 vcc_lo, exec_lo, s44
                                        ; implicit-def: $vgpr40
	s_cbranch_vccz .LBB2_1160
; %bb.1143:                             ;   in Loop: Header=BB2_1030 Depth=2
	v_mov_b32_e32 v40, 0
	s_and_saveexec_b32 s13, s12
	s_cbranch_execz .LBB2_1153
; %bb.1144:                             ;   in Loop: Header=BB2_1030 Depth=2
	v_bfrev_b32_e32 v40, 1
	s_mov_b32 s14, exec_lo
	v_cmpx_ne_u16_e32 0x80, v119
	s_cbranch_execz .LBB2_1152
; %bb.1145:                             ;   in Loop: Header=BB2_1030 Depth=2
	v_and_b32_e32 v40, 0x7c0000, v10
	v_bfe_u32 v41, v10, 16, 2
	s_delay_alu instid0(VALU_DEP_2) | instskip(SKIP_1) | instid1(SALU_CYCLE_1)
	v_cmp_ne_u32_e32 vcc_lo, 0x7c0000, v40
                                        ; implicit-def: $vgpr40
	s_and_saveexec_b32 s45, vcc_lo
	s_xor_b32 s45, exec_lo, s45
	s_cbranch_execz .LBB2_1149
; %bb.1146:                             ;   in Loop: Header=BB2_1030 Depth=2
	v_bfe_u32 v40, v10, 18, 5
	s_mov_b32 s46, exec_lo
	s_delay_alu instid0(VALU_DEP_1)
	v_cmpx_eq_u32_e32 0, v40
; %bb.1147:                             ;   in Loop: Header=BB2_1030 Depth=2
	v_clz_i32_u32_e32 v40, v41
	s_delay_alu instid0(VALU_DEP_1) | instskip(NEXT) | instid1(VALU_DEP_1)
	v_min_u32_e32 v40, 32, v40
	v_subrev_nc_u32_e32 v41, 29, v40
	s_delay_alu instid0(VALU_DEP_1) | instskip(NEXT) | instid1(VALU_DEP_1)
	v_lshlrev_b64_e32 v[42:43], v41, v[30:31]
	v_dual_sub_nc_u32 v40, 30, v40 :: v_dual_bitop2_b32 v41, 3, v42 bitop3:0x40
; %bb.1148:                             ;   in Loop: Header=BB2_1030 Depth=2
	s_or_b32 exec_lo, exec_lo, s46
	v_lshlrev_b32_e32 v42, 24, v30
	s_delay_alu instid0(VALU_DEP_1) | instskip(NEXT) | instid1(VALU_DEP_1)
	v_and_b32_e32 v42, 0x80000000, v42
	v_lshl_add_u32 v40, v40, 23, v42
	s_delay_alu instid0(VALU_DEP_1) | instskip(NEXT) | instid1(VALU_DEP_1)
	v_lshl_or_b32 v40, v41, 21, v40
                                        ; implicit-def: $vgpr41
	v_add_nc_u32_e32 v40, 0x38000000, v40
.LBB2_1149:                             ;   in Loop: Header=BB2_1030 Depth=2
	s_and_not1_saveexec_b32 s45, s45
; %bb.1150:                             ;   in Loop: Header=BB2_1030 Depth=2
	v_bfe_i32 v40, v30, 0, 8
	s_delay_alu instid0(VALU_DEP_1) | instskip(SKIP_2) | instid1(VALU_DEP_2)
	v_cmp_lt_i16_e32 vcc_lo, -1, v40
	v_cndmask_b32_e32 v40, 0xff800000, v62, vcc_lo
	v_cmp_eq_u32_e32 vcc_lo, 0, v41
	v_cndmask_b32_e32 v40, 0x7f800001, v40, vcc_lo
; %bb.1151:                             ;   in Loop: Header=BB2_1030 Depth=2
	s_or_b32 exec_lo, exec_lo, s45
.LBB2_1152:                             ;   in Loop: Header=BB2_1030 Depth=2
	s_delay_alu instid0(SALU_CYCLE_1)
	s_or_b32 exec_lo, exec_lo, s14
.LBB2_1153:                             ;   in Loop: Header=BB2_1030 Depth=2
	s_delay_alu instid0(SALU_CYCLE_1) | instskip(SKIP_3) | instid1(VALU_DEP_1)
	s_or_b32 exec_lo, exec_lo, s13
	v_and_b32_e32 v42, 0xff, v113
	s_mov_b32 s13, 0
	s_mov_b32 s14, exec_lo
	v_cmpx_lt_i16_e32 0x7f, v42
	s_xor_b32 s14, exec_lo, s14
	s_cbranch_execz .LBB2_1885
; %bb.1154:                             ;   in Loop: Header=BB2_1030 Depth=2
	s_mov_b32 s13, -1
	s_mov_b32 s45, exec_lo
	v_cmpx_eq_u16_e32 0x80, v42
; %bb.1155:                             ;   in Loop: Header=BB2_1030 Depth=2
	s_xor_b32 s13, exec_lo, -1
; %bb.1156:                             ;   in Loop: Header=BB2_1030 Depth=2
	s_or_b32 exec_lo, exec_lo, s45
	s_delay_alu instid0(SALU_CYCLE_1)
	s_and_b32 s13, s13, exec_lo
                                        ; implicit-def: $vgpr42
	s_or_saveexec_b32 s14, s14
	v_bfrev_b32_e32 v41, 1
	s_xor_b32 exec_lo, exec_lo, s14
	s_cbranch_execnz .LBB2_1886
.LBB2_1157:                             ;   in Loop: Header=BB2_1030 Depth=2
	s_or_b32 exec_lo, exec_lo, s14
	s_and_saveexec_b32 s14, s13
.LBB2_1158:                             ;   in Loop: Header=BB2_1030 Depth=2
	v_dual_cndmask_b32 v41, v100, v103, s11 :: v_dual_cndmask_b32 v42, v38, v112, s11
	s_delay_alu instid0(VALU_DEP_1) | instskip(NEXT) | instid1(VALU_DEP_1)
	v_lshl_add_u32 v41, v41, 23, v101
	v_lshl_or_b32 v41, v42, 21, v41
	s_delay_alu instid0(VALU_DEP_1)
	v_cndmask_b32_e64 v41, v41, v102, s10
.LBB2_1159:                             ;   in Loop: Header=BB2_1030 Depth=2
	s_or_b32 exec_lo, exec_lo, s14
	s_delay_alu instid0(VALU_DEP_1) | instskip(SKIP_1) | instid1(VALU_DEP_1)
	v_dual_max_num_f32 v41, v41, v41 :: v_dual_max_num_f32 v40, v40, v40
	s_mov_b32 s13, 0
	v_max_num_f32_e32 v40, v40, v41
.LBB2_1160:                             ;   in Loop: Header=BB2_1030 Depth=2
	s_and_b32 vcc_lo, exec_lo, s13
	s_cbranch_vccz .LBB2_1178
; %bb.1161:                             ;   in Loop: Header=BB2_1030 Depth=2
	v_mov_b32_e32 v40, 0
	s_and_saveexec_b32 s13, s12
	s_cbranch_execz .LBB2_1171
; %bb.1162:                             ;   in Loop: Header=BB2_1030 Depth=2
	v_bfrev_b32_e32 v40, 1
	s_mov_b32 s12, exec_lo
	v_cmpx_ne_u16_e32 0x80, v119
	s_cbranch_execz .LBB2_1170
; %bb.1163:                             ;   in Loop: Header=BB2_1030 Depth=2
	v_and_b32_e32 v40, 0x7c0000, v10
	v_bfe_u32 v119, v10, 16, 2
	s_delay_alu instid0(VALU_DEP_2) | instskip(SKIP_1) | instid1(SALU_CYCLE_1)
	v_cmp_ne_u32_e32 vcc_lo, 0x7c0000, v40
                                        ; implicit-def: $vgpr40
	s_and_saveexec_b32 s14, vcc_lo
	s_xor_b32 s14, exec_lo, s14
	s_cbranch_execz .LBB2_1167
; %bb.1164:                             ;   in Loop: Header=BB2_1030 Depth=2
	v_bfe_u32 v40, v10, 18, 5
	s_mov_b32 s45, exec_lo
	s_delay_alu instid0(VALU_DEP_1)
	v_cmpx_eq_u32_e32 0, v40
; %bb.1165:                             ;   in Loop: Header=BB2_1030 Depth=2
	v_clz_i32_u32_e32 v119, v119
	s_delay_alu instid0(VALU_DEP_1) | instskip(NEXT) | instid1(VALU_DEP_1)
	v_min_u32_e32 v119, 32, v119
	v_subrev_nc_u32_e32 v40, 29, v119
	s_delay_alu instid0(VALU_DEP_1) | instskip(NEXT) | instid1(VALU_DEP_1)
	v_lshlrev_b64_e32 v[42:43], v40, v[30:31]
	v_dual_sub_nc_u32 v40, 30, v119 :: v_dual_bitop2_b32 v119, 3, v42 bitop3:0x40
; %bb.1166:                             ;   in Loop: Header=BB2_1030 Depth=2
	s_or_b32 exec_lo, exec_lo, s45
	v_lshlrev_b32_e32 v30, 24, v30
	s_delay_alu instid0(VALU_DEP_1) | instskip(NEXT) | instid1(VALU_DEP_1)
	v_and_b32_e32 v30, 0x80000000, v30
	v_lshl_add_u32 v30, v40, 23, v30
	s_delay_alu instid0(VALU_DEP_1) | instskip(NEXT) | instid1(VALU_DEP_1)
	v_lshl_or_b32 v30, v119, 21, v30
                                        ; implicit-def: $vgpr119
	v_add_nc_u32_e32 v40, 0x38000000, v30
                                        ; implicit-def: $vgpr30
.LBB2_1167:                             ;   in Loop: Header=BB2_1030 Depth=2
	s_and_not1_saveexec_b32 s14, s14
; %bb.1168:                             ;   in Loop: Header=BB2_1030 Depth=2
	v_bfe_i32 v30, v30, 0, 8
	s_delay_alu instid0(VALU_DEP_1) | instskip(SKIP_2) | instid1(VALU_DEP_2)
	v_cmp_lt_i16_e32 vcc_lo, -1, v30
	v_cndmask_b32_e32 v30, 0xff800000, v62, vcc_lo
	v_cmp_eq_u32_e32 vcc_lo, 0, v119
	v_cndmask_b32_e32 v40, 0x7f800001, v30, vcc_lo
; %bb.1169:                             ;   in Loop: Header=BB2_1030 Depth=2
	s_or_b32 exec_lo, exec_lo, s14
.LBB2_1170:                             ;   in Loop: Header=BB2_1030 Depth=2
	s_delay_alu instid0(SALU_CYCLE_1)
	s_or_b32 exec_lo, exec_lo, s12
.LBB2_1171:                             ;   in Loop: Header=BB2_1030 Depth=2
	s_delay_alu instid0(SALU_CYCLE_1) | instskip(SKIP_3) | instid1(VALU_DEP_1)
	s_or_b32 exec_lo, exec_lo, s13
	v_and_b32_e32 v113, 0xff, v113
	s_mov_b32 s12, 0
	s_mov_b32 s13, exec_lo
	v_cmpx_lt_i16_e32 0x7f, v113
	s_xor_b32 s13, exec_lo, s13
	s_cbranch_execz .LBB2_1887
; %bb.1172:                             ;   in Loop: Header=BB2_1030 Depth=2
	s_mov_b32 s12, -1
	s_mov_b32 s14, exec_lo
	v_cmpx_eq_u16_e32 0x80, v113
; %bb.1173:                             ;   in Loop: Header=BB2_1030 Depth=2
	s_xor_b32 s12, exec_lo, -1
; %bb.1174:                             ;   in Loop: Header=BB2_1030 Depth=2
	s_or_b32 exec_lo, exec_lo, s14
	s_delay_alu instid0(SALU_CYCLE_1)
	s_and_b32 s12, s12, exec_lo
                                        ; implicit-def: $vgpr113
	s_or_saveexec_b32 s13, s13
	v_bfrev_b32_e32 v30, 1
	s_xor_b32 exec_lo, exec_lo, s13
	s_cbranch_execnz .LBB2_1888
.LBB2_1175:                             ;   in Loop: Header=BB2_1030 Depth=2
	s_or_b32 exec_lo, exec_lo, s13
	s_and_saveexec_b32 s13, s12
.LBB2_1176:                             ;   in Loop: Header=BB2_1030 Depth=2
	v_dual_cndmask_b32 v30, v100, v103, s11 :: v_dual_cndmask_b32 v38, v38, v112, s11
	s_delay_alu instid0(VALU_DEP_1) | instskip(NEXT) | instid1(VALU_DEP_1)
	v_lshl_add_u32 v30, v30, 23, v101
	v_lshl_or_b32 v30, v38, 21, v30
	s_delay_alu instid0(VALU_DEP_1)
	v_cndmask_b32_e64 v30, v30, v102, s10
.LBB2_1177:                             ;   in Loop: Header=BB2_1030 Depth=2
	s_or_b32 exec_lo, exec_lo, s13
	s_delay_alu instid0(VALU_DEP_1) | instskip(NEXT) | instid1(VALU_DEP_1)
	v_dual_max_num_f32 v30, v30, v30 :: v_dual_max_num_f32 v38, v40, v40
	v_min_num_f32_e32 v40, v38, v30
.LBB2_1178:                             ;   in Loop: Header=BB2_1030 Depth=2
	s_delay_alu instid0(VALU_DEP_1) | instskip(SKIP_3) | instid1(VALU_DEP_2)
	v_and_b32_e32 v100, 0x7f800000, v40
	v_dual_mov_b32 v101, v39 :: v_dual_lshrrev_b32 v30, 24, v40
	v_and_b32_e32 v38, 0x7fffff, v40
                                        ; implicit-def: $vgpr119
	s_mov_b32 s10, exec_lo
	v_cmpx_ne_u64_e32 0x7f800000, v[100:101]
	s_xor_b32 s11, exec_lo, s10
	s_cbranch_execz .LBB2_1192
; %bb.1179:                             ;   in Loop: Header=BB2_1030 Depth=2
	v_and_b32_e32 v100, 0x7fffffff, v40
	v_mov_b32_e32 v101, v39
	v_and_b32_e32 v30, 0x80, v30
                                        ; implicit-def: $vgpr119
	s_mov_b32 s10, exec_lo
	s_delay_alu instid0(VALU_DEP_2)
	v_cmpx_gt_u64_e32 0x47600001, v[100:101]
	s_xor_b32 s12, exec_lo, s10
	s_cbranch_execz .LBB2_1189
; %bb.1180:                             ;   in Loop: Header=BB2_1030 Depth=2
	v_mov_b32_e32 v119, 0
	s_mov_b32 s13, exec_lo
	v_cmpx_ne_u32_e32 0, v40
	s_cbranch_execz .LBB2_1188
; %bb.1181:                             ;   in Loop: Header=BB2_1030 Depth=2
	v_bfe_u32 v112, v40, 23, 8
	v_or_b32_e32 v102, 0x800000, v38
	s_delay_alu instid0(VALU_DEP_2) | instskip(SKIP_1) | instid1(VALU_DEP_2)
	v_sub_nc_u32_e32 v100, 0x71, v112
	v_cmp_gt_u32_e32 vcc_lo, 0x72, v112
	v_cndmask_b32_e32 v100, 0, v100, vcc_lo
	v_cmp_eq_u32_e32 vcc_lo, 0, v112
	s_delay_alu instid0(VALU_DEP_2) | instskip(NEXT) | instid1(VALU_DEP_1)
	v_cndmask_b32_e64 v113, v100, 0x70, vcc_lo
	v_dual_cndmask_b32 v38, v102, v38, vcc_lo :: v_dual_add_nc_u32 v100, 21, v113
	v_add_nc_u32_e32 v103, 20, v113
	s_delay_alu instid0(VALU_DEP_2) | instskip(NEXT) | instid1(VALU_DEP_2)
	v_lshlrev_b64_e64 v[100:101], v100, -1
	v_lshlrev_b64_e64 v[102:103], v103, 1
	s_delay_alu instid0(VALU_DEP_2) | instskip(NEXT) | instid1(VALU_DEP_3)
	v_bfi_b32 v41, v101, 0, 0
	v_bfi_b32 v40, v100, 0, v38
	v_lshrrev_b64 v[100:101], v113, v[38:39]
	s_delay_alu instid0(VALU_DEP_2) | instskip(NEXT) | instid1(VALU_DEP_2)
	v_cmp_eq_u64_e64 s10, v[40:41], v[102:103]
	v_mov_b64_e32 v[102:103], v[100:101]
	s_and_saveexec_b32 s14, s10
; %bb.1182:                             ;   in Loop: Header=BB2_1030 Depth=2
	v_bfe_u32 v38, v100, 21, 1
	s_delay_alu instid0(VALU_DEP_1) | instskip(NEXT) | instid1(VALU_DEP_1)
	v_add_nc_u64_e32 v[102:103], v[100:101], v[38:39]
	v_add_nc_u64_e32 v[102:103], -1, v[102:103]
; %bb.1183:                             ;   in Loop: Header=BB2_1030 Depth=2
	s_or_b32 exec_lo, exec_lo, s14
	v_add_nc_u32_e32 v38, 0xffffff81, v112
	v_lshrrev_b32_e32 v101, 23, v100
	s_mov_b32 s10, exec_lo
	s_delay_alu instid0(VALU_DEP_2) | instskip(NEXT) | instid1(VALU_DEP_1)
	v_cndmask_b32_e64 v38, v38, 0xffffff82, vcc_lo
	v_add3_u32 v103, v113, v38, v101
	v_and_b32_e32 v38, 0x1fffff, v102
                                        ; implicit-def: $vgpr102
	s_delay_alu instid0(VALU_DEP_1) | instskip(NEXT) | instid1(VALU_DEP_1)
	v_dual_add_nc_u32 v112, 14, v103 :: v_dual_add_nc_u32 v38, v38, v100
                                        ; implicit-def: $vgpr100_vgpr101
	v_cmpx_ne_u32_e32 0, v112
	s_xor_b32 s10, exec_lo, s10
; %bb.1184:                             ;   in Loop: Header=BB2_1030 Depth=2
	s_delay_alu instid0(VALU_DEP_2) | instskip(SKIP_1) | instid1(VALU_DEP_1)
	v_cmp_lt_u64_e32 vcc_lo, 0xffffff, v[38:39]
	v_add_nc_u32_e32 v100, 15, v103
	v_cndmask_b32_e32 v102, v112, v100, vcc_lo
	v_cndmask_b32_e64 v100, 0, 1, vcc_lo
	s_delay_alu instid0(VALU_DEP_1)
	v_lshrrev_b64 v[100:101], v100, v[38:39]
; %bb.1185:                             ;   in Loop: Header=BB2_1030 Depth=2
	s_and_not1_saveexec_b32 s10, s10
; %bb.1186:                             ;   in Loop: Header=BB2_1030 Depth=2
	v_mov_b64_e32 v[100:101], v[38:39]
	v_bfe_u32 v102, v38, 23, 1
; %bb.1187:                             ;   in Loop: Header=BB2_1030 Depth=2
	s_or_b32 exec_lo, exec_lo, s10
	s_delay_alu instid0(VALU_DEP_2) | instskip(NEXT) | instid1(VALU_DEP_2)
	v_lshrrev_b64 v[100:101], 21, v[100:101]
	v_cmp_gt_i32_e32 vcc_lo, 32, v102
	v_min_i32_e32 v38, 31, v102
	v_cmp_eq_u32_e64 s10, 0, v102
	s_delay_alu instid0(VALU_DEP_2) | instskip(SKIP_1) | instid1(VALU_DEP_2)
	v_dual_cndmask_b32 v101, 0, v101 :: v_dual_lshlrev_b32 v38, 2, v38
	v_cndmask_b32_e32 v100, 3, v100, vcc_lo
	v_and_b32_e32 v38, 0xfc, v38
	s_delay_alu instid0(VALU_DEP_2) | instskip(NEXT) | instid1(VALU_DEP_2)
	v_cmp_eq_u64_e32 vcc_lo, 0, v[100:101]
	v_and_or_b32 v38, v100, 3, v38
	s_and_b32 s10, s10, vcc_lo
	s_delay_alu instid0(VALU_DEP_1) | instid1(SALU_CYCLE_1)
	v_cndmask_b32_e64 v38, v38, 0, s10
	s_delay_alu instid0(VALU_DEP_1)
	v_or_b32_e32 v119, v38, v30
.LBB2_1188:                             ;   in Loop: Header=BB2_1030 Depth=2
	s_or_b32 exec_lo, exec_lo, s13
                                        ; implicit-def: $vgpr30
.LBB2_1189:                             ;   in Loop: Header=BB2_1030 Depth=2
	s_and_not1_saveexec_b32 s10, s12
; %bb.1190:                             ;   in Loop: Header=BB2_1030 Depth=2
	v_or_b32_e32 v119, 0x7b, v30
; %bb.1191:                             ;   in Loop: Header=BB2_1030 Depth=2
	s_or_b32 exec_lo, exec_lo, s10
                                        ; implicit-def: $vgpr40
                                        ; implicit-def: $vgpr30
.LBB2_1192:                             ;   in Loop: Header=BB2_1030 Depth=2
	s_and_not1_saveexec_b32 s10, s11
	s_cbranch_execz .LBB2_1198
; %bb.1193:                             ;   in Loop: Header=BB2_1030 Depth=2
	s_mov_b32 s11, exec_lo
                                        ; implicit-def: $vgpr119
	v_cmpx_ne_u64_e32 0, v[38:39]
	s_xor_b32 s11, exec_lo, s11
; %bb.1194:                             ;   in Loop: Header=BB2_1030 Depth=2
	v_or_b32_e32 v119, 0x7f, v30
                                        ; implicit-def: $vgpr40
; %bb.1195:                             ;   in Loop: Header=BB2_1030 Depth=2
	s_and_not1_saveexec_b32 s11, s11
; %bb.1196:                             ;   in Loop: Header=BB2_1030 Depth=2
	v_cmp_lt_i32_e32 vcc_lo, -1, v40
	v_cndmask_b32_e32 v119, 0xfc, v63, vcc_lo
; %bb.1197:                             ;   in Loop: Header=BB2_1030 Depth=2
	s_or_b32 exec_lo, exec_lo, s11
.LBB2_1198:                             ;   in Loop: Header=BB2_1030 Depth=2
	s_delay_alu instid0(SALU_CYCLE_1)
	s_or_b32 exec_lo, exec_lo, s10
	v_bfe_u32 v38, v14, 24, 2
	v_lshrrev_b32_e32 v102, 24, v14
	v_cmp_lt_i32_e32 vcc_lo, -1, v14
	v_and_b32_e32 v40, 0x7c000000, v14
	v_cmp_gt_u32_e64 s10, 0x1000000, v14
	v_clz_i32_u32_e32 v100, v38
	v_and_or_b32 v101, v14, s28, 0x38000000
	v_cndmask_b32_e32 v41, 0xff800000, v62, vcc_lo
	v_cmp_eq_u32_e32 vcc_lo, 0, v38
	v_cmp_lt_u32_e64 s14, 0xffffff, v10
	v_min_u32_e32 v103, 32, v100
	v_bfe_u32 v100, v14, 26, 5
	v_lshrrev_b32_e32 v30, 24, v10
	v_cmp_eq_u32_e64 s12, 0x7c000000, v40
	s_mov_b32 s45, -1
	v_subrev_nc_u32_e32 v112, 29, v103
	v_cmp_eq_u32_e64 s13, 0, v100
	s_delay_alu instid0(VALU_DEP_2) | instskip(SKIP_1) | instid1(VALU_DEP_2)
	v_lshlrev_b64_e32 v[112:113], v112, v[102:103]
	v_sub_nc_u32_e32 v103, 30, v103
                                        ; implicit-def: $vgpr113
	v_and_b32_e32 v112, 3, v112
	v_cmp_eq_u32_e64 s11, 0x80, v102
	v_cndmask_b32_e32 v102, 0x7f800001, v41, vcc_lo
	s_and_b32 vcc_lo, exec_lo, s44
	s_cbranch_vccz .LBB2_1210
; %bb.1199:                             ;   in Loop: Header=BB2_1030 Depth=2
	v_mov_b32_e32 v113, 0
	s_and_saveexec_b32 s45, s14
	s_cbranch_execz .LBB2_1209
; %bb.1200:                             ;   in Loop: Header=BB2_1030 Depth=2
	v_bfrev_b32_e32 v113, 1
	s_mov_b32 s46, exec_lo
	v_cmpx_ne_u32_e32 0x80, v30
	s_cbranch_execz .LBB2_1208
; %bb.1201:                             ;   in Loop: Header=BB2_1030 Depth=2
	v_and_b32_e32 v113, 0x7c000000, v10
	v_bfe_u32 v40, v10, 24, 2
	s_delay_alu instid0(VALU_DEP_2) | instskip(SKIP_1) | instid1(SALU_CYCLE_1)
	v_cmp_ne_u32_e32 vcc_lo, 0x7c000000, v113
                                        ; implicit-def: $vgpr113
	s_and_saveexec_b32 s47, vcc_lo
	s_xor_b32 s47, exec_lo, s47
	s_cbranch_execz .LBB2_1205
; %bb.1202:                             ;   in Loop: Header=BB2_1030 Depth=2
	v_bfe_u32 v113, v10, 26, 5
	s_mov_b32 s56, exec_lo
	s_delay_alu instid0(VALU_DEP_1)
	v_cmpx_eq_u32_e32 0, v113
; %bb.1203:                             ;   in Loop: Header=BB2_1030 Depth=2
	v_clz_i32_u32_e32 v113, v40
	s_delay_alu instid0(VALU_DEP_1) | instskip(NEXT) | instid1(VALU_DEP_1)
	v_min_u32_e32 v113, 32, v113
	v_subrev_nc_u32_e32 v40, 29, v113
	s_delay_alu instid0(VALU_DEP_1) | instskip(NEXT) | instid1(VALU_DEP_1)
	v_lshlrev_b64_e32 v[40:41], v40, v[30:31]
	v_dual_sub_nc_u32 v113, 30, v113 :: v_dual_bitop2_b32 v40, 3, v40 bitop3:0x40
; %bb.1204:                             ;   in Loop: Header=BB2_1030 Depth=2
	s_or_b32 exec_lo, exec_lo, s56
	v_and_b32_e32 v41, 0x80000000, v10
	s_delay_alu instid0(VALU_DEP_1) | instskip(NEXT) | instid1(VALU_DEP_1)
	v_lshl_add_u32 v113, v113, 23, v41
	v_lshl_or_b32 v113, v40, 21, v113
                                        ; implicit-def: $vgpr40
	s_delay_alu instid0(VALU_DEP_1)
	v_add_nc_u32_e32 v113, 0x38000000, v113
.LBB2_1205:                             ;   in Loop: Header=BB2_1030 Depth=2
	s_and_not1_saveexec_b32 s47, s47
; %bb.1206:                             ;   in Loop: Header=BB2_1030 Depth=2
	v_cmp_lt_i32_e32 vcc_lo, -1, v10
	v_cndmask_b32_e32 v113, 0xff800000, v62, vcc_lo
	v_cmp_eq_u32_e32 vcc_lo, 0, v40
	s_delay_alu instid0(VALU_DEP_2)
	v_cndmask_b32_e32 v113, 0x7f800001, v113, vcc_lo
; %bb.1207:                             ;   in Loop: Header=BB2_1030 Depth=2
	s_or_b32 exec_lo, exec_lo, s47
.LBB2_1208:                             ;   in Loop: Header=BB2_1030 Depth=2
	s_delay_alu instid0(SALU_CYCLE_1)
	s_or_b32 exec_lo, exec_lo, s46
.LBB2_1209:                             ;   in Loop: Header=BB2_1030 Depth=2
	s_delay_alu instid0(SALU_CYCLE_1) | instskip(SKIP_3) | instid1(VALU_DEP_2)
	s_or_b32 exec_lo, exec_lo, s45
	v_dual_cndmask_b32 v40, v100, v103, s13 :: v_dual_cndmask_b32 v41, v38, v112, s13
	s_mov_b32 s45, 0
	v_max_num_f32_e32 v113, v113, v113
	v_lshl_add_u32 v40, v40, 23, v101
	s_delay_alu instid0(VALU_DEP_1) | instskip(NEXT) | instid1(VALU_DEP_1)
	v_lshl_or_b32 v40, v41, 21, v40
	v_cndmask_b32_e64 v40, v40, v102, s12
	s_delay_alu instid0(VALU_DEP_1) | instskip(NEXT) | instid1(VALU_DEP_1)
	v_cndmask_b32_e64 v40, v40, 0x80000000, s11
	v_cndmask_b32_e64 v40, v40, 0, s10
	s_delay_alu instid0(VALU_DEP_1) | instskip(NEXT) | instid1(VALU_DEP_1)
	v_max_num_f32_e32 v40, v40, v40
	v_max_num_f32_e32 v113, v113, v40
.LBB2_1210:                             ;   in Loop: Header=BB2_1030 Depth=2
	s_and_b32 vcc_lo, exec_lo, s45
	s_cbranch_vccz .LBB2_1222
; %bb.1211:                             ;   in Loop: Header=BB2_1030 Depth=2
	v_mov_b32_e32 v113, 0
	s_and_saveexec_b32 s45, s14
	s_cbranch_execz .LBB2_1221
; %bb.1212:                             ;   in Loop: Header=BB2_1030 Depth=2
	v_bfrev_b32_e32 v113, 1
	s_mov_b32 s14, exec_lo
	v_cmpx_ne_u32_e32 0x80, v30
	s_cbranch_execz .LBB2_1220
; %bb.1213:                             ;   in Loop: Header=BB2_1030 Depth=2
	v_and_b32_e32 v113, 0x7c000000, v10
	v_bfe_u32 v40, v10, 24, 2
	s_delay_alu instid0(VALU_DEP_2) | instskip(SKIP_1) | instid1(SALU_CYCLE_1)
	v_cmp_ne_u32_e32 vcc_lo, 0x7c000000, v113
                                        ; implicit-def: $vgpr113
	s_and_saveexec_b32 s46, vcc_lo
	s_xor_b32 s46, exec_lo, s46
	s_cbranch_execz .LBB2_1217
; %bb.1214:                             ;   in Loop: Header=BB2_1030 Depth=2
	v_bfe_u32 v113, v10, 26, 5
	s_mov_b32 s47, exec_lo
	s_delay_alu instid0(VALU_DEP_1)
	v_cmpx_eq_u32_e32 0, v113
; %bb.1215:                             ;   in Loop: Header=BB2_1030 Depth=2
	v_clz_i32_u32_e32 v113, v40
	s_delay_alu instid0(VALU_DEP_1) | instskip(NEXT) | instid1(VALU_DEP_1)
	v_min_u32_e32 v113, 32, v113
	v_subrev_nc_u32_e32 v40, 29, v113
	s_delay_alu instid0(VALU_DEP_1) | instskip(NEXT) | instid1(VALU_DEP_1)
	v_lshlrev_b64_e32 v[40:41], v40, v[30:31]
	v_dual_sub_nc_u32 v113, 30, v113 :: v_dual_bitop2_b32 v40, 3, v40 bitop3:0x40
; %bb.1216:                             ;   in Loop: Header=BB2_1030 Depth=2
	s_or_b32 exec_lo, exec_lo, s47
	v_and_b32_e32 v30, 0x80000000, v10
	s_delay_alu instid0(VALU_DEP_1) | instskip(NEXT) | instid1(VALU_DEP_1)
	v_lshl_add_u32 v30, v113, 23, v30
	v_lshl_or_b32 v30, v40, 21, v30
                                        ; implicit-def: $vgpr40
	s_delay_alu instid0(VALU_DEP_1)
	v_add_nc_u32_e32 v113, 0x38000000, v30
.LBB2_1217:                             ;   in Loop: Header=BB2_1030 Depth=2
	s_and_not1_saveexec_b32 s46, s46
; %bb.1218:                             ;   in Loop: Header=BB2_1030 Depth=2
	v_cmp_lt_i32_e32 vcc_lo, -1, v10
	v_cndmask_b32_e32 v30, 0xff800000, v62, vcc_lo
	v_cmp_eq_u32_e32 vcc_lo, 0, v40
	s_delay_alu instid0(VALU_DEP_2)
	v_cndmask_b32_e32 v113, 0x7f800001, v30, vcc_lo
; %bb.1219:                             ;   in Loop: Header=BB2_1030 Depth=2
	s_or_b32 exec_lo, exec_lo, s46
.LBB2_1220:                             ;   in Loop: Header=BB2_1030 Depth=2
	s_delay_alu instid0(SALU_CYCLE_1)
	s_or_b32 exec_lo, exec_lo, s14
.LBB2_1221:                             ;   in Loop: Header=BB2_1030 Depth=2
	s_delay_alu instid0(SALU_CYCLE_1) | instskip(SKIP_1) | instid1(VALU_DEP_1)
	s_or_b32 exec_lo, exec_lo, s45
	v_dual_cndmask_b32 v30, v100, v103, s13 :: v_dual_cndmask_b32 v38, v38, v112, s13
	v_lshl_add_u32 v30, v30, 23, v101
	s_delay_alu instid0(VALU_DEP_1) | instskip(NEXT) | instid1(VALU_DEP_1)
	v_lshl_or_b32 v30, v38, 21, v30
	v_dual_max_num_f32 v38, v113, v113 :: v_dual_cndmask_b32 v30, v30, v102, s12
	s_delay_alu instid0(VALU_DEP_1) | instskip(NEXT) | instid1(VALU_DEP_1)
	v_cndmask_b32_e64 v30, v30, 0x80000000, s11
	v_cndmask_b32_e64 v30, v30, 0, s10
	s_delay_alu instid0(VALU_DEP_1) | instskip(NEXT) | instid1(VALU_DEP_1)
	v_max_num_f32_e32 v30, v30, v30
	v_min_num_f32_e32 v113, v38, v30
.LBB2_1222:                             ;   in Loop: Header=BB2_1030 Depth=2
	s_delay_alu instid0(VALU_DEP_1) | instskip(SKIP_3) | instid1(VALU_DEP_2)
	v_and_b32_e32 v100, 0x7f800000, v113
	v_dual_mov_b32 v101, v39 :: v_dual_lshrrev_b32 v30, 24, v113
	v_and_b32_e32 v38, 0x7fffff, v113
                                        ; implicit-def: $vgpr40
	s_mov_b32 s10, exec_lo
	v_cmpx_ne_u64_e32 0x7f800000, v[100:101]
	s_xor_b32 s11, exec_lo, s10
	s_cbranch_execz .LBB2_1236
; %bb.1223:                             ;   in Loop: Header=BB2_1030 Depth=2
	v_and_b32_e32 v100, 0x7fffffff, v113
	v_mov_b32_e32 v101, v39
	v_and_b32_e32 v30, 0x80, v30
                                        ; implicit-def: $vgpr40
	s_mov_b32 s10, exec_lo
	s_delay_alu instid0(VALU_DEP_2)
	v_cmpx_gt_u64_e32 0x47600001, v[100:101]
	s_xor_b32 s12, exec_lo, s10
	s_cbranch_execz .LBB2_1233
; %bb.1224:                             ;   in Loop: Header=BB2_1030 Depth=2
	v_mov_b32_e32 v40, 0
	s_mov_b32 s13, exec_lo
	v_cmpx_ne_u32_e32 0, v113
	s_cbranch_execz .LBB2_1232
; %bb.1225:                             ;   in Loop: Header=BB2_1030 Depth=2
	v_bfe_u32 v112, v113, 23, 8
	v_or_b32_e32 v102, 0x800000, v38
	s_delay_alu instid0(VALU_DEP_2) | instskip(SKIP_1) | instid1(VALU_DEP_2)
	v_sub_nc_u32_e32 v100, 0x71, v112
	v_cmp_gt_u32_e32 vcc_lo, 0x72, v112
	v_cndmask_b32_e32 v100, 0, v100, vcc_lo
	v_cmp_eq_u32_e32 vcc_lo, 0, v112
	s_delay_alu instid0(VALU_DEP_2) | instskip(NEXT) | instid1(VALU_DEP_1)
	v_cndmask_b32_e64 v113, v100, 0x70, vcc_lo
	v_dual_cndmask_b32 v38, v102, v38, vcc_lo :: v_dual_add_nc_u32 v100, 21, v113
	v_add_nc_u32_e32 v103, 20, v113
	s_delay_alu instid0(VALU_DEP_2) | instskip(NEXT) | instid1(VALU_DEP_2)
	v_lshlrev_b64_e64 v[100:101], v100, -1
	v_lshlrev_b64_e64 v[102:103], v103, 1
	s_delay_alu instid0(VALU_DEP_2) | instskip(NEXT) | instid1(VALU_DEP_3)
	v_bfi_b32 v41, v101, 0, 0
	v_bfi_b32 v40, v100, 0, v38
	v_lshrrev_b64 v[100:101], v113, v[38:39]
	s_delay_alu instid0(VALU_DEP_2) | instskip(NEXT) | instid1(VALU_DEP_2)
	v_cmp_eq_u64_e64 s10, v[40:41], v[102:103]
	v_mov_b64_e32 v[102:103], v[100:101]
	s_and_saveexec_b32 s14, s10
; %bb.1226:                             ;   in Loop: Header=BB2_1030 Depth=2
	v_bfe_u32 v38, v100, 21, 1
	s_delay_alu instid0(VALU_DEP_1) | instskip(NEXT) | instid1(VALU_DEP_1)
	v_add_nc_u64_e32 v[102:103], v[100:101], v[38:39]
	v_add_nc_u64_e32 v[102:103], -1, v[102:103]
; %bb.1227:                             ;   in Loop: Header=BB2_1030 Depth=2
	s_or_b32 exec_lo, exec_lo, s14
	v_add_nc_u32_e32 v38, 0xffffff81, v112
	v_lshrrev_b32_e32 v101, 23, v100
	s_mov_b32 s10, exec_lo
	s_delay_alu instid0(VALU_DEP_2) | instskip(NEXT) | instid1(VALU_DEP_1)
	v_cndmask_b32_e64 v38, v38, 0xffffff82, vcc_lo
	v_add3_u32 v103, v113, v38, v101
	v_and_b32_e32 v38, 0x1fffff, v102
                                        ; implicit-def: $vgpr102
	s_delay_alu instid0(VALU_DEP_1) | instskip(NEXT) | instid1(VALU_DEP_1)
	v_dual_add_nc_u32 v112, 14, v103 :: v_dual_add_nc_u32 v38, v38, v100
                                        ; implicit-def: $vgpr100_vgpr101
	v_cmpx_ne_u32_e32 0, v112
	s_xor_b32 s10, exec_lo, s10
; %bb.1228:                             ;   in Loop: Header=BB2_1030 Depth=2
	s_delay_alu instid0(VALU_DEP_2) | instskip(SKIP_1) | instid1(VALU_DEP_1)
	v_cmp_lt_u64_e32 vcc_lo, 0xffffff, v[38:39]
	v_add_nc_u32_e32 v100, 15, v103
	v_cndmask_b32_e32 v102, v112, v100, vcc_lo
	v_cndmask_b32_e64 v100, 0, 1, vcc_lo
	s_delay_alu instid0(VALU_DEP_1)
	v_lshrrev_b64 v[100:101], v100, v[38:39]
; %bb.1229:                             ;   in Loop: Header=BB2_1030 Depth=2
	s_and_not1_saveexec_b32 s10, s10
; %bb.1230:                             ;   in Loop: Header=BB2_1030 Depth=2
	v_mov_b64_e32 v[100:101], v[38:39]
	v_bfe_u32 v102, v38, 23, 1
; %bb.1231:                             ;   in Loop: Header=BB2_1030 Depth=2
	s_or_b32 exec_lo, exec_lo, s10
	s_delay_alu instid0(VALU_DEP_2) | instskip(NEXT) | instid1(VALU_DEP_2)
	v_lshrrev_b64 v[100:101], 21, v[100:101]
	v_cmp_gt_i32_e32 vcc_lo, 32, v102
	v_min_i32_e32 v38, 31, v102
	v_cmp_eq_u32_e64 s10, 0, v102
	s_delay_alu instid0(VALU_DEP_2) | instskip(SKIP_1) | instid1(VALU_DEP_2)
	v_dual_cndmask_b32 v101, 0, v101 :: v_dual_lshlrev_b32 v38, 2, v38
	v_cndmask_b32_e32 v100, 3, v100, vcc_lo
	v_and_b32_e32 v38, 0xfc, v38
	s_delay_alu instid0(VALU_DEP_2) | instskip(NEXT) | instid1(VALU_DEP_2)
	v_cmp_eq_u64_e32 vcc_lo, 0, v[100:101]
	v_and_or_b32 v38, v100, 3, v38
	s_and_b32 s10, s10, vcc_lo
	s_delay_alu instid0(VALU_DEP_1) | instid1(SALU_CYCLE_1)
	v_cndmask_b32_e64 v38, v38, 0, s10
	s_delay_alu instid0(VALU_DEP_1)
	v_or_b32_e32 v40, v38, v30
.LBB2_1232:                             ;   in Loop: Header=BB2_1030 Depth=2
	s_or_b32 exec_lo, exec_lo, s13
                                        ; implicit-def: $vgpr30
.LBB2_1233:                             ;   in Loop: Header=BB2_1030 Depth=2
	s_and_not1_saveexec_b32 s10, s12
; %bb.1234:                             ;   in Loop: Header=BB2_1030 Depth=2
	v_or_b32_e32 v40, 0x7b, v30
; %bb.1235:                             ;   in Loop: Header=BB2_1030 Depth=2
	s_or_b32 exec_lo, exec_lo, s10
                                        ; implicit-def: $vgpr113
                                        ; implicit-def: $vgpr30
.LBB2_1236:                             ;   in Loop: Header=BB2_1030 Depth=2
	s_and_not1_saveexec_b32 s10, s11
	s_cbranch_execz .LBB2_1242
; %bb.1237:                             ;   in Loop: Header=BB2_1030 Depth=2
	s_mov_b32 s11, exec_lo
                                        ; implicit-def: $vgpr40
	v_cmpx_ne_u64_e32 0, v[38:39]
	s_xor_b32 s11, exec_lo, s11
; %bb.1238:                             ;   in Loop: Header=BB2_1030 Depth=2
	v_or_b32_e32 v40, 0x7f, v30
                                        ; implicit-def: $vgpr113
; %bb.1239:                             ;   in Loop: Header=BB2_1030 Depth=2
	s_and_not1_saveexec_b32 s11, s11
; %bb.1240:                             ;   in Loop: Header=BB2_1030 Depth=2
	v_cmp_lt_i32_e32 vcc_lo, -1, v113
	v_cndmask_b32_e32 v40, 0xfc, v63, vcc_lo
; %bb.1241:                             ;   in Loop: Header=BB2_1030 Depth=2
	s_or_b32 exec_lo, exec_lo, s11
.LBB2_1242:                             ;   in Loop: Header=BB2_1030 Depth=2
	s_delay_alu instid0(SALU_CYCLE_1) | instskip(SKIP_4) | instid1(VALU_DEP_4)
	s_or_b32 exec_lo, exec_lo, s10
	v_dual_mov_b32 v38, v15 :: v_dual_bitop2_b32 v30, 3, v15 bitop3:0x40
	v_bfe_i32 v42, v15, 0, 8
	v_bfe_u32 v102, v15, 2, 5
	v_and_b32_e32 v103, 0x7c, v15
	v_clz_i32_u32_e32 v100, v30
	v_lshlrev_b32_e32 v112, 24, v15
	v_cmp_lt_i16_e32 vcc_lo, -1, v42
	v_mov_b32_e32 v101, v39
	v_and_b32_e32 v43, 0xff, v11
	v_min_u32_e32 v113, 32, v100
	v_mov_b32_e32 v100, v11
	v_cndmask_b32_e32 v46, 0xff800000, v62, vcc_lo
	v_cmp_eq_u32_e32 vcc_lo, 0, v30
	v_cmp_eq_u32_e64 s10, 0x7c, v103
	v_subrev_nc_u32_e32 v41, 29, v113
	v_cmp_eq_u32_e64 s11, 0, v102
	v_and_or_b32 v103, v112, s28, 0x38000000
	v_cmp_ne_u16_e64 s12, 0, v43
	v_dual_cndmask_b32 v112, 0x7f800001, v46 :: v_dual_sub_nc_u32 v113, 30, v113
	v_lshlrev_b64_e32 v[44:45], v41, v[38:39]
	s_and_b32 vcc_lo, exec_lo, s44
	s_mov_b32 s13, -1
	s_delay_alu instid0(VALU_DEP_1)
	v_and_b32_e32 v41, 3, v44
                                        ; implicit-def: $vgpr44
	s_cbranch_vccz .LBB2_1260
; %bb.1243:                             ;   in Loop: Header=BB2_1030 Depth=2
	v_mov_b32_e32 v44, 0
	s_and_saveexec_b32 s13, s12
	s_cbranch_execz .LBB2_1253
; %bb.1244:                             ;   in Loop: Header=BB2_1030 Depth=2
	v_bfrev_b32_e32 v44, 1
	s_mov_b32 s14, exec_lo
	v_cmpx_ne_u16_e32 0x80, v43
	s_cbranch_execz .LBB2_1252
; %bb.1245:                             ;   in Loop: Header=BB2_1030 Depth=2
	v_and_b32_e32 v44, 0x7c, v11
	v_and_b32_e32 v45, 3, v11
	s_delay_alu instid0(VALU_DEP_2) | instskip(SKIP_1) | instid1(SALU_CYCLE_1)
	v_cmp_ne_u32_e32 vcc_lo, 0x7c, v44
                                        ; implicit-def: $vgpr44
	s_and_saveexec_b32 s45, vcc_lo
	s_xor_b32 s45, exec_lo, s45
	s_cbranch_execz .LBB2_1249
; %bb.1246:                             ;   in Loop: Header=BB2_1030 Depth=2
	v_bfe_u32 v44, v11, 2, 5
	s_mov_b32 s46, exec_lo
	s_delay_alu instid0(VALU_DEP_1)
	v_cmpx_eq_u32_e32 0, v44
; %bb.1247:                             ;   in Loop: Header=BB2_1030 Depth=2
	v_clz_i32_u32_e32 v44, v45
	s_delay_alu instid0(VALU_DEP_1) | instskip(NEXT) | instid1(VALU_DEP_1)
	v_min_u32_e32 v44, 32, v44
	v_subrev_nc_u32_e32 v45, 29, v44
	s_delay_alu instid0(VALU_DEP_1) | instskip(NEXT) | instid1(VALU_DEP_1)
	v_lshlrev_b64_e32 v[46:47], v45, v[100:101]
	v_dual_sub_nc_u32 v44, 30, v44 :: v_dual_bitop2_b32 v45, 3, v46 bitop3:0x40
; %bb.1248:                             ;   in Loop: Header=BB2_1030 Depth=2
	s_or_b32 exec_lo, exec_lo, s46
	v_lshlrev_b32_e32 v46, 24, v11
	s_delay_alu instid0(VALU_DEP_1) | instskip(NEXT) | instid1(VALU_DEP_1)
	v_and_b32_e32 v46, 0x80000000, v46
	v_lshl_add_u32 v44, v44, 23, v46
	s_delay_alu instid0(VALU_DEP_1) | instskip(NEXT) | instid1(VALU_DEP_1)
	v_lshl_or_b32 v44, v45, 21, v44
                                        ; implicit-def: $vgpr45
	v_add_nc_u32_e32 v44, 0x38000000, v44
.LBB2_1249:                             ;   in Loop: Header=BB2_1030 Depth=2
	s_and_not1_saveexec_b32 s45, s45
; %bb.1250:                             ;   in Loop: Header=BB2_1030 Depth=2
	v_bfe_i32 v44, v11, 0, 8
	s_delay_alu instid0(VALU_DEP_1) | instskip(SKIP_2) | instid1(VALU_DEP_2)
	v_cmp_lt_i16_e32 vcc_lo, -1, v44
	v_cndmask_b32_e32 v44, 0xff800000, v62, vcc_lo
	v_cmp_eq_u32_e32 vcc_lo, 0, v45
	v_cndmask_b32_e32 v44, 0x7f800001, v44, vcc_lo
; %bb.1251:                             ;   in Loop: Header=BB2_1030 Depth=2
	s_or_b32 exec_lo, exec_lo, s45
.LBB2_1252:                             ;   in Loop: Header=BB2_1030 Depth=2
	s_delay_alu instid0(SALU_CYCLE_1)
	s_or_b32 exec_lo, exec_lo, s14
.LBB2_1253:                             ;   in Loop: Header=BB2_1030 Depth=2
	s_delay_alu instid0(SALU_CYCLE_1) | instskip(SKIP_3) | instid1(VALU_DEP_1)
	s_or_b32 exec_lo, exec_lo, s13
	v_and_b32_e32 v46, 0xff, v42
	s_mov_b32 s13, 0
	s_mov_b32 s14, exec_lo
	v_cmpx_lt_i16_e32 0x7f, v46
	s_xor_b32 s14, exec_lo, s14
	s_cbranch_execz .LBB2_1889
; %bb.1254:                             ;   in Loop: Header=BB2_1030 Depth=2
	s_mov_b32 s13, -1
	s_mov_b32 s45, exec_lo
	v_cmpx_eq_u16_e32 0x80, v46
; %bb.1255:                             ;   in Loop: Header=BB2_1030 Depth=2
	s_xor_b32 s13, exec_lo, -1
; %bb.1256:                             ;   in Loop: Header=BB2_1030 Depth=2
	s_or_b32 exec_lo, exec_lo, s45
	s_delay_alu instid0(SALU_CYCLE_1)
	s_and_b32 s13, s13, exec_lo
                                        ; implicit-def: $vgpr46
	s_or_saveexec_b32 s14, s14
	v_bfrev_b32_e32 v45, 1
	s_xor_b32 exec_lo, exec_lo, s14
	s_cbranch_execnz .LBB2_1890
.LBB2_1257:                             ;   in Loop: Header=BB2_1030 Depth=2
	s_or_b32 exec_lo, exec_lo, s14
	s_and_saveexec_b32 s14, s13
.LBB2_1258:                             ;   in Loop: Header=BB2_1030 Depth=2
	v_cndmask_b32_e64 v45, v102, v113, s11
	v_cndmask_b32_e64 v46, v30, v41, s11
	s_delay_alu instid0(VALU_DEP_2) | instskip(NEXT) | instid1(VALU_DEP_1)
	v_lshl_add_u32 v45, v45, 23, v103
	v_lshl_or_b32 v45, v46, 21, v45
	s_delay_alu instid0(VALU_DEP_1)
	v_cndmask_b32_e64 v45, v45, v112, s10
.LBB2_1259:                             ;   in Loop: Header=BB2_1030 Depth=2
	s_or_b32 exec_lo, exec_lo, s14
	s_delay_alu instid0(VALU_DEP_1) | instskip(SKIP_1) | instid1(VALU_DEP_1)
	v_dual_max_num_f32 v45, v45, v45 :: v_dual_max_num_f32 v44, v44, v44
	s_mov_b32 s13, 0
	v_max_num_f32_e32 v44, v44, v45
.LBB2_1260:                             ;   in Loop: Header=BB2_1030 Depth=2
	s_and_b32 vcc_lo, exec_lo, s13
	s_cbranch_vccz .LBB2_1278
; %bb.1261:                             ;   in Loop: Header=BB2_1030 Depth=2
	v_mov_b32_e32 v44, 0
	s_and_saveexec_b32 s13, s12
	s_cbranch_execz .LBB2_1271
; %bb.1262:                             ;   in Loop: Header=BB2_1030 Depth=2
	v_bfrev_b32_e32 v44, 1
	s_mov_b32 s12, exec_lo
	v_cmpx_ne_u16_e32 0x80, v43
	s_cbranch_execz .LBB2_1270
; %bb.1263:                             ;   in Loop: Header=BB2_1030 Depth=2
	v_and_b32_e32 v44, 0x7c, v11
	v_and_b32_e32 v43, 3, v11
	s_delay_alu instid0(VALU_DEP_2) | instskip(SKIP_1) | instid1(SALU_CYCLE_1)
	v_cmp_ne_u32_e32 vcc_lo, 0x7c, v44
                                        ; implicit-def: $vgpr44
	s_and_saveexec_b32 s14, vcc_lo
	s_xor_b32 s14, exec_lo, s14
	s_cbranch_execz .LBB2_1267
; %bb.1264:                             ;   in Loop: Header=BB2_1030 Depth=2
	v_bfe_u32 v44, v11, 2, 5
	s_mov_b32 s45, exec_lo
	s_delay_alu instid0(VALU_DEP_1)
	v_cmpx_eq_u32_e32 0, v44
; %bb.1265:                             ;   in Loop: Header=BB2_1030 Depth=2
	v_clz_i32_u32_e32 v43, v43
	s_delay_alu instid0(VALU_DEP_1) | instskip(NEXT) | instid1(VALU_DEP_1)
	v_min_u32_e32 v43, 32, v43
	v_subrev_nc_u32_e32 v44, 29, v43
	s_delay_alu instid0(VALU_DEP_1) | instskip(NEXT) | instid1(VALU_DEP_1)
	v_lshlrev_b64_e32 v[46:47], v44, v[100:101]
	v_dual_sub_nc_u32 v44, 30, v43 :: v_dual_bitop2_b32 v43, 3, v46 bitop3:0x40
; %bb.1266:                             ;   in Loop: Header=BB2_1030 Depth=2
	s_or_b32 exec_lo, exec_lo, s45
	v_lshlrev_b32_e32 v101, 24, v11
	s_delay_alu instid0(VALU_DEP_1) | instskip(NEXT) | instid1(VALU_DEP_1)
	v_and_b32_e32 v101, 0x80000000, v101
	v_lshl_add_u32 v101, v44, 23, v101
	s_delay_alu instid0(VALU_DEP_1) | instskip(NEXT) | instid1(VALU_DEP_1)
	v_lshl_or_b32 v101, v43, 21, v101
                                        ; implicit-def: $vgpr43
	v_add_nc_u32_e32 v44, 0x38000000, v101
.LBB2_1267:                             ;   in Loop: Header=BB2_1030 Depth=2
	s_and_not1_saveexec_b32 s14, s14
; %bb.1268:                             ;   in Loop: Header=BB2_1030 Depth=2
	v_bfe_i32 v101, v11, 0, 8
	s_delay_alu instid0(VALU_DEP_1) | instskip(SKIP_2) | instid1(VALU_DEP_2)
	v_cmp_lt_i16_e32 vcc_lo, -1, v101
	v_cndmask_b32_e32 v101, 0xff800000, v62, vcc_lo
	v_cmp_eq_u32_e32 vcc_lo, 0, v43
	v_cndmask_b32_e32 v44, 0x7f800001, v101, vcc_lo
; %bb.1269:                             ;   in Loop: Header=BB2_1030 Depth=2
	s_or_b32 exec_lo, exec_lo, s14
.LBB2_1270:                             ;   in Loop: Header=BB2_1030 Depth=2
	s_delay_alu instid0(SALU_CYCLE_1)
	s_or_b32 exec_lo, exec_lo, s12
.LBB2_1271:                             ;   in Loop: Header=BB2_1030 Depth=2
	s_delay_alu instid0(SALU_CYCLE_1) | instskip(SKIP_3) | instid1(VALU_DEP_1)
	s_or_b32 exec_lo, exec_lo, s13
	v_and_b32_e32 v42, 0xff, v42
	s_mov_b32 s12, 0
	s_mov_b32 s13, exec_lo
	v_cmpx_lt_i16_e32 0x7f, v42
	s_xor_b32 s13, exec_lo, s13
	s_cbranch_execz .LBB2_1891
; %bb.1272:                             ;   in Loop: Header=BB2_1030 Depth=2
	s_mov_b32 s12, -1
	s_mov_b32 s14, exec_lo
	v_cmpx_eq_u16_e32 0x80, v42
; %bb.1273:                             ;   in Loop: Header=BB2_1030 Depth=2
	s_xor_b32 s12, exec_lo, -1
; %bb.1274:                             ;   in Loop: Header=BB2_1030 Depth=2
	s_or_b32 exec_lo, exec_lo, s14
	s_delay_alu instid0(SALU_CYCLE_1)
	s_and_b32 s12, s12, exec_lo
                                        ; implicit-def: $vgpr42
	s_or_saveexec_b32 s13, s13
	v_bfrev_b32_e32 v101, 1
	s_xor_b32 exec_lo, exec_lo, s13
	s_cbranch_execnz .LBB2_1892
.LBB2_1275:                             ;   in Loop: Header=BB2_1030 Depth=2
	s_or_b32 exec_lo, exec_lo, s13
	s_and_saveexec_b32 s13, s12
.LBB2_1276:                             ;   in Loop: Header=BB2_1030 Depth=2
	v_cndmask_b32_e64 v101, v102, v113, s11
	v_cndmask_b32_e64 v30, v30, v41, s11
	s_delay_alu instid0(VALU_DEP_2) | instskip(NEXT) | instid1(VALU_DEP_1)
	v_lshl_add_u32 v101, v101, 23, v103
	v_lshl_or_b32 v30, v30, 21, v101
	s_delay_alu instid0(VALU_DEP_1)
	v_cndmask_b32_e64 v101, v30, v112, s10
.LBB2_1277:                             ;   in Loop: Header=BB2_1030 Depth=2
	s_or_b32 exec_lo, exec_lo, s13
	s_delay_alu instid0(VALU_DEP_1) | instskip(NEXT) | instid1(VALU_DEP_1)
	v_dual_max_num_f32 v30, v101, v101 :: v_dual_max_num_f32 v101, v44, v44
	v_min_num_f32_e32 v44, v101, v30
.LBB2_1278:                             ;   in Loop: Header=BB2_1030 Depth=2
	s_delay_alu instid0(VALU_DEP_1) | instskip(SKIP_4) | instid1(VALU_DEP_3)
	v_and_b32_e32 v112, 0x7f800000, v44
	v_dual_mov_b32 v113, v39 :: v_dual_mov_b32 v103, v39
	v_and_b32_e32 v102, 0x7fffff, v44
	v_lshrrev_b32_e32 v30, 24, v44
                                        ; implicit-def: $vgpr41
	s_mov_b32 s10, exec_lo
	v_cmpx_ne_u64_e32 0x7f800000, v[112:113]
	s_xor_b32 s11, exec_lo, s10
	s_cbranch_execz .LBB2_1292
; %bb.1279:                             ;   in Loop: Header=BB2_1030 Depth=2
	v_and_b32_e32 v112, 0x7fffffff, v44
	v_mov_b32_e32 v113, v39
	v_and_b32_e32 v30, 0x80, v30
                                        ; implicit-def: $vgpr41
	s_mov_b32 s10, exec_lo
	s_delay_alu instid0(VALU_DEP_2)
	v_cmpx_gt_u64_e32 0x47600001, v[112:113]
	s_xor_b32 s12, exec_lo, s10
	s_cbranch_execz .LBB2_1289
; %bb.1280:                             ;   in Loop: Header=BB2_1030 Depth=2
	v_mov_b32_e32 v41, 0
	s_mov_b32 s13, exec_lo
	v_cmpx_ne_u32_e32 0, v44
	s_cbranch_execz .LBB2_1288
; %bb.1281:                             ;   in Loop: Header=BB2_1030 Depth=2
	v_bfe_u32 v101, v44, 23, 8
	v_or_b32_e32 v42, 0x800000, v102
	s_delay_alu instid0(VALU_DEP_2) | instskip(SKIP_1) | instid1(VALU_DEP_2)
	v_sub_nc_u32_e32 v112, 0x71, v101
	v_cmp_gt_u32_e32 vcc_lo, 0x72, v101
	v_cndmask_b32_e32 v112, 0, v112, vcc_lo
	v_cmp_eq_u32_e32 vcc_lo, 0, v101
	s_delay_alu instid0(VALU_DEP_2) | instskip(NEXT) | instid1(VALU_DEP_1)
	v_cndmask_b32_e64 v41, v112, 0x70, vcc_lo
	v_dual_cndmask_b32 v102, v42, v102, vcc_lo :: v_dual_add_nc_u32 v112, 21, v41
	v_add_nc_u32_e32 v43, 20, v41
	s_delay_alu instid0(VALU_DEP_2) | instskip(NEXT) | instid1(VALU_DEP_2)
	v_lshlrev_b64_e64 v[112:113], v112, -1
	v_lshlrev_b64_e64 v[42:43], v43, 1
	s_delay_alu instid0(VALU_DEP_2) | instskip(SKIP_1) | instid1(VALU_DEP_4)
	v_bfi_b32 v112, v112, 0, v102
	v_lshrrev_b64 v[102:103], v41, v[102:103]
	v_bfi_b32 v113, v113, 0, 0
	s_delay_alu instid0(VALU_DEP_1) | instskip(NEXT) | instid1(VALU_DEP_3)
	v_cmp_eq_u64_e64 s10, v[112:113], v[42:43]
	v_mov_b64_e32 v[112:113], v[102:103]
	s_and_saveexec_b32 s14, s10
; %bb.1282:                             ;   in Loop: Header=BB2_1030 Depth=2
	v_bfe_u32 v112, v102, 21, 1
	v_mov_b32_e32 v113, v39
	s_delay_alu instid0(VALU_DEP_1) | instskip(NEXT) | instid1(VALU_DEP_1)
	v_add_nc_u64_e32 v[112:113], v[102:103], v[112:113]
	v_add_nc_u64_e32 v[112:113], -1, v[112:113]
; %bb.1283:                             ;   in Loop: Header=BB2_1030 Depth=2
	s_or_b32 exec_lo, exec_lo, s14
	v_add_nc_u32_e32 v101, 0xffffff81, v101
	v_lshrrev_b32_e32 v103, 23, v102
	s_mov_b32 s10, exec_lo
	s_delay_alu instid0(VALU_DEP_2) | instskip(NEXT) | instid1(VALU_DEP_1)
	v_cndmask_b32_e64 v101, v101, 0xffffff82, vcc_lo
	v_add3_u32 v113, v41, v101, v103
	v_and_b32_e32 v101, 0x1fffff, v112
	s_delay_alu instid0(VALU_DEP_2) | instskip(NEXT) | instid1(VALU_DEP_2)
	v_dual_mov_b32 v103, v39 :: v_dual_add_nc_u32 v112, 14, v113
	v_add_nc_u32_e32 v102, v101, v102
                                        ; implicit-def: $vgpr101
	s_delay_alu instid0(VALU_DEP_2)
	v_cmpx_ne_u32_e32 0, v112
	s_xor_b32 s10, exec_lo, s10
; %bb.1284:                             ;   in Loop: Header=BB2_1030 Depth=2
	s_delay_alu instid0(VALU_DEP_2) | instskip(SKIP_1) | instid1(VALU_DEP_1)
	v_cmp_lt_u64_e32 vcc_lo, 0xffffff, v[102:103]
	v_add_nc_u32_e32 v101, 15, v113
	v_cndmask_b32_e32 v101, v112, v101, vcc_lo
	v_cndmask_b32_e64 v112, 0, 1, vcc_lo
	s_delay_alu instid0(VALU_DEP_1)
	v_lshrrev_b64 v[102:103], v112, v[102:103]
; %bb.1285:                             ;   in Loop: Header=BB2_1030 Depth=2
	s_and_not1_saveexec_b32 s10, s10
; %bb.1286:                             ;   in Loop: Header=BB2_1030 Depth=2
	s_delay_alu instid0(VALU_DEP_1)
	v_bfe_u32 v101, v102, 23, 1
; %bb.1287:                             ;   in Loop: Header=BB2_1030 Depth=2
	s_or_b32 exec_lo, exec_lo, s10
	s_delay_alu instid0(VALU_DEP_2) | instskip(NEXT) | instid1(VALU_DEP_2)
	v_lshrrev_b64 v[102:103], 21, v[102:103]
	v_cmp_gt_i32_e32 vcc_lo, 32, v101
	v_min_i32_e32 v112, 31, v101
	v_cmp_eq_u32_e64 s10, 0, v101
	s_delay_alu instid0(VALU_DEP_2) | instskip(SKIP_1) | instid1(VALU_DEP_2)
	v_dual_cndmask_b32 v103, 0, v103 :: v_dual_lshlrev_b32 v112, 2, v112
	v_cndmask_b32_e32 v102, 3, v102, vcc_lo
	v_and_b32_e32 v112, 0xfc, v112
	s_delay_alu instid0(VALU_DEP_2) | instskip(NEXT) | instid1(VALU_DEP_2)
	v_cmp_eq_u64_e32 vcc_lo, 0, v[102:103]
	v_and_or_b32 v101, v102, 3, v112
	s_and_b32 s10, s10, vcc_lo
	s_delay_alu instid0(VALU_DEP_1) | instid1(SALU_CYCLE_1)
	v_cndmask_b32_e64 v101, v101, 0, s10
	s_delay_alu instid0(VALU_DEP_1)
	v_or_b32_e32 v41, v101, v30
.LBB2_1288:                             ;   in Loop: Header=BB2_1030 Depth=2
	s_or_b32 exec_lo, exec_lo, s13
                                        ; implicit-def: $vgpr30
.LBB2_1289:                             ;   in Loop: Header=BB2_1030 Depth=2
	s_and_not1_saveexec_b32 s10, s12
; %bb.1290:                             ;   in Loop: Header=BB2_1030 Depth=2
	v_or_b32_e32 v41, 0x7b, v30
; %bb.1291:                             ;   in Loop: Header=BB2_1030 Depth=2
	s_or_b32 exec_lo, exec_lo, s10
                                        ; implicit-def: $vgpr44
                                        ; implicit-def: $vgpr102_vgpr103
                                        ; implicit-def: $vgpr30
.LBB2_1292:                             ;   in Loop: Header=BB2_1030 Depth=2
	s_and_not1_saveexec_b32 s10, s11
	s_cbranch_execz .LBB2_1298
; %bb.1293:                             ;   in Loop: Header=BB2_1030 Depth=2
	s_mov_b32 s11, exec_lo
                                        ; implicit-def: $vgpr41
	v_cmpx_ne_u64_e32 0, v[102:103]
	s_xor_b32 s11, exec_lo, s11
; %bb.1294:                             ;   in Loop: Header=BB2_1030 Depth=2
	v_or_b32_e32 v41, 0x7f, v30
                                        ; implicit-def: $vgpr44
; %bb.1295:                             ;   in Loop: Header=BB2_1030 Depth=2
	s_and_not1_saveexec_b32 s11, s11
; %bb.1296:                             ;   in Loop: Header=BB2_1030 Depth=2
	v_cmp_lt_i32_e32 vcc_lo, -1, v44
	v_cndmask_b32_e32 v41, 0xfc, v63, vcc_lo
; %bb.1297:                             ;   in Loop: Header=BB2_1030 Depth=2
	s_or_b32 exec_lo, exec_lo, s11
.LBB2_1298:                             ;   in Loop: Header=BB2_1030 Depth=2
	s_delay_alu instid0(SALU_CYCLE_1)
	s_or_b32 exec_lo, exec_lo, s10
	v_lshrrev_b16 v102, 8, v38
	v_cmp_lt_i16_e32 vcc_lo, -1, v38
	v_lshrrev_b16 v112, 8, v100
	s_mov_b32 s13, -1
	v_mov_b32_e32 v103, v39
	v_and_b32_e32 v113, 0xffff, v102
	s_delay_alu instid0(VALU_DEP_3) | instskip(NEXT) | instid1(VALU_DEP_2)
	v_cmp_ne_u16_e64 s12, 0, v112
	v_and_b32_e32 v30, 3, v113
	v_and_b32_e32 v47, 0x7c, v113
	v_bfe_u32 v38, v113, 2, 5
                                        ; implicit-def: $vgpr113
	s_delay_alu instid0(VALU_DEP_3) | instskip(NEXT) | instid1(VALU_DEP_3)
	v_clz_i32_u32_e32 v101, v30
	v_cmp_eq_u32_e64 s10, 0x7c, v47
	s_delay_alu instid0(VALU_DEP_3) | instskip(NEXT) | instid1(VALU_DEP_3)
	v_cmp_eq_u32_e64 s11, 0, v38
	v_min_u32_e32 v43, 32, v101
	v_cndmask_b32_e32 v42, 0xff800000, v62, vcc_lo
	v_cmp_eq_u32_e32 vcc_lo, 0, v30
	v_and_b32_e32 v101, 0xffff, v112
	s_delay_alu instid0(VALU_DEP_4) | instskip(NEXT) | instid1(VALU_DEP_4)
	v_subrev_nc_u32_e32 v44, 29, v43
	v_dual_cndmask_b32 v42, 0x7f800001, v42 :: v_dual_sub_nc_u32 v43, 30, v43
	s_and_b32 vcc_lo, exec_lo, s44
	s_delay_alu instid0(VALU_DEP_2) | instskip(NEXT) | instid1(VALU_DEP_1)
	v_lshlrev_b64_e32 v[44:45], v44, v[102:103]
	v_dual_lshlrev_b32 v46, 24, v102 :: v_dual_bitop2_b32 v44, 3, v44 bitop3:0x40
	s_delay_alu instid0(VALU_DEP_1)
	v_and_or_b32 v103, v46, s28, 0x38000000
	s_cbranch_vccz .LBB2_1316
; %bb.1299:                             ;   in Loop: Header=BB2_1030 Depth=2
	v_mov_b32_e32 v113, 0
	s_and_saveexec_b32 s13, s12
	s_cbranch_execz .LBB2_1309
; %bb.1300:                             ;   in Loop: Header=BB2_1030 Depth=2
	v_bfrev_b32_e32 v113, 1
	s_mov_b32 s14, exec_lo
	v_cmpx_ne_u16_e32 0x80, v112
	s_cbranch_execz .LBB2_1308
; %bb.1301:                             ;   in Loop: Header=BB2_1030 Depth=2
	v_and_b32_e32 v113, 0x7c, v101
	v_and_b32_e32 v45, 3, v101
	s_delay_alu instid0(VALU_DEP_2) | instskip(SKIP_1) | instid1(SALU_CYCLE_1)
	v_cmp_ne_u32_e32 vcc_lo, 0x7c, v113
                                        ; implicit-def: $vgpr113
	s_and_saveexec_b32 s45, vcc_lo
	s_xor_b32 s45, exec_lo, s45
	s_cbranch_execz .LBB2_1305
; %bb.1302:                             ;   in Loop: Header=BB2_1030 Depth=2
	v_bfe_u32 v113, v101, 2, 5
	s_mov_b32 s46, exec_lo
	s_delay_alu instid0(VALU_DEP_1)
	v_cmpx_eq_u32_e32 0, v113
; %bb.1303:                             ;   in Loop: Header=BB2_1030 Depth=2
	v_clz_i32_u32_e32 v113, v45
	s_delay_alu instid0(VALU_DEP_1) | instskip(SKIP_1) | instid1(VALU_DEP_2)
	v_min_u32_e32 v45, 32, v113
	v_mov_b32_e32 v113, v39
	v_subrev_nc_u32_e32 v46, 29, v45
	s_delay_alu instid0(VALU_DEP_1) | instskip(NEXT) | instid1(VALU_DEP_1)
	v_lshlrev_b64_e32 v[46:47], v46, v[112:113]
	v_dual_sub_nc_u32 v113, 30, v45 :: v_dual_bitop2_b32 v45, 3, v46 bitop3:0x40
; %bb.1304:                             ;   in Loop: Header=BB2_1030 Depth=2
	s_or_b32 exec_lo, exec_lo, s46
	v_lshlrev_b32_e32 v46, 16, v100
	s_delay_alu instid0(VALU_DEP_1) | instskip(NEXT) | instid1(VALU_DEP_1)
	v_and_b32_e32 v46, 0x80000000, v46
	v_lshl_add_u32 v113, v113, 23, v46
	s_delay_alu instid0(VALU_DEP_1) | instskip(NEXT) | instid1(VALU_DEP_1)
	v_lshl_or_b32 v113, v45, 21, v113
                                        ; implicit-def: $vgpr45
	v_add_nc_u32_e32 v113, 0x38000000, v113
.LBB2_1305:                             ;   in Loop: Header=BB2_1030 Depth=2
	s_and_not1_saveexec_b32 s45, s45
; %bb.1306:                             ;   in Loop: Header=BB2_1030 Depth=2
	v_cmp_lt_i16_e32 vcc_lo, -1, v100
	v_cndmask_b32_e32 v113, 0xff800000, v62, vcc_lo
	v_cmp_eq_u32_e32 vcc_lo, 0, v45
	s_delay_alu instid0(VALU_DEP_2)
	v_cndmask_b32_e32 v113, 0x7f800001, v113, vcc_lo
; %bb.1307:                             ;   in Loop: Header=BB2_1030 Depth=2
	s_or_b32 exec_lo, exec_lo, s45
.LBB2_1308:                             ;   in Loop: Header=BB2_1030 Depth=2
	s_delay_alu instid0(SALU_CYCLE_1)
	s_or_b32 exec_lo, exec_lo, s14
.LBB2_1309:                             ;   in Loop: Header=BB2_1030 Depth=2
	s_delay_alu instid0(SALU_CYCLE_1)
	s_or_b32 exec_lo, exec_lo, s13
	s_mov_b32 s13, 0
	s_mov_b32 s14, exec_lo
	v_cmpx_lt_i16_e32 0x7f, v102
	s_xor_b32 s14, exec_lo, s14
	s_cbranch_execz .LBB2_1893
; %bb.1310:                             ;   in Loop: Header=BB2_1030 Depth=2
	s_mov_b32 s13, -1
	s_mov_b32 s45, exec_lo
	v_cmpx_eq_u16_e32 0x80, v102
; %bb.1311:                             ;   in Loop: Header=BB2_1030 Depth=2
	s_xor_b32 s13, exec_lo, -1
; %bb.1312:                             ;   in Loop: Header=BB2_1030 Depth=2
	s_or_b32 exec_lo, exec_lo, s45
	s_delay_alu instid0(SALU_CYCLE_1)
	s_and_b32 s13, s13, exec_lo
	s_or_saveexec_b32 s14, s14
	v_bfrev_b32_e32 v45, 1
	s_xor_b32 exec_lo, exec_lo, s14
	s_cbranch_execnz .LBB2_1894
.LBB2_1313:                             ;   in Loop: Header=BB2_1030 Depth=2
	s_or_b32 exec_lo, exec_lo, s14
	s_and_saveexec_b32 s14, s13
.LBB2_1314:                             ;   in Loop: Header=BB2_1030 Depth=2
	v_cndmask_b32_e64 v45, v38, v43, s11
	v_cndmask_b32_e64 v46, v30, v44, s11
	s_delay_alu instid0(VALU_DEP_2) | instskip(NEXT) | instid1(VALU_DEP_1)
	v_lshl_add_u32 v45, v45, 23, v103
	v_lshl_or_b32 v45, v46, 21, v45
	s_delay_alu instid0(VALU_DEP_1)
	v_cndmask_b32_e64 v45, v45, v42, s10
.LBB2_1315:                             ;   in Loop: Header=BB2_1030 Depth=2
	s_or_b32 exec_lo, exec_lo, s14
	s_delay_alu instid0(VALU_DEP_1) | instskip(SKIP_2) | instid1(VALU_DEP_1)
	v_max_num_f32_e32 v45, v45, v45
	v_max_num_f32_e32 v113, v113, v113
	s_mov_b32 s13, 0
	v_max_num_f32_e32 v113, v113, v45
.LBB2_1316:                             ;   in Loop: Header=BB2_1030 Depth=2
	s_and_b32 vcc_lo, exec_lo, s13
	s_cbranch_vccz .LBB2_1334
; %bb.1317:                             ;   in Loop: Header=BB2_1030 Depth=2
	v_mov_b32_e32 v113, 0
	s_and_saveexec_b32 s13, s12
	s_cbranch_execz .LBB2_1327
; %bb.1318:                             ;   in Loop: Header=BB2_1030 Depth=2
	v_bfrev_b32_e32 v113, 1
	s_mov_b32 s12, exec_lo
	v_cmpx_ne_u16_e32 0x80, v112
	s_cbranch_execz .LBB2_1326
; %bb.1319:                             ;   in Loop: Header=BB2_1030 Depth=2
	v_and_b32_e32 v113, 0x7c, v101
	v_and_b32_e32 v45, 3, v101
	s_delay_alu instid0(VALU_DEP_2) | instskip(SKIP_1) | instid1(SALU_CYCLE_1)
	v_cmp_ne_u32_e32 vcc_lo, 0x7c, v113
                                        ; implicit-def: $vgpr113
	s_and_saveexec_b32 s14, vcc_lo
	s_xor_b32 s14, exec_lo, s14
	s_cbranch_execz .LBB2_1323
; %bb.1320:                             ;   in Loop: Header=BB2_1030 Depth=2
	v_bfe_u32 v101, v101, 2, 5
	s_mov_b32 s45, exec_lo
	s_delay_alu instid0(VALU_DEP_1)
	v_cmpx_eq_u32_e32 0, v101
	s_cbranch_execz .LBB2_1322
; %bb.1321:                             ;   in Loop: Header=BB2_1030 Depth=2
	v_clz_i32_u32_e32 v101, v45
	s_delay_alu instid0(VALU_DEP_1) | instskip(SKIP_1) | instid1(VALU_DEP_2)
	v_min_u32_e32 v101, 32, v101
	v_mov_b32_e32 v113, v39
	v_subrev_nc_u32_e32 v45, 29, v101
	v_sub_nc_u32_e32 v101, 30, v101
	s_delay_alu instid0(VALU_DEP_2) | instskip(NEXT) | instid1(VALU_DEP_1)
	v_lshlrev_b64_e32 v[112:113], v45, v[112:113]
	v_and_b32_e32 v45, 3, v112
.LBB2_1322:                             ;   in Loop: Header=BB2_1030 Depth=2
	s_or_b32 exec_lo, exec_lo, s45
	v_lshlrev_b32_e32 v100, 16, v100
	s_delay_alu instid0(VALU_DEP_1) | instskip(NEXT) | instid1(VALU_DEP_1)
	v_and_b32_e32 v100, 0x80000000, v100
	v_lshl_add_u32 v100, v101, 23, v100
	s_delay_alu instid0(VALU_DEP_1) | instskip(NEXT) | instid1(VALU_DEP_1)
	v_lshl_or_b32 v100, v45, 21, v100
                                        ; implicit-def: $vgpr45
	v_add_nc_u32_e32 v113, 0x38000000, v100
                                        ; implicit-def: $vgpr100_vgpr101
.LBB2_1323:                             ;   in Loop: Header=BB2_1030 Depth=2
	s_and_not1_saveexec_b32 s14, s14
; %bb.1324:                             ;   in Loop: Header=BB2_1030 Depth=2
	v_cmp_lt_i16_e32 vcc_lo, -1, v100
	v_cndmask_b32_e32 v100, 0xff800000, v62, vcc_lo
	v_cmp_eq_u32_e32 vcc_lo, 0, v45
	s_delay_alu instid0(VALU_DEP_2)
	v_cndmask_b32_e32 v113, 0x7f800001, v100, vcc_lo
; %bb.1325:                             ;   in Loop: Header=BB2_1030 Depth=2
	s_or_b32 exec_lo, exec_lo, s14
.LBB2_1326:                             ;   in Loop: Header=BB2_1030 Depth=2
	s_delay_alu instid0(SALU_CYCLE_1)
	s_or_b32 exec_lo, exec_lo, s12
.LBB2_1327:                             ;   in Loop: Header=BB2_1030 Depth=2
	s_delay_alu instid0(SALU_CYCLE_1)
	s_or_b32 exec_lo, exec_lo, s13
	s_mov_b32 s12, 0
	s_mov_b32 s13, exec_lo
	v_cmpx_lt_i16_e32 0x7f, v102
	s_xor_b32 s13, exec_lo, s13
	s_cbranch_execz .LBB2_1895
; %bb.1328:                             ;   in Loop: Header=BB2_1030 Depth=2
	s_mov_b32 s12, -1
	s_mov_b32 s14, exec_lo
	v_cmpx_eq_u16_e32 0x80, v102
; %bb.1329:                             ;   in Loop: Header=BB2_1030 Depth=2
	s_xor_b32 s12, exec_lo, -1
; %bb.1330:                             ;   in Loop: Header=BB2_1030 Depth=2
	s_or_b32 exec_lo, exec_lo, s14
	s_delay_alu instid0(SALU_CYCLE_1)
	s_and_b32 s12, s12, exec_lo
                                        ; implicit-def: $vgpr102
	s_or_saveexec_b32 s13, s13
	v_bfrev_b32_e32 v100, 1
	s_xor_b32 exec_lo, exec_lo, s13
	s_cbranch_execnz .LBB2_1896
.LBB2_1331:                             ;   in Loop: Header=BB2_1030 Depth=2
	s_or_b32 exec_lo, exec_lo, s13
	s_and_saveexec_b32 s13, s12
.LBB2_1332:                             ;   in Loop: Header=BB2_1030 Depth=2
	v_cndmask_b32_e64 v38, v38, v43, s11
	v_cndmask_b32_e64 v30, v30, v44, s11
	s_delay_alu instid0(VALU_DEP_2) | instskip(NEXT) | instid1(VALU_DEP_1)
	v_lshl_add_u32 v38, v38, 23, v103
	v_lshl_or_b32 v30, v30, 21, v38
	s_delay_alu instid0(VALU_DEP_1)
	v_cndmask_b32_e64 v100, v30, v42, s10
.LBB2_1333:                             ;   in Loop: Header=BB2_1030 Depth=2
	s_or_b32 exec_lo, exec_lo, s13
	s_delay_alu instid0(VALU_DEP_1) | instskip(NEXT) | instid1(VALU_DEP_1)
	v_dual_max_num_f32 v30, v100, v100 :: v_dual_max_num_f32 v38, v113, v113
	v_min_num_f32_e32 v113, v38, v30
.LBB2_1334:                             ;   in Loop: Header=BB2_1030 Depth=2
	s_delay_alu instid0(VALU_DEP_1) | instskip(SKIP_3) | instid1(VALU_DEP_2)
	v_and_b32_e32 v100, 0x7f800000, v113
	v_dual_mov_b32 v101, v39 :: v_dual_lshrrev_b32 v30, 24, v113
	v_and_b32_e32 v38, 0x7fffff, v113
                                        ; implicit-def: $vgpr112
	s_mov_b32 s10, exec_lo
	v_cmpx_ne_u64_e32 0x7f800000, v[100:101]
	s_xor_b32 s11, exec_lo, s10
	s_cbranch_execz .LBB2_1348
; %bb.1335:                             ;   in Loop: Header=BB2_1030 Depth=2
	v_and_b32_e32 v100, 0x7fffffff, v113
	v_mov_b32_e32 v101, v39
	v_and_b32_e32 v30, 0x80, v30
                                        ; implicit-def: $vgpr112
	s_mov_b32 s10, exec_lo
	s_delay_alu instid0(VALU_DEP_2)
	v_cmpx_gt_u64_e32 0x47600001, v[100:101]
	s_xor_b32 s12, exec_lo, s10
	s_cbranch_execz .LBB2_1345
; %bb.1336:                             ;   in Loop: Header=BB2_1030 Depth=2
	v_mov_b32_e32 v112, 0
	s_mov_b32 s13, exec_lo
	v_cmpx_ne_u32_e32 0, v113
	s_cbranch_execz .LBB2_1344
; %bb.1337:                             ;   in Loop: Header=BB2_1030 Depth=2
	v_bfe_u32 v112, v113, 23, 8
	v_or_b32_e32 v102, 0x800000, v38
	s_delay_alu instid0(VALU_DEP_2) | instskip(SKIP_1) | instid1(VALU_DEP_2)
	v_sub_nc_u32_e32 v100, 0x71, v112
	v_cmp_gt_u32_e32 vcc_lo, 0x72, v112
	v_cndmask_b32_e32 v100, 0, v100, vcc_lo
	v_cmp_eq_u32_e32 vcc_lo, 0, v112
	s_delay_alu instid0(VALU_DEP_2) | instskip(NEXT) | instid1(VALU_DEP_1)
	v_cndmask_b32_e64 v113, v100, 0x70, vcc_lo
	v_dual_cndmask_b32 v38, v102, v38, vcc_lo :: v_dual_add_nc_u32 v100, 21, v113
	v_add_nc_u32_e32 v103, 20, v113
	s_delay_alu instid0(VALU_DEP_2) | instskip(NEXT) | instid1(VALU_DEP_2)
	v_lshlrev_b64_e64 v[100:101], v100, -1
	v_lshlrev_b64_e64 v[102:103], v103, 1
	s_delay_alu instid0(VALU_DEP_2) | instskip(NEXT) | instid1(VALU_DEP_3)
	v_bfi_b32 v43, v101, 0, 0
	v_bfi_b32 v42, v100, 0, v38
	v_lshrrev_b64 v[100:101], v113, v[38:39]
	s_delay_alu instid0(VALU_DEP_2) | instskip(NEXT) | instid1(VALU_DEP_2)
	v_cmp_eq_u64_e64 s10, v[42:43], v[102:103]
	v_mov_b64_e32 v[102:103], v[100:101]
	s_and_saveexec_b32 s14, s10
; %bb.1338:                             ;   in Loop: Header=BB2_1030 Depth=2
	v_bfe_u32 v38, v100, 21, 1
	s_delay_alu instid0(VALU_DEP_1) | instskip(NEXT) | instid1(VALU_DEP_1)
	v_add_nc_u64_e32 v[102:103], v[100:101], v[38:39]
	v_add_nc_u64_e32 v[102:103], -1, v[102:103]
; %bb.1339:                             ;   in Loop: Header=BB2_1030 Depth=2
	s_or_b32 exec_lo, exec_lo, s14
	v_add_nc_u32_e32 v38, 0xffffff81, v112
	v_lshrrev_b32_e32 v101, 23, v100
	s_mov_b32 s10, exec_lo
	s_delay_alu instid0(VALU_DEP_2) | instskip(NEXT) | instid1(VALU_DEP_1)
	v_cndmask_b32_e64 v38, v38, 0xffffff82, vcc_lo
	v_add3_u32 v103, v113, v38, v101
	v_and_b32_e32 v38, 0x1fffff, v102
                                        ; implicit-def: $vgpr102
	s_delay_alu instid0(VALU_DEP_1) | instskip(NEXT) | instid1(VALU_DEP_1)
	v_dual_add_nc_u32 v112, 14, v103 :: v_dual_add_nc_u32 v38, v38, v100
                                        ; implicit-def: $vgpr100_vgpr101
	v_cmpx_ne_u32_e32 0, v112
	s_xor_b32 s10, exec_lo, s10
; %bb.1340:                             ;   in Loop: Header=BB2_1030 Depth=2
	s_delay_alu instid0(VALU_DEP_2) | instskip(SKIP_1) | instid1(VALU_DEP_1)
	v_cmp_lt_u64_e32 vcc_lo, 0xffffff, v[38:39]
	v_add_nc_u32_e32 v100, 15, v103
	v_cndmask_b32_e32 v102, v112, v100, vcc_lo
	v_cndmask_b32_e64 v100, 0, 1, vcc_lo
	s_delay_alu instid0(VALU_DEP_1)
	v_lshrrev_b64 v[100:101], v100, v[38:39]
; %bb.1341:                             ;   in Loop: Header=BB2_1030 Depth=2
	s_and_not1_saveexec_b32 s10, s10
; %bb.1342:                             ;   in Loop: Header=BB2_1030 Depth=2
	v_mov_b64_e32 v[100:101], v[38:39]
	v_bfe_u32 v102, v38, 23, 1
; %bb.1343:                             ;   in Loop: Header=BB2_1030 Depth=2
	s_or_b32 exec_lo, exec_lo, s10
	s_delay_alu instid0(VALU_DEP_2) | instskip(NEXT) | instid1(VALU_DEP_2)
	v_lshrrev_b64 v[100:101], 21, v[100:101]
	v_cmp_gt_i32_e32 vcc_lo, 32, v102
	v_min_i32_e32 v38, 31, v102
	v_cmp_eq_u32_e64 s10, 0, v102
	s_delay_alu instid0(VALU_DEP_2) | instskip(SKIP_1) | instid1(VALU_DEP_2)
	v_dual_cndmask_b32 v101, 0, v101 :: v_dual_lshlrev_b32 v38, 2, v38
	v_cndmask_b32_e32 v100, 3, v100, vcc_lo
	v_and_b32_e32 v38, 0xfc, v38
	s_delay_alu instid0(VALU_DEP_2) | instskip(NEXT) | instid1(VALU_DEP_2)
	v_cmp_eq_u64_e32 vcc_lo, 0, v[100:101]
	v_and_or_b32 v38, v100, 3, v38
	s_and_b32 s10, s10, vcc_lo
	s_delay_alu instid0(VALU_DEP_1) | instid1(SALU_CYCLE_1)
	v_cndmask_b32_e64 v38, v38, 0, s10
	s_delay_alu instid0(VALU_DEP_1)
	v_or_b32_e32 v112, v38, v30
.LBB2_1344:                             ;   in Loop: Header=BB2_1030 Depth=2
	s_or_b32 exec_lo, exec_lo, s13
                                        ; implicit-def: $vgpr30
.LBB2_1345:                             ;   in Loop: Header=BB2_1030 Depth=2
	s_and_not1_saveexec_b32 s10, s12
; %bb.1346:                             ;   in Loop: Header=BB2_1030 Depth=2
	v_or_b32_e32 v112, 0x7b, v30
; %bb.1347:                             ;   in Loop: Header=BB2_1030 Depth=2
	s_or_b32 exec_lo, exec_lo, s10
                                        ; implicit-def: $vgpr113
                                        ; implicit-def: $vgpr30
.LBB2_1348:                             ;   in Loop: Header=BB2_1030 Depth=2
	s_and_not1_saveexec_b32 s10, s11
	s_cbranch_execz .LBB2_1354
; %bb.1349:                             ;   in Loop: Header=BB2_1030 Depth=2
	s_mov_b32 s11, exec_lo
                                        ; implicit-def: $vgpr112
	v_cmpx_ne_u64_e32 0, v[38:39]
	s_xor_b32 s11, exec_lo, s11
; %bb.1350:                             ;   in Loop: Header=BB2_1030 Depth=2
	v_or_b32_e32 v112, 0x7f, v30
                                        ; implicit-def: $vgpr113
; %bb.1351:                             ;   in Loop: Header=BB2_1030 Depth=2
	s_and_not1_saveexec_b32 s11, s11
; %bb.1352:                             ;   in Loop: Header=BB2_1030 Depth=2
	v_cmp_lt_i32_e32 vcc_lo, -1, v113
	v_cndmask_b32_e32 v112, 0xfc, v63, vcc_lo
; %bb.1353:                             ;   in Loop: Header=BB2_1030 Depth=2
	s_or_b32 exec_lo, exec_lo, s11
.LBB2_1354:                             ;   in Loop: Header=BB2_1030 Depth=2
	s_delay_alu instid0(SALU_CYCLE_1) | instskip(SKIP_4) | instid1(VALU_DEP_3)
	s_or_b32 exec_lo, exec_lo, s10
	v_bfe_u32 v38, v15, 16, 2
	v_dual_lshrrev_b32 v102, 16, v15 :: v_dual_lshlrev_b32 v113, 8, v15
	v_and_b32_e32 v101, 0x7c0000, v15
	s_mov_b32 s13, -1
	v_clz_i32_u32_e32 v100, v38
	s_delay_alu instid0(VALU_DEP_3) | instskip(NEXT) | instid1(VALU_DEP_3)
	v_bfe_i32 v42, v102, 0, 8
	v_cmp_eq_u32_e64 s10, 0x7c0000, v101
	v_and_or_b32 v101, v113, s28, 0x38000000
	s_delay_alu instid0(VALU_DEP_4) | instskip(NEXT) | instid1(VALU_DEP_4)
	v_min_u32_e32 v103, 32, v100
	v_cmp_lt_i16_e32 vcc_lo, -1, v42
	v_bfe_u32 v100, v15, 18, 5
	s_delay_alu instid0(VALU_DEP_3) | instskip(NEXT) | instid1(VALU_DEP_2)
	v_subrev_nc_u32_e32 v44, 29, v103
	v_cmp_eq_u32_e64 s11, 0, v100
	s_delay_alu instid0(VALU_DEP_2) | instskip(SKIP_3) | instid1(VALU_DEP_4)
	v_lshlrev_b64_e32 v[44:45], v44, v[102:103]
	v_lshrrev_b32_e32 v30, 16, v11
	v_dual_cndmask_b32 v102, 0xff800000, v62 :: v_dual_sub_nc_u32 v103, 30, v103
	v_cmp_eq_u32_e32 vcc_lo, 0, v38
	v_and_b32_e32 v113, 3, v44
	s_delay_alu instid0(VALU_DEP_4) | instskip(NEXT) | instid1(VALU_DEP_4)
	v_and_b32_e32 v43, 0xff, v30
	v_cndmask_b32_e32 v102, 0x7f800001, v102, vcc_lo
	s_and_b32 vcc_lo, exec_lo, s44
                                        ; implicit-def: $vgpr44
	s_delay_alu instid0(VALU_DEP_2)
	v_cmp_ne_u16_e64 s12, 0, v43
	s_cbranch_vccz .LBB2_1372
; %bb.1355:                             ;   in Loop: Header=BB2_1030 Depth=2
	v_mov_b32_e32 v44, 0
	s_and_saveexec_b32 s13, s12
	s_cbranch_execz .LBB2_1365
; %bb.1356:                             ;   in Loop: Header=BB2_1030 Depth=2
	v_bfrev_b32_e32 v44, 1
	s_mov_b32 s14, exec_lo
	v_cmpx_ne_u16_e32 0x80, v43
	s_cbranch_execz .LBB2_1364
; %bb.1357:                             ;   in Loop: Header=BB2_1030 Depth=2
	v_and_b32_e32 v44, 0x7c0000, v11
	v_bfe_u32 v45, v11, 16, 2
	s_delay_alu instid0(VALU_DEP_2) | instskip(SKIP_1) | instid1(SALU_CYCLE_1)
	v_cmp_ne_u32_e32 vcc_lo, 0x7c0000, v44
                                        ; implicit-def: $vgpr44
	s_and_saveexec_b32 s45, vcc_lo
	s_xor_b32 s45, exec_lo, s45
	s_cbranch_execz .LBB2_1361
; %bb.1358:                             ;   in Loop: Header=BB2_1030 Depth=2
	v_bfe_u32 v44, v11, 18, 5
	s_mov_b32 s46, exec_lo
	s_delay_alu instid0(VALU_DEP_1)
	v_cmpx_eq_u32_e32 0, v44
; %bb.1359:                             ;   in Loop: Header=BB2_1030 Depth=2
	v_clz_i32_u32_e32 v44, v45
	s_delay_alu instid0(VALU_DEP_1) | instskip(NEXT) | instid1(VALU_DEP_1)
	v_min_u32_e32 v44, 32, v44
	v_subrev_nc_u32_e32 v45, 29, v44
	s_delay_alu instid0(VALU_DEP_1) | instskip(NEXT) | instid1(VALU_DEP_1)
	v_lshlrev_b64_e32 v[46:47], v45, v[30:31]
	v_dual_sub_nc_u32 v44, 30, v44 :: v_dual_bitop2_b32 v45, 3, v46 bitop3:0x40
; %bb.1360:                             ;   in Loop: Header=BB2_1030 Depth=2
	s_or_b32 exec_lo, exec_lo, s46
	v_lshlrev_b32_e32 v46, 24, v30
	s_delay_alu instid0(VALU_DEP_1) | instskip(NEXT) | instid1(VALU_DEP_1)
	v_and_b32_e32 v46, 0x80000000, v46
	v_lshl_add_u32 v44, v44, 23, v46
	s_delay_alu instid0(VALU_DEP_1) | instskip(NEXT) | instid1(VALU_DEP_1)
	v_lshl_or_b32 v44, v45, 21, v44
                                        ; implicit-def: $vgpr45
	v_add_nc_u32_e32 v44, 0x38000000, v44
.LBB2_1361:                             ;   in Loop: Header=BB2_1030 Depth=2
	s_and_not1_saveexec_b32 s45, s45
; %bb.1362:                             ;   in Loop: Header=BB2_1030 Depth=2
	v_bfe_i32 v44, v30, 0, 8
	s_delay_alu instid0(VALU_DEP_1) | instskip(SKIP_2) | instid1(VALU_DEP_2)
	v_cmp_lt_i16_e32 vcc_lo, -1, v44
	v_cndmask_b32_e32 v44, 0xff800000, v62, vcc_lo
	v_cmp_eq_u32_e32 vcc_lo, 0, v45
	v_cndmask_b32_e32 v44, 0x7f800001, v44, vcc_lo
; %bb.1363:                             ;   in Loop: Header=BB2_1030 Depth=2
	s_or_b32 exec_lo, exec_lo, s45
.LBB2_1364:                             ;   in Loop: Header=BB2_1030 Depth=2
	s_delay_alu instid0(SALU_CYCLE_1)
	s_or_b32 exec_lo, exec_lo, s14
.LBB2_1365:                             ;   in Loop: Header=BB2_1030 Depth=2
	s_delay_alu instid0(SALU_CYCLE_1) | instskip(SKIP_3) | instid1(VALU_DEP_1)
	s_or_b32 exec_lo, exec_lo, s13
	v_and_b32_e32 v46, 0xff, v42
	s_mov_b32 s13, 0
	s_mov_b32 s14, exec_lo
	v_cmpx_lt_i16_e32 0x7f, v46
	s_xor_b32 s14, exec_lo, s14
	s_cbranch_execz .LBB2_1897
; %bb.1366:                             ;   in Loop: Header=BB2_1030 Depth=2
	s_mov_b32 s13, -1
	s_mov_b32 s45, exec_lo
	v_cmpx_eq_u16_e32 0x80, v46
; %bb.1367:                             ;   in Loop: Header=BB2_1030 Depth=2
	s_xor_b32 s13, exec_lo, -1
; %bb.1368:                             ;   in Loop: Header=BB2_1030 Depth=2
	s_or_b32 exec_lo, exec_lo, s45
	s_delay_alu instid0(SALU_CYCLE_1)
	s_and_b32 s13, s13, exec_lo
                                        ; implicit-def: $vgpr46
	s_or_saveexec_b32 s14, s14
	v_bfrev_b32_e32 v45, 1
	s_xor_b32 exec_lo, exec_lo, s14
	s_cbranch_execnz .LBB2_1898
.LBB2_1369:                             ;   in Loop: Header=BB2_1030 Depth=2
	s_or_b32 exec_lo, exec_lo, s14
	s_and_saveexec_b32 s14, s13
.LBB2_1370:                             ;   in Loop: Header=BB2_1030 Depth=2
	v_dual_cndmask_b32 v45, v100, v103, s11 :: v_dual_cndmask_b32 v46, v38, v113, s11
	s_delay_alu instid0(VALU_DEP_1) | instskip(NEXT) | instid1(VALU_DEP_1)
	v_lshl_add_u32 v45, v45, 23, v101
	v_lshl_or_b32 v45, v46, 21, v45
	s_delay_alu instid0(VALU_DEP_1)
	v_cndmask_b32_e64 v45, v45, v102, s10
.LBB2_1371:                             ;   in Loop: Header=BB2_1030 Depth=2
	s_or_b32 exec_lo, exec_lo, s14
	s_delay_alu instid0(VALU_DEP_1) | instskip(SKIP_1) | instid1(VALU_DEP_1)
	v_dual_max_num_f32 v45, v45, v45 :: v_dual_max_num_f32 v44, v44, v44
	s_mov_b32 s13, 0
	v_max_num_f32_e32 v44, v44, v45
.LBB2_1372:                             ;   in Loop: Header=BB2_1030 Depth=2
	s_and_b32 vcc_lo, exec_lo, s13
	s_cbranch_vccz .LBB2_1390
; %bb.1373:                             ;   in Loop: Header=BB2_1030 Depth=2
	v_mov_b32_e32 v44, 0
	s_and_saveexec_b32 s13, s12
	s_cbranch_execz .LBB2_1383
; %bb.1374:                             ;   in Loop: Header=BB2_1030 Depth=2
	v_bfrev_b32_e32 v44, 1
	s_mov_b32 s12, exec_lo
	v_cmpx_ne_u16_e32 0x80, v43
	s_cbranch_execz .LBB2_1382
; %bb.1375:                             ;   in Loop: Header=BB2_1030 Depth=2
	v_and_b32_e32 v44, 0x7c0000, v11
	v_bfe_u32 v43, v11, 16, 2
	s_delay_alu instid0(VALU_DEP_2) | instskip(SKIP_1) | instid1(SALU_CYCLE_1)
	v_cmp_ne_u32_e32 vcc_lo, 0x7c0000, v44
                                        ; implicit-def: $vgpr44
	s_and_saveexec_b32 s14, vcc_lo
	s_xor_b32 s14, exec_lo, s14
	s_cbranch_execz .LBB2_1379
; %bb.1376:                             ;   in Loop: Header=BB2_1030 Depth=2
	v_bfe_u32 v44, v11, 18, 5
	s_mov_b32 s45, exec_lo
	s_delay_alu instid0(VALU_DEP_1)
	v_cmpx_eq_u32_e32 0, v44
; %bb.1377:                             ;   in Loop: Header=BB2_1030 Depth=2
	v_clz_i32_u32_e32 v43, v43
	s_delay_alu instid0(VALU_DEP_1) | instskip(NEXT) | instid1(VALU_DEP_1)
	v_min_u32_e32 v43, 32, v43
	v_subrev_nc_u32_e32 v44, 29, v43
	s_delay_alu instid0(VALU_DEP_1) | instskip(NEXT) | instid1(VALU_DEP_1)
	v_lshlrev_b64_e32 v[46:47], v44, v[30:31]
	v_dual_sub_nc_u32 v44, 30, v43 :: v_dual_bitop2_b32 v43, 3, v46 bitop3:0x40
; %bb.1378:                             ;   in Loop: Header=BB2_1030 Depth=2
	s_or_b32 exec_lo, exec_lo, s45
	v_lshlrev_b32_e32 v30, 24, v30
	s_delay_alu instid0(VALU_DEP_1) | instskip(NEXT) | instid1(VALU_DEP_1)
	v_and_b32_e32 v30, 0x80000000, v30
	v_lshl_add_u32 v30, v44, 23, v30
	s_delay_alu instid0(VALU_DEP_1) | instskip(NEXT) | instid1(VALU_DEP_1)
	v_lshl_or_b32 v30, v43, 21, v30
                                        ; implicit-def: $vgpr43
	v_add_nc_u32_e32 v44, 0x38000000, v30
                                        ; implicit-def: $vgpr30
.LBB2_1379:                             ;   in Loop: Header=BB2_1030 Depth=2
	s_and_not1_saveexec_b32 s14, s14
; %bb.1380:                             ;   in Loop: Header=BB2_1030 Depth=2
	v_bfe_i32 v30, v30, 0, 8
	s_delay_alu instid0(VALU_DEP_1) | instskip(SKIP_2) | instid1(VALU_DEP_2)
	v_cmp_lt_i16_e32 vcc_lo, -1, v30
	v_cndmask_b32_e32 v30, 0xff800000, v62, vcc_lo
	v_cmp_eq_u32_e32 vcc_lo, 0, v43
	v_cndmask_b32_e32 v44, 0x7f800001, v30, vcc_lo
; %bb.1381:                             ;   in Loop: Header=BB2_1030 Depth=2
	s_or_b32 exec_lo, exec_lo, s14
.LBB2_1382:                             ;   in Loop: Header=BB2_1030 Depth=2
	s_delay_alu instid0(SALU_CYCLE_1)
	s_or_b32 exec_lo, exec_lo, s12
.LBB2_1383:                             ;   in Loop: Header=BB2_1030 Depth=2
	s_delay_alu instid0(SALU_CYCLE_1) | instskip(SKIP_3) | instid1(VALU_DEP_1)
	s_or_b32 exec_lo, exec_lo, s13
	v_and_b32_e32 v42, 0xff, v42
	s_mov_b32 s12, 0
	s_mov_b32 s13, exec_lo
	v_cmpx_lt_i16_e32 0x7f, v42
	s_xor_b32 s13, exec_lo, s13
	s_cbranch_execz .LBB2_1899
; %bb.1384:                             ;   in Loop: Header=BB2_1030 Depth=2
	s_mov_b32 s12, -1
	s_mov_b32 s14, exec_lo
	v_cmpx_eq_u16_e32 0x80, v42
; %bb.1385:                             ;   in Loop: Header=BB2_1030 Depth=2
	s_xor_b32 s12, exec_lo, -1
; %bb.1386:                             ;   in Loop: Header=BB2_1030 Depth=2
	s_or_b32 exec_lo, exec_lo, s14
	s_delay_alu instid0(SALU_CYCLE_1)
	s_and_b32 s12, s12, exec_lo
                                        ; implicit-def: $vgpr42
	s_or_saveexec_b32 s13, s13
	v_bfrev_b32_e32 v30, 1
	s_xor_b32 exec_lo, exec_lo, s13
	s_cbranch_execnz .LBB2_1900
.LBB2_1387:                             ;   in Loop: Header=BB2_1030 Depth=2
	s_or_b32 exec_lo, exec_lo, s13
	s_and_saveexec_b32 s13, s12
.LBB2_1388:                             ;   in Loop: Header=BB2_1030 Depth=2
	v_dual_cndmask_b32 v30, v100, v103, s11 :: v_dual_cndmask_b32 v38, v38, v113, s11
	s_delay_alu instid0(VALU_DEP_1) | instskip(NEXT) | instid1(VALU_DEP_1)
	v_lshl_add_u32 v30, v30, 23, v101
	v_lshl_or_b32 v30, v38, 21, v30
	s_delay_alu instid0(VALU_DEP_1)
	v_cndmask_b32_e64 v30, v30, v102, s10
.LBB2_1389:                             ;   in Loop: Header=BB2_1030 Depth=2
	s_or_b32 exec_lo, exec_lo, s13
	s_delay_alu instid0(VALU_DEP_1) | instskip(NEXT) | instid1(VALU_DEP_1)
	v_dual_max_num_f32 v30, v30, v30 :: v_dual_max_num_f32 v38, v44, v44
	v_min_num_f32_e32 v44, v38, v30
.LBB2_1390:                             ;   in Loop: Header=BB2_1030 Depth=2
	s_delay_alu instid0(VALU_DEP_1) | instskip(SKIP_3) | instid1(VALU_DEP_2)
	v_and_b32_e32 v100, 0x7f800000, v44
	v_dual_mov_b32 v101, v39 :: v_dual_lshrrev_b32 v30, 24, v44
	v_and_b32_e32 v38, 0x7fffff, v44
                                        ; implicit-def: $vgpr102
	s_mov_b32 s10, exec_lo
	v_cmpx_ne_u64_e32 0x7f800000, v[100:101]
	s_xor_b32 s11, exec_lo, s10
	s_cbranch_execz .LBB2_1404
; %bb.1391:                             ;   in Loop: Header=BB2_1030 Depth=2
	v_and_b32_e32 v100, 0x7fffffff, v44
	v_mov_b32_e32 v101, v39
	v_and_b32_e32 v30, 0x80, v30
                                        ; implicit-def: $vgpr102
	s_mov_b32 s10, exec_lo
	s_delay_alu instid0(VALU_DEP_2)
	v_cmpx_gt_u64_e32 0x47600001, v[100:101]
	s_xor_b32 s12, exec_lo, s10
	s_cbranch_execz .LBB2_1401
; %bb.1392:                             ;   in Loop: Header=BB2_1030 Depth=2
	v_mov_b32_e32 v102, 0
	s_mov_b32 s13, exec_lo
	v_cmpx_ne_u32_e32 0, v44
	s_cbranch_execz .LBB2_1400
; %bb.1393:                             ;   in Loop: Header=BB2_1030 Depth=2
	v_bfe_u32 v113, v44, 23, 8
	v_or_b32_e32 v102, 0x800000, v38
	s_delay_alu instid0(VALU_DEP_2) | instskip(SKIP_1) | instid1(VALU_DEP_2)
	v_sub_nc_u32_e32 v100, 0x71, v113
	v_cmp_gt_u32_e32 vcc_lo, 0x72, v113
	v_cndmask_b32_e32 v100, 0, v100, vcc_lo
	v_cmp_eq_u32_e32 vcc_lo, 0, v113
	s_delay_alu instid0(VALU_DEP_2) | instskip(SKIP_1) | instid1(VALU_DEP_2)
	v_cndmask_b32_e64 v42, v100, 0x70, vcc_lo
	v_cndmask_b32_e32 v38, v102, v38, vcc_lo
	v_dual_add_nc_u32 v100, 21, v42 :: v_dual_add_nc_u32 v103, 20, v42
	s_delay_alu instid0(VALU_DEP_1) | instskip(NEXT) | instid1(VALU_DEP_2)
	v_lshlrev_b64_e64 v[100:101], v100, -1
	v_lshlrev_b64_e64 v[102:103], v103, 1
	s_delay_alu instid0(VALU_DEP_2) | instskip(NEXT) | instid1(VALU_DEP_3)
	v_bfi_b32 v45, v101, 0, 0
	v_bfi_b32 v44, v100, 0, v38
	v_lshrrev_b64 v[100:101], v42, v[38:39]
	s_delay_alu instid0(VALU_DEP_2) | instskip(NEXT) | instid1(VALU_DEP_2)
	v_cmp_eq_u64_e64 s10, v[44:45], v[102:103]
	v_mov_b64_e32 v[102:103], v[100:101]
	s_and_saveexec_b32 s14, s10
; %bb.1394:                             ;   in Loop: Header=BB2_1030 Depth=2
	v_bfe_u32 v38, v100, 21, 1
	s_delay_alu instid0(VALU_DEP_1) | instskip(NEXT) | instid1(VALU_DEP_1)
	v_add_nc_u64_e32 v[102:103], v[100:101], v[38:39]
	v_add_nc_u64_e32 v[102:103], -1, v[102:103]
; %bb.1395:                             ;   in Loop: Header=BB2_1030 Depth=2
	s_or_b32 exec_lo, exec_lo, s14
	v_add_nc_u32_e32 v38, 0xffffff81, v113
	v_lshrrev_b32_e32 v101, 23, v100
	s_mov_b32 s10, exec_lo
	s_delay_alu instid0(VALU_DEP_2) | instskip(NEXT) | instid1(VALU_DEP_1)
	v_cndmask_b32_e64 v38, v38, 0xffffff82, vcc_lo
	v_add3_u32 v103, v42, v38, v101
	v_and_b32_e32 v38, 0x1fffff, v102
                                        ; implicit-def: $vgpr102
	s_delay_alu instid0(VALU_DEP_1) | instskip(NEXT) | instid1(VALU_DEP_1)
	v_dual_add_nc_u32 v113, 14, v103 :: v_dual_add_nc_u32 v38, v38, v100
                                        ; implicit-def: $vgpr100_vgpr101
	v_cmpx_ne_u32_e32 0, v113
	s_xor_b32 s10, exec_lo, s10
; %bb.1396:                             ;   in Loop: Header=BB2_1030 Depth=2
	s_delay_alu instid0(VALU_DEP_2) | instskip(SKIP_1) | instid1(VALU_DEP_1)
	v_cmp_lt_u64_e32 vcc_lo, 0xffffff, v[38:39]
	v_add_nc_u32_e32 v100, 15, v103
	v_cndmask_b32_e32 v102, v113, v100, vcc_lo
	v_cndmask_b32_e64 v100, 0, 1, vcc_lo
	s_delay_alu instid0(VALU_DEP_1)
	v_lshrrev_b64 v[100:101], v100, v[38:39]
; %bb.1397:                             ;   in Loop: Header=BB2_1030 Depth=2
	s_and_not1_saveexec_b32 s10, s10
; %bb.1398:                             ;   in Loop: Header=BB2_1030 Depth=2
	v_mov_b64_e32 v[100:101], v[38:39]
	v_bfe_u32 v102, v38, 23, 1
; %bb.1399:                             ;   in Loop: Header=BB2_1030 Depth=2
	s_or_b32 exec_lo, exec_lo, s10
	s_delay_alu instid0(VALU_DEP_2) | instskip(NEXT) | instid1(VALU_DEP_2)
	v_lshrrev_b64 v[100:101], 21, v[100:101]
	v_cmp_gt_i32_e32 vcc_lo, 32, v102
	v_min_i32_e32 v38, 31, v102
	v_cmp_eq_u32_e64 s10, 0, v102
	s_delay_alu instid0(VALU_DEP_2) | instskip(SKIP_1) | instid1(VALU_DEP_2)
	v_dual_cndmask_b32 v101, 0, v101 :: v_dual_lshlrev_b32 v38, 2, v38
	v_cndmask_b32_e32 v100, 3, v100, vcc_lo
	v_and_b32_e32 v38, 0xfc, v38
	s_delay_alu instid0(VALU_DEP_2) | instskip(NEXT) | instid1(VALU_DEP_2)
	v_cmp_eq_u64_e32 vcc_lo, 0, v[100:101]
	v_and_or_b32 v38, v100, 3, v38
	s_and_b32 s10, s10, vcc_lo
	s_delay_alu instid0(VALU_DEP_1) | instid1(SALU_CYCLE_1)
	v_cndmask_b32_e64 v38, v38, 0, s10
	s_delay_alu instid0(VALU_DEP_1)
	v_or_b32_e32 v102, v38, v30
.LBB2_1400:                             ;   in Loop: Header=BB2_1030 Depth=2
	s_or_b32 exec_lo, exec_lo, s13
                                        ; implicit-def: $vgpr30
.LBB2_1401:                             ;   in Loop: Header=BB2_1030 Depth=2
	s_and_not1_saveexec_b32 s10, s12
; %bb.1402:                             ;   in Loop: Header=BB2_1030 Depth=2
	v_or_b32_e32 v102, 0x7b, v30
; %bb.1403:                             ;   in Loop: Header=BB2_1030 Depth=2
	s_or_b32 exec_lo, exec_lo, s10
                                        ; implicit-def: $vgpr44
                                        ; implicit-def: $vgpr30
.LBB2_1404:                             ;   in Loop: Header=BB2_1030 Depth=2
	s_and_not1_saveexec_b32 s10, s11
	s_cbranch_execz .LBB2_1410
; %bb.1405:                             ;   in Loop: Header=BB2_1030 Depth=2
	s_mov_b32 s11, exec_lo
                                        ; implicit-def: $vgpr102
	v_cmpx_ne_u64_e32 0, v[38:39]
	s_xor_b32 s11, exec_lo, s11
; %bb.1406:                             ;   in Loop: Header=BB2_1030 Depth=2
	v_or_b32_e32 v102, 0x7f, v30
                                        ; implicit-def: $vgpr44
; %bb.1407:                             ;   in Loop: Header=BB2_1030 Depth=2
	s_and_not1_saveexec_b32 s11, s11
; %bb.1408:                             ;   in Loop: Header=BB2_1030 Depth=2
	v_cmp_lt_i32_e32 vcc_lo, -1, v44
	v_cndmask_b32_e32 v102, 0xfc, v63, vcc_lo
; %bb.1409:                             ;   in Loop: Header=BB2_1030 Depth=2
	s_or_b32 exec_lo, exec_lo, s11
.LBB2_1410:                             ;   in Loop: Header=BB2_1030 Depth=2
	s_delay_alu instid0(SALU_CYCLE_1)
	s_or_b32 exec_lo, exec_lo, s10
	v_bfe_u32 v38, v15, 24, 2
	v_lshrrev_b32_e32 v42, 24, v15
	v_cmp_lt_i64_e32 vcc_lo, -1, v[14:15]
	v_cmp_gt_u64_e64 s10, s[16:17], v[14:15]
	v_and_b32_e32 v113, 0x7c000000, v15
	v_clz_i32_u32_e32 v100, v38
	v_cmp_lt_u64_e64 s14, s[18:19], v[10:11]
	v_and_or_b32 v101, v15, s28, 0x38000000
	v_cmp_eq_u32_e64 s11, 0x80, v42
	v_cmp_eq_u32_e64 s12, 0x7c000000, v113
	v_min_u32_e32 v103, 32, v100
	v_bfe_u32 v100, v15, 26, 5
	v_cndmask_b32_e32 v14, 0xff800000, v62, vcc_lo
	v_cmp_eq_u32_e32 vcc_lo, 0, v38
	s_mov_b32 s45, -1
	v_subrev_nc_u32_e32 v43, 29, v103
	v_cmp_eq_u32_e64 s13, 0, v100
	v_dual_cndmask_b32 v14, 0x7f800001, v14 :: v_dual_sub_nc_u32 v15, 30, v103
	s_and_b32 vcc_lo, exec_lo, s44
	v_lshlrev_b64_e32 v[44:45], v43, v[42:43]
	v_lshrrev_b32_e32 v30, 24, v11
                                        ; implicit-def: $vgpr113
	s_delay_alu instid0(VALU_DEP_2)
	v_and_b32_e32 v103, 3, v44
	s_cbranch_vccz .LBB2_1422
; %bb.1411:                             ;   in Loop: Header=BB2_1030 Depth=2
	v_mov_b32_e32 v113, 0
	s_and_saveexec_b32 s45, s14
	s_cbranch_execz .LBB2_1421
; %bb.1412:                             ;   in Loop: Header=BB2_1030 Depth=2
	v_bfrev_b32_e32 v113, 1
	s_mov_b32 s46, exec_lo
	v_cmpx_ne_u32_e32 0x80, v30
	s_cbranch_execz .LBB2_1420
; %bb.1413:                             ;   in Loop: Header=BB2_1030 Depth=2
	v_and_b32_e32 v113, 0x7c000000, v11
	v_bfe_u32 v42, v11, 24, 2
	s_delay_alu instid0(VALU_DEP_2) | instskip(SKIP_1) | instid1(SALU_CYCLE_1)
	v_cmp_ne_u32_e32 vcc_lo, 0x7c000000, v113
                                        ; implicit-def: $vgpr113
	s_and_saveexec_b32 s47, vcc_lo
	s_xor_b32 s47, exec_lo, s47
	s_cbranch_execz .LBB2_1417
; %bb.1414:                             ;   in Loop: Header=BB2_1030 Depth=2
	v_bfe_u32 v113, v11, 26, 5
	s_mov_b32 s56, exec_lo
	s_delay_alu instid0(VALU_DEP_1)
	v_cmpx_eq_u32_e32 0, v113
; %bb.1415:                             ;   in Loop: Header=BB2_1030 Depth=2
	v_clz_i32_u32_e32 v113, v42
	s_delay_alu instid0(VALU_DEP_1) | instskip(NEXT) | instid1(VALU_DEP_1)
	v_min_u32_e32 v113, 32, v113
	v_subrev_nc_u32_e32 v42, 29, v113
	s_delay_alu instid0(VALU_DEP_1) | instskip(NEXT) | instid1(VALU_DEP_1)
	v_lshlrev_b64_e32 v[42:43], v42, v[30:31]
	v_dual_sub_nc_u32 v113, 30, v113 :: v_dual_bitop2_b32 v42, 3, v42 bitop3:0x40
; %bb.1416:                             ;   in Loop: Header=BB2_1030 Depth=2
	s_or_b32 exec_lo, exec_lo, s56
	v_and_b32_e32 v43, 0x80000000, v11
	s_delay_alu instid0(VALU_DEP_1) | instskip(NEXT) | instid1(VALU_DEP_1)
	v_lshl_add_u32 v113, v113, 23, v43
	v_lshl_or_b32 v113, v42, 21, v113
                                        ; implicit-def: $vgpr42
	s_delay_alu instid0(VALU_DEP_1)
	v_add_nc_u32_e32 v113, 0x38000000, v113
.LBB2_1417:                             ;   in Loop: Header=BB2_1030 Depth=2
	s_and_not1_saveexec_b32 s47, s47
; %bb.1418:                             ;   in Loop: Header=BB2_1030 Depth=2
	v_cmp_lt_i64_e32 vcc_lo, -1, v[10:11]
	v_cndmask_b32_e32 v113, 0xff800000, v62, vcc_lo
	v_cmp_eq_u32_e32 vcc_lo, 0, v42
	s_delay_alu instid0(VALU_DEP_2)
	v_cndmask_b32_e32 v113, 0x7f800001, v113, vcc_lo
; %bb.1419:                             ;   in Loop: Header=BB2_1030 Depth=2
	s_or_b32 exec_lo, exec_lo, s47
.LBB2_1420:                             ;   in Loop: Header=BB2_1030 Depth=2
	s_delay_alu instid0(SALU_CYCLE_1)
	s_or_b32 exec_lo, exec_lo, s46
.LBB2_1421:                             ;   in Loop: Header=BB2_1030 Depth=2
	s_delay_alu instid0(SALU_CYCLE_1) | instskip(NEXT) | instid1(VALU_DEP_1)
	s_or_b32 exec_lo, exec_lo, s45
	v_dual_cndmask_b32 v42, v100, v15, s13 :: v_dual_max_num_f32 v113, v113, v113
	v_cndmask_b32_e64 v43, v38, v103, s13
	s_mov_b32 s45, 0
	s_delay_alu instid0(VALU_DEP_2) | instskip(NEXT) | instid1(VALU_DEP_1)
	v_lshl_add_u32 v42, v42, 23, v101
	v_lshl_or_b32 v42, v43, 21, v42
	s_delay_alu instid0(VALU_DEP_1) | instskip(NEXT) | instid1(VALU_DEP_1)
	v_cndmask_b32_e64 v42, v42, v14, s12
	v_cndmask_b32_e64 v42, v42, 0x80000000, s11
	s_delay_alu instid0(VALU_DEP_1) | instskip(NEXT) | instid1(VALU_DEP_1)
	v_cndmask_b32_e64 v42, v42, 0, s10
	v_max_num_f32_e32 v42, v42, v42
	s_delay_alu instid0(VALU_DEP_1)
	v_max_num_f32_e32 v113, v113, v42
.LBB2_1422:                             ;   in Loop: Header=BB2_1030 Depth=2
	s_and_b32 vcc_lo, exec_lo, s45
	s_cbranch_vccz .LBB2_1434
; %bb.1423:                             ;   in Loop: Header=BB2_1030 Depth=2
	v_mov_b32_e32 v113, 0
	s_and_saveexec_b32 s45, s14
	s_cbranch_execz .LBB2_1433
; %bb.1424:                             ;   in Loop: Header=BB2_1030 Depth=2
	v_bfrev_b32_e32 v113, 1
	s_mov_b32 s14, exec_lo
	v_cmpx_ne_u32_e32 0x80, v30
	s_cbranch_execz .LBB2_1432
; %bb.1425:                             ;   in Loop: Header=BB2_1030 Depth=2
	v_and_b32_e32 v113, 0x7c000000, v11
	v_bfe_u32 v42, v11, 24, 2
	s_delay_alu instid0(VALU_DEP_2) | instskip(SKIP_1) | instid1(SALU_CYCLE_1)
	v_cmp_ne_u32_e32 vcc_lo, 0x7c000000, v113
                                        ; implicit-def: $vgpr113
	s_and_saveexec_b32 s46, vcc_lo
	s_xor_b32 s46, exec_lo, s46
	s_cbranch_execz .LBB2_1429
; %bb.1426:                             ;   in Loop: Header=BB2_1030 Depth=2
	v_bfe_u32 v113, v11, 26, 5
	s_mov_b32 s47, exec_lo
	s_delay_alu instid0(VALU_DEP_1)
	v_cmpx_eq_u32_e32 0, v113
; %bb.1427:                             ;   in Loop: Header=BB2_1030 Depth=2
	v_clz_i32_u32_e32 v113, v42
	s_delay_alu instid0(VALU_DEP_1) | instskip(NEXT) | instid1(VALU_DEP_1)
	v_min_u32_e32 v113, 32, v113
	v_subrev_nc_u32_e32 v42, 29, v113
	s_delay_alu instid0(VALU_DEP_1) | instskip(NEXT) | instid1(VALU_DEP_1)
	v_lshlrev_b64_e32 v[42:43], v42, v[30:31]
	v_dual_sub_nc_u32 v113, 30, v113 :: v_dual_bitop2_b32 v42, 3, v42 bitop3:0x40
; %bb.1428:                             ;   in Loop: Header=BB2_1030 Depth=2
	s_or_b32 exec_lo, exec_lo, s47
	v_and_b32_e32 v30, 0x80000000, v11
	s_delay_alu instid0(VALU_DEP_1) | instskip(NEXT) | instid1(VALU_DEP_1)
	v_lshl_add_u32 v30, v113, 23, v30
	v_lshl_or_b32 v30, v42, 21, v30
                                        ; implicit-def: $vgpr42
	s_delay_alu instid0(VALU_DEP_1)
	v_add_nc_u32_e32 v113, 0x38000000, v30
.LBB2_1429:                             ;   in Loop: Header=BB2_1030 Depth=2
	s_and_not1_saveexec_b32 s46, s46
; %bb.1430:                             ;   in Loop: Header=BB2_1030 Depth=2
	v_cmp_lt_i64_e32 vcc_lo, -1, v[10:11]
	v_cndmask_b32_e32 v10, 0xff800000, v62, vcc_lo
	v_cmp_eq_u32_e32 vcc_lo, 0, v42
	s_delay_alu instid0(VALU_DEP_2)
	v_cndmask_b32_e32 v113, 0x7f800001, v10, vcc_lo
; %bb.1431:                             ;   in Loop: Header=BB2_1030 Depth=2
	s_or_b32 exec_lo, exec_lo, s46
.LBB2_1432:                             ;   in Loop: Header=BB2_1030 Depth=2
	s_delay_alu instid0(SALU_CYCLE_1)
	s_or_b32 exec_lo, exec_lo, s14
.LBB2_1433:                             ;   in Loop: Header=BB2_1030 Depth=2
	s_delay_alu instid0(SALU_CYCLE_1) | instskip(SKIP_2) | instid1(VALU_DEP_2)
	s_or_b32 exec_lo, exec_lo, s45
	v_cndmask_b32_e64 v10, v100, v15, s13
	v_cndmask_b32_e64 v11, v38, v103, s13
	v_lshl_add_u32 v10, v10, 23, v101
	s_delay_alu instid0(VALU_DEP_1) | instskip(NEXT) | instid1(VALU_DEP_1)
	v_lshl_or_b32 v10, v11, 21, v10
	v_dual_max_num_f32 v11, v113, v113 :: v_dual_cndmask_b32 v10, v10, v14, s12
	s_delay_alu instid0(VALU_DEP_1) | instskip(NEXT) | instid1(VALU_DEP_1)
	v_cndmask_b32_e64 v10, v10, 0x80000000, s11
	v_cndmask_b32_e64 v10, v10, 0, s10
	s_delay_alu instid0(VALU_DEP_1) | instskip(NEXT) | instid1(VALU_DEP_1)
	v_max_num_f32_e32 v10, v10, v10
	v_min_num_f32_e32 v113, v11, v10
.LBB2_1434:                             ;   in Loop: Header=BB2_1030 Depth=2
	s_delay_alu instid0(VALU_DEP_1) | instskip(SKIP_2) | instid1(VALU_DEP_2)
	v_and_b32_e32 v10, 0x7f800000, v113
	v_mov_b32_e32 v11, v39
	v_and_b32_e32 v38, 0x7fffff, v113
                                        ; implicit-def: $vgpr30
	v_cmp_ne_u64_e32 vcc_lo, 0x7f800000, v[10:11]
	v_lshrrev_b32_e32 v10, 24, v113
	s_and_saveexec_b32 s10, vcc_lo
	s_delay_alu instid0(SALU_CYCLE_1)
	s_xor_b32 s11, exec_lo, s10
	s_cbranch_execz .LBB2_1448
; %bb.1435:                             ;   in Loop: Header=BB2_1030 Depth=2
	v_and_b32_e32 v14, 0x7fffffff, v113
	v_mov_b32_e32 v15, v39
	v_and_b32_e32 v100, 0x80, v10
                                        ; implicit-def: $vgpr30
	s_mov_b32 s10, exec_lo
	s_delay_alu instid0(VALU_DEP_2)
	v_cmpx_gt_u64_e32 0x47600001, v[14:15]
	s_xor_b32 s12, exec_lo, s10
	s_cbranch_execz .LBB2_1445
; %bb.1436:                             ;   in Loop: Header=BB2_1030 Depth=2
	v_mov_b32_e32 v30, 0
	s_mov_b32 s13, exec_lo
	v_cmpx_ne_u32_e32 0, v113
	s_cbranch_execz .LBB2_1444
; %bb.1437:                             ;   in Loop: Header=BB2_1030 Depth=2
	v_bfe_u32 v30, v113, 23, 8
	v_or_b32_e32 v14, 0x800000, v38
	s_delay_alu instid0(VALU_DEP_2) | instskip(SKIP_1) | instid1(VALU_DEP_2)
	v_sub_nc_u32_e32 v10, 0x71, v30
	v_cmp_gt_u32_e32 vcc_lo, 0x72, v30
	v_cndmask_b32_e32 v10, 0, v10, vcc_lo
	v_cmp_eq_u32_e32 vcc_lo, 0, v30
	s_delay_alu instid0(VALU_DEP_2) | instskip(NEXT) | instid1(VALU_DEP_1)
	v_cndmask_b32_e64 v101, v10, 0x70, vcc_lo
	v_dual_cndmask_b32 v38, v14, v38, vcc_lo :: v_dual_add_nc_u32 v10, 21, v101
	v_add_nc_u32_e32 v15, 20, v101
	s_delay_alu instid0(VALU_DEP_2) | instskip(NEXT) | instid1(VALU_DEP_2)
	v_lshlrev_b64_e64 v[10:11], v10, -1
	v_lshlrev_b64_e64 v[14:15], v15, 1
	s_delay_alu instid0(VALU_DEP_2) | instskip(NEXT) | instid1(VALU_DEP_3)
	v_bfi_b32 v43, v11, 0, 0
	v_bfi_b32 v42, v10, 0, v38
	v_lshrrev_b64 v[10:11], v101, v[38:39]
	s_delay_alu instid0(VALU_DEP_2) | instskip(NEXT) | instid1(VALU_DEP_2)
	v_cmp_eq_u64_e64 s10, v[42:43], v[14:15]
	v_mov_b64_e32 v[14:15], v[10:11]
	s_and_saveexec_b32 s14, s10
; %bb.1438:                             ;   in Loop: Header=BB2_1030 Depth=2
	v_bfe_u32 v38, v10, 21, 1
	s_delay_alu instid0(VALU_DEP_1) | instskip(NEXT) | instid1(VALU_DEP_1)
	v_add_nc_u64_e32 v[14:15], v[10:11], v[38:39]
	v_add_nc_u64_e32 v[14:15], -1, v[14:15]
; %bb.1439:                             ;   in Loop: Header=BB2_1030 Depth=2
	s_or_b32 exec_lo, exec_lo, s14
	v_add_nc_u32_e32 v11, 0xffffff81, v30
	v_lshrrev_b32_e32 v15, 23, v10
	s_mov_b32 s10, exec_lo
	s_delay_alu instid0(VALU_DEP_2) | instskip(NEXT) | instid1(VALU_DEP_1)
	v_cndmask_b32_e64 v11, v11, 0xffffff82, vcc_lo
	v_add3_u32 v15, v101, v11, v15
	v_and_b32_e32 v11, 0x1fffff, v14
                                        ; implicit-def: $vgpr14
	s_delay_alu instid0(VALU_DEP_1) | instskip(NEXT) | instid1(VALU_DEP_1)
	v_dual_add_nc_u32 v30, 14, v15 :: v_dual_add_nc_u32 v38, v11, v10
                                        ; implicit-def: $vgpr10_vgpr11
	v_cmpx_ne_u32_e32 0, v30
	s_xor_b32 s10, exec_lo, s10
; %bb.1440:                             ;   in Loop: Header=BB2_1030 Depth=2
	s_delay_alu instid0(VALU_DEP_2) | instskip(SKIP_1) | instid1(VALU_DEP_1)
	v_cmp_lt_u64_e32 vcc_lo, 0xffffff, v[38:39]
	v_add_nc_u32_e32 v10, 15, v15
	v_cndmask_b32_e32 v14, v30, v10, vcc_lo
	v_cndmask_b32_e64 v10, 0, 1, vcc_lo
	s_delay_alu instid0(VALU_DEP_1)
	v_lshrrev_b64 v[10:11], v10, v[38:39]
; %bb.1441:                             ;   in Loop: Header=BB2_1030 Depth=2
	s_and_not1_saveexec_b32 s10, s10
; %bb.1442:                             ;   in Loop: Header=BB2_1030 Depth=2
	v_mov_b64_e32 v[10:11], v[38:39]
	v_bfe_u32 v14, v38, 23, 1
; %bb.1443:                             ;   in Loop: Header=BB2_1030 Depth=2
	s_or_b32 exec_lo, exec_lo, s10
	s_delay_alu instid0(VALU_DEP_2) | instskip(NEXT) | instid1(VALU_DEP_2)
	v_lshrrev_b64 v[10:11], 21, v[10:11]
	v_cmp_gt_i32_e32 vcc_lo, 32, v14
	v_min_i32_e32 v15, 31, v14
	v_cmp_eq_u32_e64 s10, 0, v14
	s_delay_alu instid0(VALU_DEP_4) | instskip(NEXT) | instid1(VALU_DEP_3)
	v_cndmask_b32_e32 v11, 0, v11, vcc_lo
	v_dual_cndmask_b32 v10, 3, v10 :: v_dual_lshlrev_b32 v15, 2, v15
	s_delay_alu instid0(VALU_DEP_1) | instskip(NEXT) | instid1(VALU_DEP_2)
	v_and_b32_e32 v15, 0xfc, v15
	v_cmp_eq_u64_e32 vcc_lo, 0, v[10:11]
	s_delay_alu instid0(VALU_DEP_2)
	v_and_or_b32 v10, v10, 3, v15
	s_and_b32 s10, s10, vcc_lo
	s_delay_alu instid0(VALU_DEP_1) | instid1(SALU_CYCLE_1)
	v_cndmask_b32_e64 v10, v10, 0, s10
	s_delay_alu instid0(VALU_DEP_1)
	v_or_b32_e32 v30, v10, v100
.LBB2_1444:                             ;   in Loop: Header=BB2_1030 Depth=2
	s_or_b32 exec_lo, exec_lo, s13
                                        ; implicit-def: $vgpr100
.LBB2_1445:                             ;   in Loop: Header=BB2_1030 Depth=2
	s_and_not1_saveexec_b32 s10, s12
; %bb.1446:                             ;   in Loop: Header=BB2_1030 Depth=2
	v_or_b32_e32 v30, 0x7b, v100
; %bb.1447:                             ;   in Loop: Header=BB2_1030 Depth=2
	s_or_b32 exec_lo, exec_lo, s10
                                        ; implicit-def: $vgpr113
                                        ; implicit-def: $vgpr10
.LBB2_1448:                             ;   in Loop: Header=BB2_1030 Depth=2
	s_and_not1_saveexec_b32 s10, s11
	s_cbranch_execz .LBB2_1454
; %bb.1449:                             ;   in Loop: Header=BB2_1030 Depth=2
	s_mov_b32 s11, exec_lo
                                        ; implicit-def: $vgpr30
	v_cmpx_ne_u64_e32 0, v[38:39]
	s_xor_b32 s11, exec_lo, s11
; %bb.1450:                             ;   in Loop: Header=BB2_1030 Depth=2
	v_or_b32_e32 v30, 0x7f, v10
                                        ; implicit-def: $vgpr113
; %bb.1451:                             ;   in Loop: Header=BB2_1030 Depth=2
	s_and_not1_saveexec_b32 s11, s11
; %bb.1452:                             ;   in Loop: Header=BB2_1030 Depth=2
	v_cmp_lt_i32_e32 vcc_lo, -1, v113
	v_cndmask_b32_e32 v30, 0xfc, v63, vcc_lo
; %bb.1453:                             ;   in Loop: Header=BB2_1030 Depth=2
	s_or_b32 exec_lo, exec_lo, s11
.LBB2_1454:                             ;   in Loop: Header=BB2_1030 Depth=2
	s_delay_alu instid0(SALU_CYCLE_1) | instskip(SKIP_4) | instid1(VALU_DEP_4)
	s_or_b32 exec_lo, exec_lo, s10
	v_dual_lshlrev_b32 v15, 24, v16 :: v_dual_bitop2_b32 v10, 3, v16 bitop3:0x40
	v_bfe_i32 v101, v16, 0, 8
	v_and_b32_e32 v14, 0x7c, v16
	v_and_b32_e32 v100, 0xff, v12
	v_clz_i32_u32_e32 v11, v10
	v_bfe_i32 v103, v12, 0, 8
	v_cmp_lt_i16_e32 vcc_lo, -1, v101
	v_cmp_eq_u32_e64 s10, 0x7c, v14
	v_and_or_b32 v14, v15, s28, 0x38000000
	v_min_u32_e32 v38, 32, v11
	v_bfe_u32 v11, v16, 2, 5
	v_cndmask_b32_e32 v44, 0xff800000, v62, vcc_lo
	v_cmp_eq_u32_e32 vcc_lo, 0, v10
	v_cmp_ne_u16_e64 s12, 0, v100
	v_subrev_nc_u32_e32 v113, 29, v38
	v_cmp_eq_u32_e64 s11, 0, v11
	v_dual_cndmask_b32 v15, 0x7f800001, v44 :: v_dual_sub_nc_u32 v38, 30, v38
	s_and_b32 vcc_lo, exec_lo, s44
	v_lshlrev_b64_e32 v[42:43], v113, v[16:17]
	s_mov_b32 s13, -1
                                        ; implicit-def: $vgpr113
	s_delay_alu instid0(VALU_DEP_1)
	v_and_b32_e32 v100, 3, v42
	s_cbranch_vccz .LBB2_1472
; %bb.1455:                             ;   in Loop: Header=BB2_1030 Depth=2
	v_mov_b32_e32 v113, 0
	s_and_saveexec_b32 s13, s12
	s_cbranch_execz .LBB2_1465
; %bb.1456:                             ;   in Loop: Header=BB2_1030 Depth=2
	v_bfrev_b32_e32 v113, 1
	s_mov_b32 s14, exec_lo
	v_cmpx_ne_u16_e32 0xff80, v103
	s_cbranch_execz .LBB2_1464
; %bb.1457:                             ;   in Loop: Header=BB2_1030 Depth=2
	v_and_b32_e32 v113, 0x7c, v12
	v_and_b32_e32 v42, 3, v12
	s_delay_alu instid0(VALU_DEP_2) | instskip(SKIP_1) | instid1(SALU_CYCLE_1)
	v_cmp_ne_u32_e32 vcc_lo, 0x7c, v113
                                        ; implicit-def: $vgpr113
	s_and_saveexec_b32 s45, vcc_lo
	s_xor_b32 s45, exec_lo, s45
	s_cbranch_execz .LBB2_1461
; %bb.1458:                             ;   in Loop: Header=BB2_1030 Depth=2
	v_bfe_u32 v113, v12, 2, 5
	s_mov_b32 s46, exec_lo
	s_delay_alu instid0(VALU_DEP_1)
	v_cmpx_eq_u32_e32 0, v113
; %bb.1459:                             ;   in Loop: Header=BB2_1030 Depth=2
	v_clz_i32_u32_e32 v113, v42
	s_delay_alu instid0(VALU_DEP_1) | instskip(NEXT) | instid1(VALU_DEP_1)
	v_min_u32_e32 v113, 32, v113
	v_subrev_nc_u32_e32 v42, 29, v113
	s_delay_alu instid0(VALU_DEP_1) | instskip(NEXT) | instid1(VALU_DEP_1)
	v_lshlrev_b64_e32 v[42:43], v42, v[12:13]
	v_dual_sub_nc_u32 v113, 30, v113 :: v_dual_bitop2_b32 v42, 3, v42 bitop3:0x40
; %bb.1460:                             ;   in Loop: Header=BB2_1030 Depth=2
	s_or_b32 exec_lo, exec_lo, s46
	v_lshlrev_b32_e32 v43, 24, v12
	s_delay_alu instid0(VALU_DEP_1) | instskip(NEXT) | instid1(VALU_DEP_1)
	v_and_b32_e32 v43, 0x80000000, v43
	v_lshl_add_u32 v113, v113, 23, v43
	s_delay_alu instid0(VALU_DEP_1) | instskip(NEXT) | instid1(VALU_DEP_1)
	v_lshl_or_b32 v113, v42, 21, v113
                                        ; implicit-def: $vgpr42
	v_add_nc_u32_e32 v113, 0x38000000, v113
.LBB2_1461:                             ;   in Loop: Header=BB2_1030 Depth=2
	s_and_not1_saveexec_b32 s45, s45
; %bb.1462:                             ;   in Loop: Header=BB2_1030 Depth=2
	v_cmp_lt_i16_e32 vcc_lo, -1, v103
	v_cndmask_b32_e32 v113, 0xff800000, v62, vcc_lo
	v_cmp_eq_u32_e32 vcc_lo, 0, v42
	s_delay_alu instid0(VALU_DEP_2)
	v_cndmask_b32_e32 v113, 0x7f800001, v113, vcc_lo
; %bb.1463:                             ;   in Loop: Header=BB2_1030 Depth=2
	s_or_b32 exec_lo, exec_lo, s45
.LBB2_1464:                             ;   in Loop: Header=BB2_1030 Depth=2
	s_delay_alu instid0(SALU_CYCLE_1)
	s_or_b32 exec_lo, exec_lo, s14
.LBB2_1465:                             ;   in Loop: Header=BB2_1030 Depth=2
	s_delay_alu instid0(SALU_CYCLE_1) | instskip(SKIP_3) | instid1(VALU_DEP_1)
	s_or_b32 exec_lo, exec_lo, s13
	v_and_b32_e32 v43, 0xff, v101
	s_mov_b32 s13, 0
	s_mov_b32 s14, exec_lo
	v_cmpx_lt_i16_e32 0x7f, v43
	s_xor_b32 s14, exec_lo, s14
	s_cbranch_execz .LBB2_1901
; %bb.1466:                             ;   in Loop: Header=BB2_1030 Depth=2
	s_mov_b32 s13, -1
	s_mov_b32 s45, exec_lo
	v_cmpx_eq_u16_e32 0x80, v43
; %bb.1467:                             ;   in Loop: Header=BB2_1030 Depth=2
	s_xor_b32 s13, exec_lo, -1
; %bb.1468:                             ;   in Loop: Header=BB2_1030 Depth=2
	s_or_b32 exec_lo, exec_lo, s45
	s_delay_alu instid0(SALU_CYCLE_1)
	s_and_b32 s13, s13, exec_lo
                                        ; implicit-def: $vgpr43
	s_or_saveexec_b32 s14, s14
	v_bfrev_b32_e32 v42, 1
	s_xor_b32 exec_lo, exec_lo, s14
	s_cbranch_execnz .LBB2_1902
.LBB2_1469:                             ;   in Loop: Header=BB2_1030 Depth=2
	s_or_b32 exec_lo, exec_lo, s14
	s_and_saveexec_b32 s14, s13
.LBB2_1470:                             ;   in Loop: Header=BB2_1030 Depth=2
	v_dual_cndmask_b32 v42, v11, v38, s11 :: v_dual_cndmask_b32 v43, v10, v100, s11
	s_delay_alu instid0(VALU_DEP_1) | instskip(NEXT) | instid1(VALU_DEP_1)
	v_lshl_add_u32 v42, v42, 23, v14
	v_lshl_or_b32 v42, v43, 21, v42
	s_delay_alu instid0(VALU_DEP_1)
	v_cndmask_b32_e64 v42, v42, v15, s10
.LBB2_1471:                             ;   in Loop: Header=BB2_1030 Depth=2
	s_or_b32 exec_lo, exec_lo, s14
	s_delay_alu instid0(VALU_DEP_1) | instskip(SKIP_1) | instid1(VALU_DEP_1)
	v_dual_max_num_f32 v42, v42, v42 :: v_dual_max_num_f32 v113, v113, v113
	s_mov_b32 s13, 0
	v_max_num_f32_e32 v113, v113, v42
.LBB2_1472:                             ;   in Loop: Header=BB2_1030 Depth=2
	s_and_b32 vcc_lo, exec_lo, s13
	s_cbranch_vccz .LBB2_1490
; %bb.1473:                             ;   in Loop: Header=BB2_1030 Depth=2
	v_mov_b32_e32 v113, 0
	s_and_saveexec_b32 s13, s12
	s_cbranch_execz .LBB2_1483
; %bb.1474:                             ;   in Loop: Header=BB2_1030 Depth=2
	v_bfrev_b32_e32 v113, 1
	s_mov_b32 s12, exec_lo
	v_cmpx_ne_u16_e32 0xff80, v103
	s_cbranch_execz .LBB2_1482
; %bb.1475:                             ;   in Loop: Header=BB2_1030 Depth=2
	v_and_b32_e32 v113, 0x7c, v12
	v_and_b32_e32 v42, 3, v12
	s_delay_alu instid0(VALU_DEP_2) | instskip(SKIP_1) | instid1(SALU_CYCLE_1)
	v_cmp_ne_u32_e32 vcc_lo, 0x7c, v113
                                        ; implicit-def: $vgpr113
	s_and_saveexec_b32 s14, vcc_lo
	s_xor_b32 s14, exec_lo, s14
	s_cbranch_execz .LBB2_1479
; %bb.1476:                             ;   in Loop: Header=BB2_1030 Depth=2
	v_bfe_u32 v103, v12, 2, 5
	s_mov_b32 s45, exec_lo
	s_delay_alu instid0(VALU_DEP_1)
	v_cmpx_eq_u32_e32 0, v103
; %bb.1477:                             ;   in Loop: Header=BB2_1030 Depth=2
	v_clz_i32_u32_e32 v103, v42
	s_delay_alu instid0(VALU_DEP_1) | instskip(NEXT) | instid1(VALU_DEP_1)
	v_min_u32_e32 v103, 32, v103
	v_subrev_nc_u32_e32 v113, 29, v103
	s_delay_alu instid0(VALU_DEP_1) | instskip(NEXT) | instid1(VALU_DEP_1)
	v_lshlrev_b64_e32 v[42:43], v113, v[12:13]
	v_dual_sub_nc_u32 v103, 30, v103 :: v_dual_bitop2_b32 v42, 3, v42 bitop3:0x40
; %bb.1478:                             ;   in Loop: Header=BB2_1030 Depth=2
	s_or_b32 exec_lo, exec_lo, s45
	v_lshlrev_b32_e32 v113, 24, v12
	s_delay_alu instid0(VALU_DEP_1) | instskip(NEXT) | instid1(VALU_DEP_1)
	v_and_b32_e32 v113, 0x80000000, v113
	v_lshl_add_u32 v103, v103, 23, v113
	s_delay_alu instid0(VALU_DEP_1) | instskip(NEXT) | instid1(VALU_DEP_1)
	v_lshl_or_b32 v103, v42, 21, v103
                                        ; implicit-def: $vgpr42
	v_add_nc_u32_e32 v113, 0x38000000, v103
                                        ; implicit-def: $vgpr103
.LBB2_1479:                             ;   in Loop: Header=BB2_1030 Depth=2
	s_and_not1_saveexec_b32 s14, s14
; %bb.1480:                             ;   in Loop: Header=BB2_1030 Depth=2
	v_cmp_lt_i16_e32 vcc_lo, -1, v103
	v_cndmask_b32_e32 v103, 0xff800000, v62, vcc_lo
	v_cmp_eq_u32_e32 vcc_lo, 0, v42
	s_delay_alu instid0(VALU_DEP_2)
	v_cndmask_b32_e32 v113, 0x7f800001, v103, vcc_lo
; %bb.1481:                             ;   in Loop: Header=BB2_1030 Depth=2
	s_or_b32 exec_lo, exec_lo, s14
.LBB2_1482:                             ;   in Loop: Header=BB2_1030 Depth=2
	s_delay_alu instid0(SALU_CYCLE_1)
	s_or_b32 exec_lo, exec_lo, s12
.LBB2_1483:                             ;   in Loop: Header=BB2_1030 Depth=2
	s_delay_alu instid0(SALU_CYCLE_1) | instskip(SKIP_3) | instid1(VALU_DEP_1)
	s_or_b32 exec_lo, exec_lo, s13
	v_and_b32_e32 v103, 0xff, v101
	s_mov_b32 s12, 0
	s_mov_b32 s13, exec_lo
	v_cmpx_lt_i16_e32 0x7f, v103
	s_xor_b32 s13, exec_lo, s13
	s_cbranch_execz .LBB2_1903
; %bb.1484:                             ;   in Loop: Header=BB2_1030 Depth=2
	s_mov_b32 s12, -1
	s_mov_b32 s14, exec_lo
	v_cmpx_eq_u16_e32 0x80, v103
; %bb.1485:                             ;   in Loop: Header=BB2_1030 Depth=2
	s_xor_b32 s12, exec_lo, -1
; %bb.1486:                             ;   in Loop: Header=BB2_1030 Depth=2
	s_or_b32 exec_lo, exec_lo, s14
	s_delay_alu instid0(SALU_CYCLE_1)
	s_and_b32 s12, s12, exec_lo
                                        ; implicit-def: $vgpr103
	s_or_saveexec_b32 s13, s13
	v_bfrev_b32_e32 v101, 1
	s_xor_b32 exec_lo, exec_lo, s13
	s_cbranch_execnz .LBB2_1904
.LBB2_1487:                             ;   in Loop: Header=BB2_1030 Depth=2
	s_or_b32 exec_lo, exec_lo, s13
	s_and_saveexec_b32 s13, s12
.LBB2_1488:                             ;   in Loop: Header=BB2_1030 Depth=2
	v_dual_cndmask_b32 v11, v11, v38, s11 :: v_dual_cndmask_b32 v10, v10, v100, s11
	s_delay_alu instid0(VALU_DEP_1) | instskip(NEXT) | instid1(VALU_DEP_1)
	v_lshl_add_u32 v11, v11, 23, v14
	v_lshl_or_b32 v10, v10, 21, v11
	s_delay_alu instid0(VALU_DEP_1)
	v_cndmask_b32_e64 v101, v10, v15, s10
.LBB2_1489:                             ;   in Loop: Header=BB2_1030 Depth=2
	s_or_b32 exec_lo, exec_lo, s13
	s_delay_alu instid0(VALU_DEP_1) | instskip(SKIP_1) | instid1(VALU_DEP_1)
	v_max_num_f32_e32 v10, v101, v101
	v_max_num_f32_e32 v11, v113, v113
	v_min_num_f32_e32 v113, v11, v10
.LBB2_1490:                             ;   in Loop: Header=BB2_1030 Depth=2
	s_delay_alu instid0(VALU_DEP_1) | instskip(SKIP_2) | instid1(VALU_DEP_2)
	v_and_b32_e32 v10, 0x7f800000, v113
	v_mov_b32_e32 v11, v39
	v_and_b32_e32 v38, 0x7fffff, v113
                                        ; implicit-def: $vgpr103
	v_cmp_ne_u64_e32 vcc_lo, 0x7f800000, v[10:11]
	v_lshrrev_b32_e32 v10, 24, v113
	s_and_saveexec_b32 s10, vcc_lo
	s_delay_alu instid0(SALU_CYCLE_1)
	s_xor_b32 s11, exec_lo, s10
	s_cbranch_execz .LBB2_1504
; %bb.1491:                             ;   in Loop: Header=BB2_1030 Depth=2
	v_and_b32_e32 v14, 0x7fffffff, v113
	v_mov_b32_e32 v15, v39
	v_and_b32_e32 v100, 0x80, v10
                                        ; implicit-def: $vgpr103
	s_mov_b32 s10, exec_lo
	s_delay_alu instid0(VALU_DEP_2)
	v_cmpx_gt_u64_e32 0x47600001, v[14:15]
	s_xor_b32 s12, exec_lo, s10
	s_cbranch_execz .LBB2_1501
; %bb.1492:                             ;   in Loop: Header=BB2_1030 Depth=2
	v_mov_b32_e32 v103, 0
	s_mov_b32 s13, exec_lo
	v_cmpx_ne_u32_e32 0, v113
	s_cbranch_execz .LBB2_1500
; %bb.1493:                             ;   in Loop: Header=BB2_1030 Depth=2
	v_bfe_u32 v101, v113, 23, 8
	v_or_b32_e32 v14, 0x800000, v38
	s_delay_alu instid0(VALU_DEP_2) | instskip(SKIP_1) | instid1(VALU_DEP_2)
	v_sub_nc_u32_e32 v10, 0x71, v101
	v_cmp_gt_u32_e32 vcc_lo, 0x72, v101
	v_cndmask_b32_e32 v10, 0, v10, vcc_lo
	v_cmp_eq_u32_e32 vcc_lo, 0, v101
	s_delay_alu instid0(VALU_DEP_2) | instskip(NEXT) | instid1(VALU_DEP_1)
	v_cndmask_b32_e64 v103, v10, 0x70, vcc_lo
	v_dual_cndmask_b32 v38, v14, v38, vcc_lo :: v_dual_add_nc_u32 v10, 21, v103
	v_add_nc_u32_e32 v15, 20, v103
	s_delay_alu instid0(VALU_DEP_2) | instskip(NEXT) | instid1(VALU_DEP_2)
	v_lshlrev_b64_e64 v[10:11], v10, -1
	v_lshlrev_b64_e64 v[14:15], v15, 1
	s_delay_alu instid0(VALU_DEP_2) | instskip(NEXT) | instid1(VALU_DEP_3)
	v_bfi_b32 v43, v11, 0, 0
	v_bfi_b32 v42, v10, 0, v38
	v_lshrrev_b64 v[10:11], v103, v[38:39]
	s_delay_alu instid0(VALU_DEP_2) | instskip(NEXT) | instid1(VALU_DEP_2)
	v_cmp_eq_u64_e64 s10, v[42:43], v[14:15]
	v_mov_b64_e32 v[14:15], v[10:11]
	s_and_saveexec_b32 s14, s10
; %bb.1494:                             ;   in Loop: Header=BB2_1030 Depth=2
	v_bfe_u32 v38, v10, 21, 1
	s_delay_alu instid0(VALU_DEP_1) | instskip(NEXT) | instid1(VALU_DEP_1)
	v_add_nc_u64_e32 v[14:15], v[10:11], v[38:39]
	v_add_nc_u64_e32 v[14:15], -1, v[14:15]
; %bb.1495:                             ;   in Loop: Header=BB2_1030 Depth=2
	s_or_b32 exec_lo, exec_lo, s14
	v_add_nc_u32_e32 v11, 0xffffff81, v101
	v_lshrrev_b32_e32 v15, 23, v10
	s_mov_b32 s10, exec_lo
	s_delay_alu instid0(VALU_DEP_2) | instskip(NEXT) | instid1(VALU_DEP_1)
	v_cndmask_b32_e64 v11, v11, 0xffffff82, vcc_lo
	v_add3_u32 v15, v103, v11, v15
	v_and_b32_e32 v11, 0x1fffff, v14
                                        ; implicit-def: $vgpr14
	s_delay_alu instid0(VALU_DEP_1) | instskip(NEXT) | instid1(VALU_DEP_1)
	v_dual_add_nc_u32 v101, 14, v15 :: v_dual_add_nc_u32 v38, v11, v10
                                        ; implicit-def: $vgpr10_vgpr11
	v_cmpx_ne_u32_e32 0, v101
	s_xor_b32 s10, exec_lo, s10
; %bb.1496:                             ;   in Loop: Header=BB2_1030 Depth=2
	s_delay_alu instid0(VALU_DEP_2) | instskip(SKIP_1) | instid1(VALU_DEP_1)
	v_cmp_lt_u64_e32 vcc_lo, 0xffffff, v[38:39]
	v_add_nc_u32_e32 v10, 15, v15
	v_cndmask_b32_e32 v14, v101, v10, vcc_lo
	v_cndmask_b32_e64 v10, 0, 1, vcc_lo
	s_delay_alu instid0(VALU_DEP_1)
	v_lshrrev_b64 v[10:11], v10, v[38:39]
; %bb.1497:                             ;   in Loop: Header=BB2_1030 Depth=2
	s_and_not1_saveexec_b32 s10, s10
; %bb.1498:                             ;   in Loop: Header=BB2_1030 Depth=2
	v_mov_b64_e32 v[10:11], v[38:39]
	v_bfe_u32 v14, v38, 23, 1
; %bb.1499:                             ;   in Loop: Header=BB2_1030 Depth=2
	s_or_b32 exec_lo, exec_lo, s10
	s_delay_alu instid0(VALU_DEP_2) | instskip(NEXT) | instid1(VALU_DEP_2)
	v_lshrrev_b64 v[10:11], 21, v[10:11]
	v_cmp_gt_i32_e32 vcc_lo, 32, v14
	v_min_i32_e32 v15, 31, v14
	v_cmp_eq_u32_e64 s10, 0, v14
	s_delay_alu instid0(VALU_DEP_4) | instskip(NEXT) | instid1(VALU_DEP_3)
	v_cndmask_b32_e32 v11, 0, v11, vcc_lo
	v_dual_cndmask_b32 v10, 3, v10 :: v_dual_lshlrev_b32 v15, 2, v15
	s_delay_alu instid0(VALU_DEP_1) | instskip(NEXT) | instid1(VALU_DEP_2)
	v_and_b32_e32 v15, 0xfc, v15
	v_cmp_eq_u64_e32 vcc_lo, 0, v[10:11]
	s_delay_alu instid0(VALU_DEP_2)
	v_and_or_b32 v10, v10, 3, v15
	s_and_b32 s10, s10, vcc_lo
	s_delay_alu instid0(VALU_DEP_1) | instid1(SALU_CYCLE_1)
	v_cndmask_b32_e64 v10, v10, 0, s10
	s_delay_alu instid0(VALU_DEP_1)
	v_or_b32_e32 v103, v10, v100
.LBB2_1500:                             ;   in Loop: Header=BB2_1030 Depth=2
	s_or_b32 exec_lo, exec_lo, s13
                                        ; implicit-def: $vgpr100
.LBB2_1501:                             ;   in Loop: Header=BB2_1030 Depth=2
	s_and_not1_saveexec_b32 s10, s12
; %bb.1502:                             ;   in Loop: Header=BB2_1030 Depth=2
	v_or_b32_e32 v103, 0x7b, v100
; %bb.1503:                             ;   in Loop: Header=BB2_1030 Depth=2
	s_or_b32 exec_lo, exec_lo, s10
                                        ; implicit-def: $vgpr113
                                        ; implicit-def: $vgpr10
.LBB2_1504:                             ;   in Loop: Header=BB2_1030 Depth=2
	s_and_not1_saveexec_b32 s10, s11
	s_cbranch_execz .LBB2_1510
; %bb.1505:                             ;   in Loop: Header=BB2_1030 Depth=2
	s_mov_b32 s11, exec_lo
                                        ; implicit-def: $vgpr103
	v_cmpx_ne_u64_e32 0, v[38:39]
	s_xor_b32 s11, exec_lo, s11
; %bb.1506:                             ;   in Loop: Header=BB2_1030 Depth=2
	v_or_b32_e32 v103, 0x7f, v10
                                        ; implicit-def: $vgpr113
; %bb.1507:                             ;   in Loop: Header=BB2_1030 Depth=2
	s_and_not1_saveexec_b32 s11, s11
; %bb.1508:                             ;   in Loop: Header=BB2_1030 Depth=2
	v_cmp_lt_i32_e32 vcc_lo, -1, v113
	v_cndmask_b32_e32 v103, 0xfc, v63, vcc_lo
; %bb.1509:                             ;   in Loop: Header=BB2_1030 Depth=2
	s_or_b32 exec_lo, exec_lo, s11
.LBB2_1510:                             ;   in Loop: Header=BB2_1030 Depth=2
	s_delay_alu instid0(SALU_CYCLE_1) | instskip(SKIP_3) | instid1(VALU_DEP_2)
	s_or_b32 exec_lo, exec_lo, s10
	v_lshrrev_b16 v38, 8, v16
	v_cmp_lt_i16_e32 vcc_lo, -1, v16
	s_mov_b32 s13, -1
	v_and_b32_e32 v11, 0xffff, v38
	v_cndmask_b32_e32 v101, 0xff800000, v62, vcc_lo
	s_delay_alu instid0(VALU_DEP_2) | instskip(SKIP_2) | instid1(VALU_DEP_3)
	v_dual_lshlrev_b32 v100, 24, v38 :: v_dual_bitop2_b32 v14, 3, v11 bitop3:0x40
	v_and_b32_e32 v46, 0x7c, v11
	v_bfe_u32 v15, v11, 2, 5
                                        ; implicit-def: $vgpr11
	v_and_or_b32 v100, v100, s28, 0x38000000
	s_delay_alu instid0(VALU_DEP_4) | instskip(SKIP_3) | instid1(VALU_DEP_4)
	v_clz_i32_u32_e32 v10, v14
	v_cmp_eq_u32_e32 vcc_lo, 0, v14
	v_cmp_eq_u32_e64 s10, 0x7c, v46
	v_cmp_eq_u32_e64 s11, 0, v15
	v_min_u32_e32 v113, 32, v10
	v_lshrrev_b16 v10, 8, v12
	v_cndmask_b32_e32 v101, 0x7f800001, v101, vcc_lo
	s_and_b32 vcc_lo, exec_lo, s44
	s_delay_alu instid0(VALU_DEP_3) | instskip(NEXT) | instid1(VALU_DEP_3)
	v_subrev_nc_u32_e32 v42, 29, v113
	v_and_b32_e32 v43, 0xffff, v10
	v_cmp_ne_u16_e64 s12, 0, v10
	s_delay_alu instid0(VALU_DEP_3) | instskip(NEXT) | instid1(VALU_DEP_1)
	v_lshlrev_b64_e32 v[44:45], v42, v[38:39]
	v_dual_sub_nc_u32 v113, 30, v113 :: v_dual_bitop2_b32 v42, 3, v44 bitop3:0x40
	s_cbranch_vccz .LBB2_1528
; %bb.1511:                             ;   in Loop: Header=BB2_1030 Depth=2
	v_mov_b32_e32 v11, 0
	s_and_saveexec_b32 s13, s12
	s_cbranch_execz .LBB2_1521
; %bb.1512:                             ;   in Loop: Header=BB2_1030 Depth=2
	v_bfrev_b32_e32 v11, 1
	s_mov_b32 s14, exec_lo
	v_cmpx_ne_u16_e32 0x80, v10
	s_cbranch_execz .LBB2_1520
; %bb.1513:                             ;   in Loop: Header=BB2_1030 Depth=2
	v_and_b32_e32 v11, 0x7c, v43
	v_and_b32_e32 v44, 3, v43
	s_delay_alu instid0(VALU_DEP_2) | instskip(SKIP_1) | instid1(SALU_CYCLE_1)
	v_cmp_ne_u32_e32 vcc_lo, 0x7c, v11
                                        ; implicit-def: $vgpr11
	s_and_saveexec_b32 s45, vcc_lo
	s_xor_b32 s45, exec_lo, s45
	s_cbranch_execz .LBB2_1517
; %bb.1514:                             ;   in Loop: Header=BB2_1030 Depth=2
	v_bfe_u32 v11, v43, 2, 5
	s_mov_b32 s46, exec_lo
	s_delay_alu instid0(VALU_DEP_1)
	v_cmpx_eq_u32_e32 0, v11
; %bb.1515:                             ;   in Loop: Header=BB2_1030 Depth=2
	v_clz_i32_u32_e32 v11, v44
	s_delay_alu instid0(VALU_DEP_1) | instskip(SKIP_1) | instid1(VALU_DEP_2)
	v_min_u32_e32 v46, 32, v11
	v_mov_b32_e32 v11, v39
	v_subrev_nc_u32_e32 v44, 29, v46
	s_delay_alu instid0(VALU_DEP_1) | instskip(NEXT) | instid1(VALU_DEP_1)
	v_lshlrev_b64_e32 v[44:45], v44, v[10:11]
	v_dual_sub_nc_u32 v11, 30, v46 :: v_dual_bitop2_b32 v44, 3, v44 bitop3:0x40
; %bb.1516:                             ;   in Loop: Header=BB2_1030 Depth=2
	s_or_b32 exec_lo, exec_lo, s46
	v_lshlrev_b32_e32 v45, 16, v12
	s_delay_alu instid0(VALU_DEP_1) | instskip(NEXT) | instid1(VALU_DEP_1)
	v_and_b32_e32 v45, 0x80000000, v45
	v_lshl_add_u32 v11, v11, 23, v45
	s_delay_alu instid0(VALU_DEP_1) | instskip(NEXT) | instid1(VALU_DEP_1)
	v_lshl_or_b32 v11, v44, 21, v11
                                        ; implicit-def: $vgpr44
	v_add_nc_u32_e32 v11, 0x38000000, v11
.LBB2_1517:                             ;   in Loop: Header=BB2_1030 Depth=2
	s_and_not1_saveexec_b32 s45, s45
; %bb.1518:                             ;   in Loop: Header=BB2_1030 Depth=2
	v_cmp_lt_i16_e32 vcc_lo, -1, v12
	v_cndmask_b32_e32 v11, 0xff800000, v62, vcc_lo
	v_cmp_eq_u32_e32 vcc_lo, 0, v44
	s_delay_alu instid0(VALU_DEP_2)
	v_cndmask_b32_e32 v11, 0x7f800001, v11, vcc_lo
; %bb.1519:                             ;   in Loop: Header=BB2_1030 Depth=2
	s_or_b32 exec_lo, exec_lo, s45
.LBB2_1520:                             ;   in Loop: Header=BB2_1030 Depth=2
	s_delay_alu instid0(SALU_CYCLE_1)
	s_or_b32 exec_lo, exec_lo, s14
.LBB2_1521:                             ;   in Loop: Header=BB2_1030 Depth=2
	s_delay_alu instid0(SALU_CYCLE_1)
	s_or_b32 exec_lo, exec_lo, s13
	s_mov_b32 s13, 0
	s_mov_b32 s14, exec_lo
	v_cmpx_lt_i16_e32 0x7f, v38
	s_xor_b32 s14, exec_lo, s14
	s_cbranch_execz .LBB2_1905
; %bb.1522:                             ;   in Loop: Header=BB2_1030 Depth=2
	s_mov_b32 s13, -1
	s_mov_b32 s45, exec_lo
	v_cmpx_eq_u16_e32 0x80, v38
; %bb.1523:                             ;   in Loop: Header=BB2_1030 Depth=2
	s_xor_b32 s13, exec_lo, -1
; %bb.1524:                             ;   in Loop: Header=BB2_1030 Depth=2
	s_or_b32 exec_lo, exec_lo, s45
	s_delay_alu instid0(SALU_CYCLE_1)
	s_and_b32 s13, s13, exec_lo
	s_or_saveexec_b32 s14, s14
	v_bfrev_b32_e32 v44, 1
	s_xor_b32 exec_lo, exec_lo, s14
	s_cbranch_execnz .LBB2_1906
.LBB2_1525:                             ;   in Loop: Header=BB2_1030 Depth=2
	s_or_b32 exec_lo, exec_lo, s14
	s_and_saveexec_b32 s14, s13
.LBB2_1526:                             ;   in Loop: Header=BB2_1030 Depth=2
	v_dual_cndmask_b32 v44, v15, v113, s11 :: v_dual_cndmask_b32 v45, v14, v42, s11
	s_delay_alu instid0(VALU_DEP_1) | instskip(NEXT) | instid1(VALU_DEP_1)
	v_lshl_add_u32 v44, v44, 23, v100
	v_lshl_or_b32 v44, v45, 21, v44
	s_delay_alu instid0(VALU_DEP_1)
	v_cndmask_b32_e64 v44, v44, v101, s10
.LBB2_1527:                             ;   in Loop: Header=BB2_1030 Depth=2
	s_or_b32 exec_lo, exec_lo, s14
	s_delay_alu instid0(VALU_DEP_1) | instskip(SKIP_1) | instid1(VALU_DEP_1)
	v_dual_max_num_f32 v44, v44, v44 :: v_dual_max_num_f32 v11, v11, v11
	s_mov_b32 s13, 0
	v_max_num_f32_e32 v11, v11, v44
.LBB2_1528:                             ;   in Loop: Header=BB2_1030 Depth=2
	s_and_b32 vcc_lo, exec_lo, s13
	s_cbranch_vccz .LBB2_1546
; %bb.1529:                             ;   in Loop: Header=BB2_1030 Depth=2
	v_mov_b32_e32 v11, 0
	s_and_saveexec_b32 s13, s12
	s_cbranch_execz .LBB2_1539
; %bb.1530:                             ;   in Loop: Header=BB2_1030 Depth=2
	v_bfrev_b32_e32 v11, 1
	s_mov_b32 s12, exec_lo
	v_cmpx_ne_u16_e32 0x80, v10
	s_cbranch_execz .LBB2_1538
; %bb.1531:                             ;   in Loop: Header=BB2_1030 Depth=2
	v_and_b32_e32 v11, 0x7c, v43
	v_and_b32_e32 v44, 3, v43
	s_delay_alu instid0(VALU_DEP_2) | instskip(SKIP_1) | instid1(SALU_CYCLE_1)
	v_cmp_ne_u32_e32 vcc_lo, 0x7c, v11
                                        ; implicit-def: $vgpr11
	s_and_saveexec_b32 s14, vcc_lo
	s_xor_b32 s14, exec_lo, s14
	s_cbranch_execz .LBB2_1535
; %bb.1532:                             ;   in Loop: Header=BB2_1030 Depth=2
	v_bfe_u32 v11, v43, 2, 5
	s_mov_b32 s45, exec_lo
	s_delay_alu instid0(VALU_DEP_1)
	v_cmpx_eq_u32_e32 0, v11
; %bb.1533:                             ;   in Loop: Header=BB2_1030 Depth=2
	v_clz_i32_u32_e32 v11, v44
	s_delay_alu instid0(VALU_DEP_1) | instskip(SKIP_1) | instid1(VALU_DEP_2)
	v_min_u32_e32 v43, 32, v11
	v_mov_b32_e32 v11, v39
	v_subrev_nc_u32_e32 v44, 29, v43
	s_delay_alu instid0(VALU_DEP_1) | instskip(NEXT) | instid1(VALU_DEP_1)
	v_lshlrev_b64_e32 v[10:11], v44, v[10:11]
	v_dual_sub_nc_u32 v11, 30, v43 :: v_dual_bitop2_b32 v44, 3, v10 bitop3:0x40
; %bb.1534:                             ;   in Loop: Header=BB2_1030 Depth=2
	s_or_b32 exec_lo, exec_lo, s45
	v_lshlrev_b32_e32 v10, 16, v12
	s_delay_alu instid0(VALU_DEP_1) | instskip(NEXT) | instid1(VALU_DEP_1)
	v_and_b32_e32 v10, 0x80000000, v10
	v_lshl_add_u32 v10, v11, 23, v10
	s_delay_alu instid0(VALU_DEP_1) | instskip(NEXT) | instid1(VALU_DEP_1)
	v_lshl_or_b32 v10, v44, 21, v10
                                        ; implicit-def: $vgpr44
	v_add_nc_u32_e32 v11, 0x38000000, v10
.LBB2_1535:                             ;   in Loop: Header=BB2_1030 Depth=2
	s_and_not1_saveexec_b32 s14, s14
; %bb.1536:                             ;   in Loop: Header=BB2_1030 Depth=2
	v_cmp_lt_i16_e32 vcc_lo, -1, v12
	v_cndmask_b32_e32 v10, 0xff800000, v62, vcc_lo
	v_cmp_eq_u32_e32 vcc_lo, 0, v44
	s_delay_alu instid0(VALU_DEP_2)
	v_cndmask_b32_e32 v11, 0x7f800001, v10, vcc_lo
; %bb.1537:                             ;   in Loop: Header=BB2_1030 Depth=2
	s_or_b32 exec_lo, exec_lo, s14
.LBB2_1538:                             ;   in Loop: Header=BB2_1030 Depth=2
	s_delay_alu instid0(SALU_CYCLE_1)
	s_or_b32 exec_lo, exec_lo, s12
.LBB2_1539:                             ;   in Loop: Header=BB2_1030 Depth=2
	s_delay_alu instid0(SALU_CYCLE_1)
	s_or_b32 exec_lo, exec_lo, s13
	s_mov_b32 s12, 0
	s_mov_b32 s13, exec_lo
	v_cmpx_lt_i16_e32 0x7f, v38
	s_xor_b32 s13, exec_lo, s13
	s_cbranch_execz .LBB2_1907
; %bb.1540:                             ;   in Loop: Header=BB2_1030 Depth=2
	s_mov_b32 s12, -1
	s_mov_b32 s14, exec_lo
	v_cmpx_eq_u16_e32 0x80, v38
; %bb.1541:                             ;   in Loop: Header=BB2_1030 Depth=2
	s_xor_b32 s12, exec_lo, -1
; %bb.1542:                             ;   in Loop: Header=BB2_1030 Depth=2
	s_or_b32 exec_lo, exec_lo, s14
	s_delay_alu instid0(SALU_CYCLE_1)
	s_and_b32 s12, s12, exec_lo
	s_or_saveexec_b32 s13, s13
	v_bfrev_b32_e32 v10, 1
	s_xor_b32 exec_lo, exec_lo, s13
	s_cbranch_execnz .LBB2_1908
.LBB2_1543:                             ;   in Loop: Header=BB2_1030 Depth=2
	s_or_b32 exec_lo, exec_lo, s13
	s_and_saveexec_b32 s13, s12
.LBB2_1544:                             ;   in Loop: Header=BB2_1030 Depth=2
	v_dual_cndmask_b32 v10, v15, v113, s11 :: v_dual_cndmask_b32 v14, v14, v42, s11
	s_delay_alu instid0(VALU_DEP_1) | instskip(NEXT) | instid1(VALU_DEP_1)
	v_lshl_add_u32 v10, v10, 23, v100
	v_lshl_or_b32 v10, v14, 21, v10
	s_delay_alu instid0(VALU_DEP_1)
	v_cndmask_b32_e64 v10, v10, v101, s10
.LBB2_1545:                             ;   in Loop: Header=BB2_1030 Depth=2
	s_or_b32 exec_lo, exec_lo, s13
	s_delay_alu instid0(VALU_DEP_1) | instskip(NEXT) | instid1(VALU_DEP_1)
	v_dual_max_num_f32 v10, v10, v10 :: v_dual_max_num_f32 v11, v11, v11
	v_min_num_f32_e32 v11, v11, v10
.LBB2_1546:                             ;   in Loop: Header=BB2_1030 Depth=2
	s_delay_alu instid0(VALU_DEP_1) | instskip(SKIP_3) | instid1(VALU_DEP_2)
	v_and_b32_e32 v14, 0x7f800000, v11
	v_dual_mov_b32 v15, v39 :: v_dual_lshrrev_b32 v10, 24, v11
	v_and_b32_e32 v38, 0x7fffff, v11
                                        ; implicit-def: $vgpr113
	s_mov_b32 s10, exec_lo
	v_cmpx_ne_u64_e32 0x7f800000, v[14:15]
	s_xor_b32 s11, exec_lo, s10
	s_cbranch_execz .LBB2_1560
; %bb.1547:                             ;   in Loop: Header=BB2_1030 Depth=2
	v_and_b32_e32 v14, 0x7fffffff, v11
	v_mov_b32_e32 v15, v39
	v_and_b32_e32 v100, 0x80, v10
                                        ; implicit-def: $vgpr113
	s_mov_b32 s10, exec_lo
	s_delay_alu instid0(VALU_DEP_2)
	v_cmpx_gt_u64_e32 0x47600001, v[14:15]
	s_xor_b32 s12, exec_lo, s10
	s_cbranch_execz .LBB2_1557
; %bb.1548:                             ;   in Loop: Header=BB2_1030 Depth=2
	v_mov_b32_e32 v113, 0
	s_mov_b32 s13, exec_lo
	v_cmpx_ne_u32_e32 0, v11
	s_cbranch_execz .LBB2_1556
; %bb.1549:                             ;   in Loop: Header=BB2_1030 Depth=2
	v_bfe_u32 v101, v11, 23, 8
	v_or_b32_e32 v14, 0x800000, v38
	s_delay_alu instid0(VALU_DEP_2) | instskip(SKIP_1) | instid1(VALU_DEP_2)
	v_sub_nc_u32_e32 v10, 0x71, v101
	v_cmp_gt_u32_e32 vcc_lo, 0x72, v101
	v_cndmask_b32_e32 v10, 0, v10, vcc_lo
	v_cmp_eq_u32_e32 vcc_lo, 0, v101
	s_delay_alu instid0(VALU_DEP_2) | instskip(NEXT) | instid1(VALU_DEP_1)
	v_cndmask_b32_e64 v113, v10, 0x70, vcc_lo
	v_dual_cndmask_b32 v38, v14, v38, vcc_lo :: v_dual_add_nc_u32 v10, 21, v113
	v_add_nc_u32_e32 v15, 20, v113
	s_delay_alu instid0(VALU_DEP_2) | instskip(NEXT) | instid1(VALU_DEP_2)
	v_lshlrev_b64_e64 v[10:11], v10, -1
	v_lshlrev_b64_e64 v[14:15], v15, 1
	s_delay_alu instid0(VALU_DEP_2) | instskip(NEXT) | instid1(VALU_DEP_3)
	v_bfi_b32 v43, v11, 0, 0
	v_bfi_b32 v42, v10, 0, v38
	v_lshrrev_b64 v[10:11], v113, v[38:39]
	s_delay_alu instid0(VALU_DEP_2) | instskip(NEXT) | instid1(VALU_DEP_2)
	v_cmp_eq_u64_e64 s10, v[42:43], v[14:15]
	v_mov_b64_e32 v[14:15], v[10:11]
	s_and_saveexec_b32 s14, s10
; %bb.1550:                             ;   in Loop: Header=BB2_1030 Depth=2
	v_bfe_u32 v38, v10, 21, 1
	s_delay_alu instid0(VALU_DEP_1) | instskip(NEXT) | instid1(VALU_DEP_1)
	v_add_nc_u64_e32 v[14:15], v[10:11], v[38:39]
	v_add_nc_u64_e32 v[14:15], -1, v[14:15]
; %bb.1551:                             ;   in Loop: Header=BB2_1030 Depth=2
	s_or_b32 exec_lo, exec_lo, s14
	v_add_nc_u32_e32 v11, 0xffffff81, v101
	v_lshrrev_b32_e32 v15, 23, v10
	s_mov_b32 s10, exec_lo
	s_delay_alu instid0(VALU_DEP_2) | instskip(NEXT) | instid1(VALU_DEP_1)
	v_cndmask_b32_e64 v11, v11, 0xffffff82, vcc_lo
	v_add3_u32 v15, v113, v11, v15
	v_and_b32_e32 v11, 0x1fffff, v14
                                        ; implicit-def: $vgpr14
	s_delay_alu instid0(VALU_DEP_1) | instskip(NEXT) | instid1(VALU_DEP_1)
	v_dual_add_nc_u32 v101, 14, v15 :: v_dual_add_nc_u32 v38, v11, v10
                                        ; implicit-def: $vgpr10_vgpr11
	v_cmpx_ne_u32_e32 0, v101
	s_xor_b32 s10, exec_lo, s10
; %bb.1552:                             ;   in Loop: Header=BB2_1030 Depth=2
	s_delay_alu instid0(VALU_DEP_2) | instskip(SKIP_1) | instid1(VALU_DEP_1)
	v_cmp_lt_u64_e32 vcc_lo, 0xffffff, v[38:39]
	v_add_nc_u32_e32 v10, 15, v15
	v_cndmask_b32_e32 v14, v101, v10, vcc_lo
	v_cndmask_b32_e64 v10, 0, 1, vcc_lo
	s_delay_alu instid0(VALU_DEP_1)
	v_lshrrev_b64 v[10:11], v10, v[38:39]
; %bb.1553:                             ;   in Loop: Header=BB2_1030 Depth=2
	s_and_not1_saveexec_b32 s10, s10
; %bb.1554:                             ;   in Loop: Header=BB2_1030 Depth=2
	v_mov_b64_e32 v[10:11], v[38:39]
	v_bfe_u32 v14, v38, 23, 1
; %bb.1555:                             ;   in Loop: Header=BB2_1030 Depth=2
	s_or_b32 exec_lo, exec_lo, s10
	s_delay_alu instid0(VALU_DEP_2) | instskip(NEXT) | instid1(VALU_DEP_2)
	v_lshrrev_b64 v[10:11], 21, v[10:11]
	v_cmp_gt_i32_e32 vcc_lo, 32, v14
	v_min_i32_e32 v15, 31, v14
	v_cmp_eq_u32_e64 s10, 0, v14
	s_delay_alu instid0(VALU_DEP_4) | instskip(NEXT) | instid1(VALU_DEP_3)
	v_cndmask_b32_e32 v11, 0, v11, vcc_lo
	v_dual_cndmask_b32 v10, 3, v10 :: v_dual_lshlrev_b32 v15, 2, v15
	s_delay_alu instid0(VALU_DEP_1) | instskip(NEXT) | instid1(VALU_DEP_2)
	v_and_b32_e32 v15, 0xfc, v15
	v_cmp_eq_u64_e32 vcc_lo, 0, v[10:11]
	s_delay_alu instid0(VALU_DEP_2)
	v_and_or_b32 v10, v10, 3, v15
	s_and_b32 s10, s10, vcc_lo
	s_delay_alu instid0(VALU_DEP_1) | instid1(SALU_CYCLE_1)
	v_cndmask_b32_e64 v10, v10, 0, s10
	s_delay_alu instid0(VALU_DEP_1)
	v_or_b32_e32 v113, v10, v100
.LBB2_1556:                             ;   in Loop: Header=BB2_1030 Depth=2
	s_or_b32 exec_lo, exec_lo, s13
                                        ; implicit-def: $vgpr100
.LBB2_1557:                             ;   in Loop: Header=BB2_1030 Depth=2
	s_and_not1_saveexec_b32 s10, s12
; %bb.1558:                             ;   in Loop: Header=BB2_1030 Depth=2
	v_or_b32_e32 v113, 0x7b, v100
; %bb.1559:                             ;   in Loop: Header=BB2_1030 Depth=2
	s_or_b32 exec_lo, exec_lo, s10
                                        ; implicit-def: $vgpr11
                                        ; implicit-def: $vgpr10
.LBB2_1560:                             ;   in Loop: Header=BB2_1030 Depth=2
	s_and_not1_saveexec_b32 s10, s11
	s_cbranch_execz .LBB2_1566
; %bb.1561:                             ;   in Loop: Header=BB2_1030 Depth=2
	s_mov_b32 s11, exec_lo
                                        ; implicit-def: $vgpr113
	v_cmpx_ne_u64_e32 0, v[38:39]
	s_xor_b32 s11, exec_lo, s11
; %bb.1562:                             ;   in Loop: Header=BB2_1030 Depth=2
	v_or_b32_e32 v113, 0x7f, v10
                                        ; implicit-def: $vgpr11
; %bb.1563:                             ;   in Loop: Header=BB2_1030 Depth=2
	s_and_not1_saveexec_b32 s11, s11
; %bb.1564:                             ;   in Loop: Header=BB2_1030 Depth=2
	v_cmp_lt_i32_e32 vcc_lo, -1, v11
	v_cndmask_b32_e32 v113, 0xfc, v63, vcc_lo
; %bb.1565:                             ;   in Loop: Header=BB2_1030 Depth=2
	s_or_b32 exec_lo, exec_lo, s11
.LBB2_1566:                             ;   in Loop: Header=BB2_1030 Depth=2
	s_delay_alu instid0(SALU_CYCLE_1) | instskip(SKIP_4) | instid1(VALU_DEP_4)
	s_or_b32 exec_lo, exec_lo, s10
	v_bfe_u32 v11, v16, 16, 2
	v_dual_lshrrev_b32 v38, 16, v16 :: v_dual_lshlrev_b32 v101, 8, v16
	v_lshrrev_b32_e32 v10, 16, v12
	v_and_b32_e32 v15, 0x7c0000, v16
	v_clz_i32_u32_e32 v14, v11
	s_delay_alu instid0(VALU_DEP_4)
	v_bfe_i32 v42, v38, 0, 8
	s_mov_b32 s13, -1
	v_and_b32_e32 v43, 0xff, v10
	v_cmp_eq_u32_e64 s10, 0x7c0000, v15
	v_min_u32_e32 v100, 32, v14
	v_cmp_lt_i16_e32 vcc_lo, -1, v42
	v_bfe_u32 v14, v16, 18, 5
	v_and_or_b32 v15, v101, s28, 0x38000000
	v_cmp_ne_u16_e64 s12, 0, v43
	v_subrev_nc_u32_e32 v44, 29, v100
	v_sub_nc_u32_e32 v100, 30, v100
	v_cmp_eq_u32_e64 s11, 0, v14
	s_delay_alu instid0(VALU_DEP_3) | instskip(SKIP_2) | instid1(VALU_DEP_2)
	v_lshlrev_b64_e32 v[44:45], v44, v[38:39]
	v_cndmask_b32_e32 v38, 0xff800000, v62, vcc_lo
	v_cmp_eq_u32_e32 vcc_lo, 0, v11
	v_cndmask_b32_e32 v38, 0x7f800001, v38, vcc_lo
	s_delay_alu instid0(VALU_DEP_4)
	v_and_b32_e32 v101, 3, v44
	s_and_b32 vcc_lo, exec_lo, s44
                                        ; implicit-def: $vgpr44
	s_cbranch_vccz .LBB2_1584
; %bb.1567:                             ;   in Loop: Header=BB2_1030 Depth=2
	v_mov_b32_e32 v44, 0
	s_and_saveexec_b32 s13, s12
	s_cbranch_execz .LBB2_1577
; %bb.1568:                             ;   in Loop: Header=BB2_1030 Depth=2
	v_bfrev_b32_e32 v44, 1
	s_mov_b32 s14, exec_lo
	v_cmpx_ne_u16_e32 0x80, v43
	s_cbranch_execz .LBB2_1576
; %bb.1569:                             ;   in Loop: Header=BB2_1030 Depth=2
	v_and_b32_e32 v44, 0x7c0000, v12
	v_bfe_u32 v45, v12, 16, 2
	s_delay_alu instid0(VALU_DEP_2) | instskip(SKIP_1) | instid1(SALU_CYCLE_1)
	v_cmp_ne_u32_e32 vcc_lo, 0x7c0000, v44
                                        ; implicit-def: $vgpr44
	s_and_saveexec_b32 s45, vcc_lo
	s_xor_b32 s45, exec_lo, s45
	s_cbranch_execz .LBB2_1573
; %bb.1570:                             ;   in Loop: Header=BB2_1030 Depth=2
	v_bfe_u32 v44, v12, 18, 5
	s_mov_b32 s46, exec_lo
	s_delay_alu instid0(VALU_DEP_1)
	v_cmpx_eq_u32_e32 0, v44
; %bb.1571:                             ;   in Loop: Header=BB2_1030 Depth=2
	v_clz_i32_u32_e32 v44, v45
	s_delay_alu instid0(VALU_DEP_1) | instskip(NEXT) | instid1(VALU_DEP_1)
	v_min_u32_e32 v44, 32, v44
	v_subrev_nc_u32_e32 v45, 29, v44
	s_delay_alu instid0(VALU_DEP_1) | instskip(NEXT) | instid1(VALU_DEP_1)
	v_lshlrev_b64_e32 v[46:47], v45, v[10:11]
	v_dual_sub_nc_u32 v44, 30, v44 :: v_dual_bitop2_b32 v45, 3, v46 bitop3:0x40
; %bb.1572:                             ;   in Loop: Header=BB2_1030 Depth=2
	s_or_b32 exec_lo, exec_lo, s46
	v_lshlrev_b32_e32 v46, 24, v10
	s_delay_alu instid0(VALU_DEP_1) | instskip(NEXT) | instid1(VALU_DEP_1)
	v_and_b32_e32 v46, 0x80000000, v46
	v_lshl_add_u32 v44, v44, 23, v46
	s_delay_alu instid0(VALU_DEP_1) | instskip(NEXT) | instid1(VALU_DEP_1)
	v_lshl_or_b32 v44, v45, 21, v44
                                        ; implicit-def: $vgpr45
	v_add_nc_u32_e32 v44, 0x38000000, v44
.LBB2_1573:                             ;   in Loop: Header=BB2_1030 Depth=2
	s_and_not1_saveexec_b32 s45, s45
; %bb.1574:                             ;   in Loop: Header=BB2_1030 Depth=2
	v_bfe_i32 v44, v10, 0, 8
	s_delay_alu instid0(VALU_DEP_1) | instskip(SKIP_2) | instid1(VALU_DEP_2)
	v_cmp_lt_i16_e32 vcc_lo, -1, v44
	v_cndmask_b32_e32 v44, 0xff800000, v62, vcc_lo
	v_cmp_eq_u32_e32 vcc_lo, 0, v45
	v_cndmask_b32_e32 v44, 0x7f800001, v44, vcc_lo
; %bb.1575:                             ;   in Loop: Header=BB2_1030 Depth=2
	s_or_b32 exec_lo, exec_lo, s45
.LBB2_1576:                             ;   in Loop: Header=BB2_1030 Depth=2
	s_delay_alu instid0(SALU_CYCLE_1)
	s_or_b32 exec_lo, exec_lo, s14
.LBB2_1577:                             ;   in Loop: Header=BB2_1030 Depth=2
	s_delay_alu instid0(SALU_CYCLE_1) | instskip(SKIP_3) | instid1(VALU_DEP_1)
	s_or_b32 exec_lo, exec_lo, s13
	v_and_b32_e32 v46, 0xff, v42
	s_mov_b32 s13, 0
	s_mov_b32 s14, exec_lo
	v_cmpx_lt_i16_e32 0x7f, v46
	s_xor_b32 s14, exec_lo, s14
	s_cbranch_execz .LBB2_1909
; %bb.1578:                             ;   in Loop: Header=BB2_1030 Depth=2
	s_mov_b32 s13, -1
	s_mov_b32 s45, exec_lo
	v_cmpx_eq_u16_e32 0x80, v46
; %bb.1579:                             ;   in Loop: Header=BB2_1030 Depth=2
	s_xor_b32 s13, exec_lo, -1
; %bb.1580:                             ;   in Loop: Header=BB2_1030 Depth=2
	s_or_b32 exec_lo, exec_lo, s45
	s_delay_alu instid0(SALU_CYCLE_1)
	s_and_b32 s13, s13, exec_lo
                                        ; implicit-def: $vgpr46
	s_or_saveexec_b32 s14, s14
	v_bfrev_b32_e32 v45, 1
	s_xor_b32 exec_lo, exec_lo, s14
	s_cbranch_execnz .LBB2_1910
.LBB2_1581:                             ;   in Loop: Header=BB2_1030 Depth=2
	s_or_b32 exec_lo, exec_lo, s14
	s_and_saveexec_b32 s14, s13
.LBB2_1582:                             ;   in Loop: Header=BB2_1030 Depth=2
	v_dual_cndmask_b32 v45, v14, v100, s11 :: v_dual_cndmask_b32 v46, v11, v101, s11
	s_delay_alu instid0(VALU_DEP_1) | instskip(NEXT) | instid1(VALU_DEP_1)
	v_lshl_add_u32 v45, v45, 23, v15
	v_lshl_or_b32 v45, v46, 21, v45
	s_delay_alu instid0(VALU_DEP_1)
	v_cndmask_b32_e64 v45, v45, v38, s10
.LBB2_1583:                             ;   in Loop: Header=BB2_1030 Depth=2
	s_or_b32 exec_lo, exec_lo, s14
	s_delay_alu instid0(VALU_DEP_1) | instskip(SKIP_1) | instid1(VALU_DEP_1)
	v_dual_max_num_f32 v45, v45, v45 :: v_dual_max_num_f32 v44, v44, v44
	s_mov_b32 s13, 0
	v_max_num_f32_e32 v44, v44, v45
.LBB2_1584:                             ;   in Loop: Header=BB2_1030 Depth=2
	s_and_b32 vcc_lo, exec_lo, s13
	s_cbranch_vccz .LBB2_1602
; %bb.1585:                             ;   in Loop: Header=BB2_1030 Depth=2
	v_mov_b32_e32 v44, 0
	s_and_saveexec_b32 s13, s12
	s_cbranch_execz .LBB2_1595
; %bb.1586:                             ;   in Loop: Header=BB2_1030 Depth=2
	v_bfrev_b32_e32 v44, 1
	s_mov_b32 s12, exec_lo
	v_cmpx_ne_u16_e32 0x80, v43
	s_cbranch_execz .LBB2_1594
; %bb.1587:                             ;   in Loop: Header=BB2_1030 Depth=2
	v_and_b32_e32 v44, 0x7c0000, v12
	v_bfe_u32 v43, v12, 16, 2
	s_delay_alu instid0(VALU_DEP_2) | instskip(SKIP_1) | instid1(SALU_CYCLE_1)
	v_cmp_ne_u32_e32 vcc_lo, 0x7c0000, v44
                                        ; implicit-def: $vgpr44
	s_and_saveexec_b32 s14, vcc_lo
	s_xor_b32 s14, exec_lo, s14
	s_cbranch_execz .LBB2_1591
; %bb.1588:                             ;   in Loop: Header=BB2_1030 Depth=2
	v_bfe_u32 v44, v12, 18, 5
	s_mov_b32 s45, exec_lo
	s_delay_alu instid0(VALU_DEP_1)
	v_cmpx_eq_u32_e32 0, v44
; %bb.1589:                             ;   in Loop: Header=BB2_1030 Depth=2
	v_clz_i32_u32_e32 v43, v43
	s_delay_alu instid0(VALU_DEP_1) | instskip(NEXT) | instid1(VALU_DEP_1)
	v_min_u32_e32 v43, 32, v43
	v_subrev_nc_u32_e32 v44, 29, v43
	s_delay_alu instid0(VALU_DEP_1) | instskip(NEXT) | instid1(VALU_DEP_1)
	v_lshlrev_b64_e32 v[46:47], v44, v[10:11]
	v_dual_sub_nc_u32 v44, 30, v43 :: v_dual_bitop2_b32 v43, 3, v46 bitop3:0x40
; %bb.1590:                             ;   in Loop: Header=BB2_1030 Depth=2
	s_or_b32 exec_lo, exec_lo, s45
	v_lshlrev_b32_e32 v10, 24, v10
	s_delay_alu instid0(VALU_DEP_1) | instskip(NEXT) | instid1(VALU_DEP_1)
	v_and_b32_e32 v10, 0x80000000, v10
	v_lshl_add_u32 v10, v44, 23, v10
	s_delay_alu instid0(VALU_DEP_1) | instskip(NEXT) | instid1(VALU_DEP_1)
	v_lshl_or_b32 v10, v43, 21, v10
                                        ; implicit-def: $vgpr43
	v_add_nc_u32_e32 v44, 0x38000000, v10
                                        ; implicit-def: $vgpr10
.LBB2_1591:                             ;   in Loop: Header=BB2_1030 Depth=2
	s_and_not1_saveexec_b32 s14, s14
; %bb.1592:                             ;   in Loop: Header=BB2_1030 Depth=2
	v_bfe_i32 v10, v10, 0, 8
	s_delay_alu instid0(VALU_DEP_1) | instskip(SKIP_2) | instid1(VALU_DEP_2)
	v_cmp_lt_i16_e32 vcc_lo, -1, v10
	v_cndmask_b32_e32 v10, 0xff800000, v62, vcc_lo
	v_cmp_eq_u32_e32 vcc_lo, 0, v43
	v_cndmask_b32_e32 v44, 0x7f800001, v10, vcc_lo
; %bb.1593:                             ;   in Loop: Header=BB2_1030 Depth=2
	s_or_b32 exec_lo, exec_lo, s14
.LBB2_1594:                             ;   in Loop: Header=BB2_1030 Depth=2
	s_delay_alu instid0(SALU_CYCLE_1)
	s_or_b32 exec_lo, exec_lo, s12
.LBB2_1595:                             ;   in Loop: Header=BB2_1030 Depth=2
	s_delay_alu instid0(SALU_CYCLE_1) | instskip(SKIP_3) | instid1(VALU_DEP_1)
	s_or_b32 exec_lo, exec_lo, s13
	v_and_b32_e32 v42, 0xff, v42
	s_mov_b32 s12, 0
	s_mov_b32 s13, exec_lo
	v_cmpx_lt_i16_e32 0x7f, v42
	s_xor_b32 s13, exec_lo, s13
	s_cbranch_execz .LBB2_1911
; %bb.1596:                             ;   in Loop: Header=BB2_1030 Depth=2
	s_mov_b32 s12, -1
	s_mov_b32 s14, exec_lo
	v_cmpx_eq_u16_e32 0x80, v42
; %bb.1597:                             ;   in Loop: Header=BB2_1030 Depth=2
	s_xor_b32 s12, exec_lo, -1
; %bb.1598:                             ;   in Loop: Header=BB2_1030 Depth=2
	s_or_b32 exec_lo, exec_lo, s14
	s_delay_alu instid0(SALU_CYCLE_1)
	s_and_b32 s12, s12, exec_lo
                                        ; implicit-def: $vgpr42
	s_or_saveexec_b32 s13, s13
	v_bfrev_b32_e32 v10, 1
	s_xor_b32 exec_lo, exec_lo, s13
	s_cbranch_execnz .LBB2_1912
.LBB2_1599:                             ;   in Loop: Header=BB2_1030 Depth=2
	s_or_b32 exec_lo, exec_lo, s13
	s_and_saveexec_b32 s13, s12
.LBB2_1600:                             ;   in Loop: Header=BB2_1030 Depth=2
	v_dual_cndmask_b32 v10, v14, v100, s11 :: v_dual_cndmask_b32 v11, v11, v101, s11
	s_delay_alu instid0(VALU_DEP_1) | instskip(NEXT) | instid1(VALU_DEP_1)
	v_lshl_add_u32 v10, v10, 23, v15
	v_lshl_or_b32 v10, v11, 21, v10
	s_delay_alu instid0(VALU_DEP_1)
	v_cndmask_b32_e64 v10, v10, v38, s10
.LBB2_1601:                             ;   in Loop: Header=BB2_1030 Depth=2
	s_or_b32 exec_lo, exec_lo, s13
	s_delay_alu instid0(VALU_DEP_1) | instskip(NEXT) | instid1(VALU_DEP_1)
	v_dual_max_num_f32 v10, v10, v10 :: v_dual_max_num_f32 v11, v44, v44
	v_min_num_f32_e32 v44, v11, v10
.LBB2_1602:                             ;   in Loop: Header=BB2_1030 Depth=2
	s_delay_alu instid0(VALU_DEP_1) | instskip(SKIP_2) | instid1(VALU_DEP_2)
	v_and_b32_e32 v10, 0x7f800000, v44
	v_mov_b32_e32 v11, v39
	v_and_b32_e32 v38, 0x7fffff, v44
                                        ; implicit-def: $vgpr42
	v_cmp_ne_u64_e32 vcc_lo, 0x7f800000, v[10:11]
	v_lshrrev_b32_e32 v10, 24, v44
	s_and_saveexec_b32 s10, vcc_lo
	s_delay_alu instid0(SALU_CYCLE_1)
	s_xor_b32 s11, exec_lo, s10
	s_cbranch_execz .LBB2_1616
; %bb.1603:                             ;   in Loop: Header=BB2_1030 Depth=2
	v_and_b32_e32 v14, 0x7fffffff, v44
	v_mov_b32_e32 v15, v39
	v_and_b32_e32 v100, 0x80, v10
                                        ; implicit-def: $vgpr42
	s_mov_b32 s10, exec_lo
	s_delay_alu instid0(VALU_DEP_2)
	v_cmpx_gt_u64_e32 0x47600001, v[14:15]
	s_xor_b32 s12, exec_lo, s10
	s_cbranch_execz .LBB2_1613
; %bb.1604:                             ;   in Loop: Header=BB2_1030 Depth=2
	v_mov_b32_e32 v42, 0
	s_mov_b32 s13, exec_lo
	v_cmpx_ne_u32_e32 0, v44
	s_cbranch_execz .LBB2_1612
; %bb.1605:                             ;   in Loop: Header=BB2_1030 Depth=2
	v_bfe_u32 v101, v44, 23, 8
	v_or_b32_e32 v14, 0x800000, v38
	s_delay_alu instid0(VALU_DEP_2) | instskip(SKIP_1) | instid1(VALU_DEP_2)
	v_sub_nc_u32_e32 v10, 0x71, v101
	v_cmp_gt_u32_e32 vcc_lo, 0x72, v101
	v_cndmask_b32_e32 v10, 0, v10, vcc_lo
	v_cmp_eq_u32_e32 vcc_lo, 0, v101
	s_delay_alu instid0(VALU_DEP_2) | instskip(SKIP_1) | instid1(VALU_DEP_2)
	v_cndmask_b32_e64 v42, v10, 0x70, vcc_lo
	v_cndmask_b32_e32 v38, v14, v38, vcc_lo
	v_dual_add_nc_u32 v10, 21, v42 :: v_dual_add_nc_u32 v15, 20, v42
	s_delay_alu instid0(VALU_DEP_1) | instskip(NEXT) | instid1(VALU_DEP_2)
	v_lshlrev_b64_e64 v[10:11], v10, -1
	v_lshlrev_b64_e64 v[14:15], v15, 1
	s_delay_alu instid0(VALU_DEP_2) | instskip(NEXT) | instid1(VALU_DEP_3)
	v_bfi_b32 v45, v11, 0, 0
	v_bfi_b32 v44, v10, 0, v38
	v_lshrrev_b64 v[10:11], v42, v[38:39]
	s_delay_alu instid0(VALU_DEP_2) | instskip(NEXT) | instid1(VALU_DEP_2)
	v_cmp_eq_u64_e64 s10, v[44:45], v[14:15]
	v_mov_b64_e32 v[14:15], v[10:11]
	s_and_saveexec_b32 s14, s10
; %bb.1606:                             ;   in Loop: Header=BB2_1030 Depth=2
	v_bfe_u32 v38, v10, 21, 1
	s_delay_alu instid0(VALU_DEP_1) | instskip(NEXT) | instid1(VALU_DEP_1)
	v_add_nc_u64_e32 v[14:15], v[10:11], v[38:39]
	v_add_nc_u64_e32 v[14:15], -1, v[14:15]
; %bb.1607:                             ;   in Loop: Header=BB2_1030 Depth=2
	s_or_b32 exec_lo, exec_lo, s14
	v_add_nc_u32_e32 v11, 0xffffff81, v101
	v_lshrrev_b32_e32 v15, 23, v10
	s_mov_b32 s10, exec_lo
	s_delay_alu instid0(VALU_DEP_2) | instskip(NEXT) | instid1(VALU_DEP_1)
	v_cndmask_b32_e64 v11, v11, 0xffffff82, vcc_lo
	v_add3_u32 v15, v42, v11, v15
	v_and_b32_e32 v11, 0x1fffff, v14
                                        ; implicit-def: $vgpr14
	s_delay_alu instid0(VALU_DEP_1) | instskip(NEXT) | instid1(VALU_DEP_1)
	v_dual_add_nc_u32 v101, 14, v15 :: v_dual_add_nc_u32 v38, v11, v10
                                        ; implicit-def: $vgpr10_vgpr11
	v_cmpx_ne_u32_e32 0, v101
	s_xor_b32 s10, exec_lo, s10
; %bb.1608:                             ;   in Loop: Header=BB2_1030 Depth=2
	s_delay_alu instid0(VALU_DEP_2) | instskip(SKIP_1) | instid1(VALU_DEP_1)
	v_cmp_lt_u64_e32 vcc_lo, 0xffffff, v[38:39]
	v_add_nc_u32_e32 v10, 15, v15
	v_cndmask_b32_e32 v14, v101, v10, vcc_lo
	v_cndmask_b32_e64 v10, 0, 1, vcc_lo
	s_delay_alu instid0(VALU_DEP_1)
	v_lshrrev_b64 v[10:11], v10, v[38:39]
; %bb.1609:                             ;   in Loop: Header=BB2_1030 Depth=2
	s_and_not1_saveexec_b32 s10, s10
; %bb.1610:                             ;   in Loop: Header=BB2_1030 Depth=2
	v_mov_b64_e32 v[10:11], v[38:39]
	v_bfe_u32 v14, v38, 23, 1
; %bb.1611:                             ;   in Loop: Header=BB2_1030 Depth=2
	s_or_b32 exec_lo, exec_lo, s10
	s_delay_alu instid0(VALU_DEP_2) | instskip(NEXT) | instid1(VALU_DEP_2)
	v_lshrrev_b64 v[10:11], 21, v[10:11]
	v_cmp_gt_i32_e32 vcc_lo, 32, v14
	v_min_i32_e32 v15, 31, v14
	v_cmp_eq_u32_e64 s10, 0, v14
	s_delay_alu instid0(VALU_DEP_4) | instskip(NEXT) | instid1(VALU_DEP_3)
	v_cndmask_b32_e32 v11, 0, v11, vcc_lo
	v_dual_cndmask_b32 v10, 3, v10 :: v_dual_lshlrev_b32 v15, 2, v15
	s_delay_alu instid0(VALU_DEP_1) | instskip(NEXT) | instid1(VALU_DEP_2)
	v_and_b32_e32 v15, 0xfc, v15
	v_cmp_eq_u64_e32 vcc_lo, 0, v[10:11]
	s_delay_alu instid0(VALU_DEP_2)
	v_and_or_b32 v10, v10, 3, v15
	s_and_b32 s10, s10, vcc_lo
	s_delay_alu instid0(VALU_DEP_1) | instid1(SALU_CYCLE_1)
	v_cndmask_b32_e64 v10, v10, 0, s10
	s_delay_alu instid0(VALU_DEP_1)
	v_or_b32_e32 v42, v10, v100
.LBB2_1612:                             ;   in Loop: Header=BB2_1030 Depth=2
	s_or_b32 exec_lo, exec_lo, s13
                                        ; implicit-def: $vgpr100
.LBB2_1613:                             ;   in Loop: Header=BB2_1030 Depth=2
	s_and_not1_saveexec_b32 s10, s12
; %bb.1614:                             ;   in Loop: Header=BB2_1030 Depth=2
	v_or_b32_e32 v42, 0x7b, v100
; %bb.1615:                             ;   in Loop: Header=BB2_1030 Depth=2
	s_or_b32 exec_lo, exec_lo, s10
                                        ; implicit-def: $vgpr44
                                        ; implicit-def: $vgpr10
.LBB2_1616:                             ;   in Loop: Header=BB2_1030 Depth=2
	s_and_not1_saveexec_b32 s10, s11
	s_cbranch_execz .LBB2_1622
; %bb.1617:                             ;   in Loop: Header=BB2_1030 Depth=2
	s_mov_b32 s11, exec_lo
                                        ; implicit-def: $vgpr42
	v_cmpx_ne_u64_e32 0, v[38:39]
	s_xor_b32 s11, exec_lo, s11
; %bb.1618:                             ;   in Loop: Header=BB2_1030 Depth=2
	v_or_b32_e32 v42, 0x7f, v10
                                        ; implicit-def: $vgpr44
; %bb.1619:                             ;   in Loop: Header=BB2_1030 Depth=2
	s_and_not1_saveexec_b32 s11, s11
; %bb.1620:                             ;   in Loop: Header=BB2_1030 Depth=2
	v_cmp_lt_i32_e32 vcc_lo, -1, v44
	v_cndmask_b32_e32 v42, 0xfc, v63, vcc_lo
; %bb.1621:                             ;   in Loop: Header=BB2_1030 Depth=2
	s_or_b32 exec_lo, exec_lo, s11
.LBB2_1622:                             ;   in Loop: Header=BB2_1030 Depth=2
	s_delay_alu instid0(SALU_CYCLE_1)
	s_or_b32 exec_lo, exec_lo, s10
	v_bfe_u32 v11, v16, 24, 2
	v_lshrrev_b32_e32 v38, 24, v16
	v_cmp_lt_i32_e32 vcc_lo, -1, v16
	v_and_b32_e32 v101, 0x7c000000, v16
	v_lshrrev_b32_e32 v10, 24, v12
	v_clz_i32_u32_e32 v14, v11
	v_cmp_gt_u32_e64 s10, 0x1000000, v16
	v_cndmask_b32_e32 v46, 0xff800000, v62, vcc_lo
	v_cmp_eq_u32_e32 vcc_lo, 0, v11
	v_and_or_b32 v15, v16, s28, 0x38000000
	v_min_u32_e32 v100, 32, v14
	v_bfe_u32 v14, v16, 26, 5
	v_cmp_lt_u32_e64 s14, 0xffffff, v12
	v_cmp_eq_u32_e64 s11, 0x80, v38
	v_cmp_eq_u32_e64 s12, 0x7c000000, v101
	v_subrev_nc_u32_e32 v43, 29, v100
	v_cmp_eq_u32_e64 s13, 0, v14
	v_sub_nc_u32_e32 v100, 30, v100
	s_mov_b32 s45, -1
	v_lshlrev_b64_e32 v[44:45], v43, v[38:39]
	v_cndmask_b32_e32 v38, 0x7f800001, v46, vcc_lo
	s_and_b32 vcc_lo, exec_lo, s44
	s_delay_alu instid0(VALU_DEP_2)
	v_and_b32_e32 v101, 3, v44
                                        ; implicit-def: $vgpr44
	s_cbranch_vccz .LBB2_1634
; %bb.1623:                             ;   in Loop: Header=BB2_1030 Depth=2
	v_mov_b32_e32 v43, 0
	s_and_saveexec_b32 s45, s14
	s_cbranch_execz .LBB2_1633
; %bb.1624:                             ;   in Loop: Header=BB2_1030 Depth=2
	v_bfrev_b32_e32 v43, 1
	s_mov_b32 s46, exec_lo
	v_cmpx_ne_u32_e32 0x80, v10
	s_cbranch_execz .LBB2_1632
; %bb.1625:                             ;   in Loop: Header=BB2_1030 Depth=2
	v_and_b32_e32 v43, 0x7c000000, v12
	v_bfe_u32 v44, v12, 24, 2
	s_delay_alu instid0(VALU_DEP_2) | instskip(SKIP_1) | instid1(SALU_CYCLE_1)
	v_cmp_ne_u32_e32 vcc_lo, 0x7c000000, v43
                                        ; implicit-def: $vgpr43
	s_and_saveexec_b32 s47, vcc_lo
	s_xor_b32 s47, exec_lo, s47
	s_cbranch_execz .LBB2_1629
; %bb.1626:                             ;   in Loop: Header=BB2_1030 Depth=2
	v_bfe_u32 v43, v12, 26, 5
	s_mov_b32 s56, exec_lo
	s_delay_alu instid0(VALU_DEP_1)
	v_cmpx_eq_u32_e32 0, v43
; %bb.1627:                             ;   in Loop: Header=BB2_1030 Depth=2
	v_clz_i32_u32_e32 v43, v44
	s_delay_alu instid0(VALU_DEP_1) | instskip(NEXT) | instid1(VALU_DEP_1)
	v_min_u32_e32 v43, 32, v43
	v_subrev_nc_u32_e32 v44, 29, v43
	s_delay_alu instid0(VALU_DEP_1) | instskip(NEXT) | instid1(VALU_DEP_1)
	v_lshlrev_b64_e32 v[44:45], v44, v[10:11]
	v_dual_sub_nc_u32 v43, 30, v43 :: v_dual_bitop2_b32 v44, 3, v44 bitop3:0x40
; %bb.1628:                             ;   in Loop: Header=BB2_1030 Depth=2
	s_or_b32 exec_lo, exec_lo, s56
	v_and_b32_e32 v45, 0x80000000, v12
	s_delay_alu instid0(VALU_DEP_1) | instskip(NEXT) | instid1(VALU_DEP_1)
	v_lshl_add_u32 v43, v43, 23, v45
	v_lshl_or_b32 v43, v44, 21, v43
                                        ; implicit-def: $vgpr44
	s_delay_alu instid0(VALU_DEP_1)
	v_add_nc_u32_e32 v43, 0x38000000, v43
.LBB2_1629:                             ;   in Loop: Header=BB2_1030 Depth=2
	s_and_not1_saveexec_b32 s47, s47
; %bb.1630:                             ;   in Loop: Header=BB2_1030 Depth=2
	v_cmp_lt_i32_e32 vcc_lo, -1, v12
	v_cndmask_b32_e32 v43, 0xff800000, v62, vcc_lo
	v_cmp_eq_u32_e32 vcc_lo, 0, v44
	s_delay_alu instid0(VALU_DEP_2)
	v_cndmask_b32_e32 v43, 0x7f800001, v43, vcc_lo
; %bb.1631:                             ;   in Loop: Header=BB2_1030 Depth=2
	s_or_b32 exec_lo, exec_lo, s47
.LBB2_1632:                             ;   in Loop: Header=BB2_1030 Depth=2
	s_delay_alu instid0(SALU_CYCLE_1)
	s_or_b32 exec_lo, exec_lo, s46
.LBB2_1633:                             ;   in Loop: Header=BB2_1030 Depth=2
	s_delay_alu instid0(SALU_CYCLE_1) | instskip(SKIP_3) | instid1(VALU_DEP_2)
	s_or_b32 exec_lo, exec_lo, s45
	v_dual_cndmask_b32 v44, v14, v100, s13 :: v_dual_cndmask_b32 v45, v11, v101, s13
	s_mov_b32 s45, 0
	v_max_num_f32_e32 v43, v43, v43
	v_lshl_add_u32 v44, v44, 23, v15
	s_delay_alu instid0(VALU_DEP_1) | instskip(NEXT) | instid1(VALU_DEP_1)
	v_lshl_or_b32 v44, v45, 21, v44
	v_cndmask_b32_e64 v44, v44, v38, s12
	s_delay_alu instid0(VALU_DEP_1) | instskip(NEXT) | instid1(VALU_DEP_1)
	v_cndmask_b32_e64 v44, v44, 0x80000000, s11
	v_cndmask_b32_e64 v44, v44, 0, s10
	s_delay_alu instid0(VALU_DEP_1) | instskip(NEXT) | instid1(VALU_DEP_1)
	v_max_num_f32_e32 v44, v44, v44
	v_max_num_f32_e32 v44, v43, v44
.LBB2_1634:                             ;   in Loop: Header=BB2_1030 Depth=2
	s_and_b32 vcc_lo, exec_lo, s45
	s_cbranch_vccz .LBB2_1646
; %bb.1635:                             ;   in Loop: Header=BB2_1030 Depth=2
	v_mov_b32_e32 v43, 0
	s_and_saveexec_b32 s45, s14
	s_cbranch_execz .LBB2_1645
; %bb.1636:                             ;   in Loop: Header=BB2_1030 Depth=2
	v_bfrev_b32_e32 v43, 1
	s_mov_b32 s14, exec_lo
	v_cmpx_ne_u32_e32 0x80, v10
	s_cbranch_execz .LBB2_1644
; %bb.1637:                             ;   in Loop: Header=BB2_1030 Depth=2
	v_and_b32_e32 v43, 0x7c000000, v12
	v_bfe_u32 v44, v12, 24, 2
	s_delay_alu instid0(VALU_DEP_2) | instskip(SKIP_1) | instid1(SALU_CYCLE_1)
	v_cmp_ne_u32_e32 vcc_lo, 0x7c000000, v43
                                        ; implicit-def: $vgpr43
	s_and_saveexec_b32 s46, vcc_lo
	s_xor_b32 s46, exec_lo, s46
	s_cbranch_execz .LBB2_1641
; %bb.1638:                             ;   in Loop: Header=BB2_1030 Depth=2
	v_bfe_u32 v43, v12, 26, 5
	s_mov_b32 s47, exec_lo
	s_delay_alu instid0(VALU_DEP_1)
	v_cmpx_eq_u32_e32 0, v43
; %bb.1639:                             ;   in Loop: Header=BB2_1030 Depth=2
	v_clz_i32_u32_e32 v43, v44
	s_delay_alu instid0(VALU_DEP_1) | instskip(NEXT) | instid1(VALU_DEP_1)
	v_min_u32_e32 v43, 32, v43
	v_subrev_nc_u32_e32 v44, 29, v43
	s_delay_alu instid0(VALU_DEP_1) | instskip(NEXT) | instid1(VALU_DEP_1)
	v_lshlrev_b64_e32 v[44:45], v44, v[10:11]
	v_dual_sub_nc_u32 v43, 30, v43 :: v_dual_bitop2_b32 v44, 3, v44 bitop3:0x40
; %bb.1640:                             ;   in Loop: Header=BB2_1030 Depth=2
	s_or_b32 exec_lo, exec_lo, s47
	v_and_b32_e32 v10, 0x80000000, v12
	s_delay_alu instid0(VALU_DEP_1) | instskip(NEXT) | instid1(VALU_DEP_1)
	v_lshl_add_u32 v10, v43, 23, v10
	v_lshl_or_b32 v10, v44, 21, v10
                                        ; implicit-def: $vgpr44
	s_delay_alu instid0(VALU_DEP_1)
	v_add_nc_u32_e32 v43, 0x38000000, v10
.LBB2_1641:                             ;   in Loop: Header=BB2_1030 Depth=2
	s_and_not1_saveexec_b32 s46, s46
; %bb.1642:                             ;   in Loop: Header=BB2_1030 Depth=2
	v_cmp_lt_i32_e32 vcc_lo, -1, v12
	v_cndmask_b32_e32 v10, 0xff800000, v62, vcc_lo
	v_cmp_eq_u32_e32 vcc_lo, 0, v44
	s_delay_alu instid0(VALU_DEP_2)
	v_cndmask_b32_e32 v43, 0x7f800001, v10, vcc_lo
; %bb.1643:                             ;   in Loop: Header=BB2_1030 Depth=2
	s_or_b32 exec_lo, exec_lo, s46
.LBB2_1644:                             ;   in Loop: Header=BB2_1030 Depth=2
	s_delay_alu instid0(SALU_CYCLE_1)
	s_or_b32 exec_lo, exec_lo, s14
.LBB2_1645:                             ;   in Loop: Header=BB2_1030 Depth=2
	s_delay_alu instid0(SALU_CYCLE_1) | instskip(SKIP_1) | instid1(VALU_DEP_1)
	s_or_b32 exec_lo, exec_lo, s45
	v_dual_cndmask_b32 v10, v14, v100, s13 :: v_dual_cndmask_b32 v11, v11, v101, s13
	v_lshl_add_u32 v10, v10, 23, v15
	s_delay_alu instid0(VALU_DEP_1) | instskip(NEXT) | instid1(VALU_DEP_1)
	v_lshl_or_b32 v10, v11, 21, v10
	v_dual_max_num_f32 v11, v43, v43 :: v_dual_cndmask_b32 v10, v10, v38, s12
	s_delay_alu instid0(VALU_DEP_1) | instskip(NEXT) | instid1(VALU_DEP_1)
	v_cndmask_b32_e64 v10, v10, 0x80000000, s11
	v_cndmask_b32_e64 v10, v10, 0, s10
	s_delay_alu instid0(VALU_DEP_1) | instskip(NEXT) | instid1(VALU_DEP_1)
	v_max_num_f32_e32 v10, v10, v10
	v_min_num_f32_e32 v44, v11, v10
.LBB2_1646:                             ;   in Loop: Header=BB2_1030 Depth=2
	s_delay_alu instid0(VALU_DEP_1) | instskip(SKIP_2) | instid1(VALU_DEP_2)
	v_and_b32_e32 v10, 0x7f800000, v44
	v_mov_b32_e32 v11, v39
	v_and_b32_e32 v38, 0x7fffff, v44
                                        ; implicit-def: $vgpr43
	v_cmp_ne_u64_e32 vcc_lo, 0x7f800000, v[10:11]
	v_lshrrev_b32_e32 v10, 24, v44
	s_and_saveexec_b32 s10, vcc_lo
	s_delay_alu instid0(SALU_CYCLE_1)
	s_xor_b32 s11, exec_lo, s10
	s_cbranch_execz .LBB2_1660
; %bb.1647:                             ;   in Loop: Header=BB2_1030 Depth=2
	v_and_b32_e32 v14, 0x7fffffff, v44
	v_mov_b32_e32 v15, v39
	v_and_b32_e32 v100, 0x80, v10
                                        ; implicit-def: $vgpr43
	s_mov_b32 s10, exec_lo
	s_delay_alu instid0(VALU_DEP_2)
	v_cmpx_gt_u64_e32 0x47600001, v[14:15]
	s_xor_b32 s12, exec_lo, s10
	s_cbranch_execz .LBB2_1657
; %bb.1648:                             ;   in Loop: Header=BB2_1030 Depth=2
	v_mov_b32_e32 v43, 0
	s_mov_b32 s13, exec_lo
	v_cmpx_ne_u32_e32 0, v44
	s_cbranch_execz .LBB2_1656
; %bb.1649:                             ;   in Loop: Header=BB2_1030 Depth=2
	v_bfe_u32 v101, v44, 23, 8
	v_or_b32_e32 v14, 0x800000, v38
	s_delay_alu instid0(VALU_DEP_2) | instskip(SKIP_1) | instid1(VALU_DEP_2)
	v_sub_nc_u32_e32 v10, 0x71, v101
	v_cmp_gt_u32_e32 vcc_lo, 0x72, v101
	v_cndmask_b32_e32 v10, 0, v10, vcc_lo
	v_cmp_eq_u32_e32 vcc_lo, 0, v101
	s_delay_alu instid0(VALU_DEP_2) | instskip(NEXT) | instid1(VALU_DEP_1)
	v_cndmask_b32_e64 v43, v10, 0x70, vcc_lo
	v_dual_cndmask_b32 v38, v14, v38, vcc_lo :: v_dual_add_nc_u32 v10, 21, v43
	v_add_nc_u32_e32 v15, 20, v43
	s_delay_alu instid0(VALU_DEP_2) | instskip(NEXT) | instid1(VALU_DEP_2)
	v_lshlrev_b64_e64 v[10:11], v10, -1
	v_lshlrev_b64_e64 v[14:15], v15, 1
	s_delay_alu instid0(VALU_DEP_2) | instskip(NEXT) | instid1(VALU_DEP_3)
	v_bfi_b32 v45, v11, 0, 0
	v_bfi_b32 v44, v10, 0, v38
	v_lshrrev_b64 v[10:11], v43, v[38:39]
	s_delay_alu instid0(VALU_DEP_2) | instskip(NEXT) | instid1(VALU_DEP_2)
	v_cmp_eq_u64_e64 s10, v[44:45], v[14:15]
	v_mov_b64_e32 v[14:15], v[10:11]
	s_and_saveexec_b32 s14, s10
; %bb.1650:                             ;   in Loop: Header=BB2_1030 Depth=2
	v_bfe_u32 v38, v10, 21, 1
	s_delay_alu instid0(VALU_DEP_1) | instskip(NEXT) | instid1(VALU_DEP_1)
	v_add_nc_u64_e32 v[14:15], v[10:11], v[38:39]
	v_add_nc_u64_e32 v[14:15], -1, v[14:15]
; %bb.1651:                             ;   in Loop: Header=BB2_1030 Depth=2
	s_or_b32 exec_lo, exec_lo, s14
	v_add_nc_u32_e32 v11, 0xffffff81, v101
	v_lshrrev_b32_e32 v15, 23, v10
	s_mov_b32 s10, exec_lo
	s_delay_alu instid0(VALU_DEP_2) | instskip(NEXT) | instid1(VALU_DEP_1)
	v_cndmask_b32_e64 v11, v11, 0xffffff82, vcc_lo
	v_add3_u32 v15, v43, v11, v15
	v_and_b32_e32 v11, 0x1fffff, v14
                                        ; implicit-def: $vgpr14
	s_delay_alu instid0(VALU_DEP_1) | instskip(NEXT) | instid1(VALU_DEP_1)
	v_dual_add_nc_u32 v101, 14, v15 :: v_dual_add_nc_u32 v38, v11, v10
                                        ; implicit-def: $vgpr10_vgpr11
	v_cmpx_ne_u32_e32 0, v101
	s_xor_b32 s10, exec_lo, s10
; %bb.1652:                             ;   in Loop: Header=BB2_1030 Depth=2
	s_delay_alu instid0(VALU_DEP_2) | instskip(SKIP_1) | instid1(VALU_DEP_1)
	v_cmp_lt_u64_e32 vcc_lo, 0xffffff, v[38:39]
	v_add_nc_u32_e32 v10, 15, v15
	v_cndmask_b32_e32 v14, v101, v10, vcc_lo
	v_cndmask_b32_e64 v10, 0, 1, vcc_lo
	s_delay_alu instid0(VALU_DEP_1)
	v_lshrrev_b64 v[10:11], v10, v[38:39]
; %bb.1653:                             ;   in Loop: Header=BB2_1030 Depth=2
	s_and_not1_saveexec_b32 s10, s10
; %bb.1654:                             ;   in Loop: Header=BB2_1030 Depth=2
	v_mov_b64_e32 v[10:11], v[38:39]
	v_bfe_u32 v14, v38, 23, 1
; %bb.1655:                             ;   in Loop: Header=BB2_1030 Depth=2
	s_or_b32 exec_lo, exec_lo, s10
	s_delay_alu instid0(VALU_DEP_2) | instskip(NEXT) | instid1(VALU_DEP_2)
	v_lshrrev_b64 v[10:11], 21, v[10:11]
	v_cmp_gt_i32_e32 vcc_lo, 32, v14
	v_min_i32_e32 v15, 31, v14
	v_cmp_eq_u32_e64 s10, 0, v14
	s_delay_alu instid0(VALU_DEP_4) | instskip(NEXT) | instid1(VALU_DEP_3)
	v_cndmask_b32_e32 v11, 0, v11, vcc_lo
	v_dual_cndmask_b32 v10, 3, v10 :: v_dual_lshlrev_b32 v15, 2, v15
	s_delay_alu instid0(VALU_DEP_1) | instskip(NEXT) | instid1(VALU_DEP_2)
	v_and_b32_e32 v15, 0xfc, v15
	v_cmp_eq_u64_e32 vcc_lo, 0, v[10:11]
	s_delay_alu instid0(VALU_DEP_2)
	v_and_or_b32 v10, v10, 3, v15
	s_and_b32 s10, s10, vcc_lo
	s_delay_alu instid0(VALU_DEP_1) | instid1(SALU_CYCLE_1)
	v_cndmask_b32_e64 v10, v10, 0, s10
	s_delay_alu instid0(VALU_DEP_1)
	v_or_b32_e32 v43, v10, v100
.LBB2_1656:                             ;   in Loop: Header=BB2_1030 Depth=2
	s_or_b32 exec_lo, exec_lo, s13
                                        ; implicit-def: $vgpr100
.LBB2_1657:                             ;   in Loop: Header=BB2_1030 Depth=2
	s_and_not1_saveexec_b32 s10, s12
; %bb.1658:                             ;   in Loop: Header=BB2_1030 Depth=2
	v_or_b32_e32 v43, 0x7b, v100
; %bb.1659:                             ;   in Loop: Header=BB2_1030 Depth=2
	s_or_b32 exec_lo, exec_lo, s10
                                        ; implicit-def: $vgpr44
                                        ; implicit-def: $vgpr10
.LBB2_1660:                             ;   in Loop: Header=BB2_1030 Depth=2
	s_and_not1_saveexec_b32 s10, s11
	s_cbranch_execz .LBB2_1666
; %bb.1661:                             ;   in Loop: Header=BB2_1030 Depth=2
	s_mov_b32 s11, exec_lo
                                        ; implicit-def: $vgpr43
	v_cmpx_ne_u64_e32 0, v[38:39]
	s_xor_b32 s11, exec_lo, s11
; %bb.1662:                             ;   in Loop: Header=BB2_1030 Depth=2
	v_or_b32_e32 v43, 0x7f, v10
                                        ; implicit-def: $vgpr44
; %bb.1663:                             ;   in Loop: Header=BB2_1030 Depth=2
	s_and_not1_saveexec_b32 s11, s11
; %bb.1664:                             ;   in Loop: Header=BB2_1030 Depth=2
	v_cmp_lt_i32_e32 vcc_lo, -1, v44
	v_cndmask_b32_e32 v43, 0xfc, v63, vcc_lo
; %bb.1665:                             ;   in Loop: Header=BB2_1030 Depth=2
	s_or_b32 exec_lo, exec_lo, s11
.LBB2_1666:                             ;   in Loop: Header=BB2_1030 Depth=2
	s_delay_alu instid0(SALU_CYCLE_1) | instskip(SKIP_3) | instid1(VALU_DEP_3)
	s_or_b32 exec_lo, exec_lo, s10
	v_dual_mov_b32 v38, v13 :: v_dual_bitop2_b32 v14, 3, v17 bitop3:0x40
	v_bfe_i32 v45, v17, 0, 8
	v_dual_mov_b32 v10, v17 :: v_dual_mov_b32 v11, v39
	v_clz_i32_u32_e32 v15, v14
	v_and_b32_e32 v100, 0x7c, v17
	s_delay_alu instid0(VALU_DEP_4)
	v_cmp_lt_i16_e32 vcc_lo, -1, v45
	v_lshlrev_b32_e32 v44, 24, v17
	v_and_b32_e32 v46, 0xff, v13
	v_min_u32_e32 v101, 32, v15
	v_bfe_u32 v15, v17, 2, 5
	v_cmp_eq_u32_e64 s10, 0x7c, v100
	v_cndmask_b32_e32 v100, 0xff800000, v62, vcc_lo
	v_cmp_eq_u32_e32 vcc_lo, 0, v14
	v_subrev_nc_u32_e32 v47, 29, v101
	v_cmp_eq_u32_e64 s11, 0, v15
	v_cmp_ne_u16_e64 s12, 0, v46
	v_dual_cndmask_b32 v100, 0x7f800001, v100 :: v_dual_sub_nc_u32 v101, 30, v101
	s_delay_alu instid0(VALU_DEP_4) | instskip(SKIP_3) | instid1(VALU_DEP_2)
	v_lshlrev_b64_e32 v[74:75], v47, v[10:11]
	v_and_or_b32 v11, v44, s28, 0x38000000
	s_and_b32 vcc_lo, exec_lo, s44
	s_mov_b32 s13, -1
                                        ; implicit-def: $vgpr47
	v_and_b32_e32 v44, 3, v74
	s_cbranch_vccz .LBB2_1684
; %bb.1667:                             ;   in Loop: Header=BB2_1030 Depth=2
	v_mov_b32_e32 v47, 0
	s_and_saveexec_b32 s13, s12
	s_cbranch_execz .LBB2_1677
; %bb.1668:                             ;   in Loop: Header=BB2_1030 Depth=2
	v_bfrev_b32_e32 v47, 1
	s_mov_b32 s14, exec_lo
	v_cmpx_ne_u16_e32 0x80, v46
	s_cbranch_execz .LBB2_1676
; %bb.1669:                             ;   in Loop: Header=BB2_1030 Depth=2
	v_and_b32_e32 v47, 0x7c, v13
	v_and_b32_e32 v73, 3, v13
	s_delay_alu instid0(VALU_DEP_2) | instskip(SKIP_1) | instid1(SALU_CYCLE_1)
	v_cmp_ne_u32_e32 vcc_lo, 0x7c, v47
                                        ; implicit-def: $vgpr47
	s_and_saveexec_b32 s45, vcc_lo
	s_xor_b32 s45, exec_lo, s45
	s_cbranch_execz .LBB2_1673
; %bb.1670:                             ;   in Loop: Header=BB2_1030 Depth=2
	v_bfe_u32 v47, v13, 2, 5
	s_mov_b32 s46, exec_lo
	s_delay_alu instid0(VALU_DEP_1)
	v_cmpx_eq_u32_e32 0, v47
; %bb.1671:                             ;   in Loop: Header=BB2_1030 Depth=2
	v_clz_i32_u32_e32 v47, v73
	s_delay_alu instid0(VALU_DEP_1) | instskip(NEXT) | instid1(VALU_DEP_1)
	v_min_u32_e32 v47, 32, v47
	v_subrev_nc_u32_e32 v73, 29, v47
	s_delay_alu instid0(VALU_DEP_1) | instskip(NEXT) | instid1(VALU_DEP_1)
	v_lshlrev_b64_e32 v[74:75], v73, v[38:39]
	v_dual_sub_nc_u32 v47, 30, v47 :: v_dual_bitop2_b32 v73, 3, v74 bitop3:0x40
; %bb.1672:                             ;   in Loop: Header=BB2_1030 Depth=2
	s_or_b32 exec_lo, exec_lo, s46
	v_lshlrev_b32_e32 v74, 24, v13
	s_delay_alu instid0(VALU_DEP_1) | instskip(NEXT) | instid1(VALU_DEP_1)
	v_and_b32_e32 v74, 0x80000000, v74
	v_lshl_add_u32 v47, v47, 23, v74
	s_delay_alu instid0(VALU_DEP_1) | instskip(NEXT) | instid1(VALU_DEP_1)
	v_lshl_or_b32 v47, v73, 21, v47
                                        ; implicit-def: $vgpr73
	v_add_nc_u32_e32 v47, 0x38000000, v47
.LBB2_1673:                             ;   in Loop: Header=BB2_1030 Depth=2
	s_and_not1_saveexec_b32 s45, s45
; %bb.1674:                             ;   in Loop: Header=BB2_1030 Depth=2
	v_bfe_i32 v47, v13, 0, 8
	s_delay_alu instid0(VALU_DEP_1) | instskip(SKIP_2) | instid1(VALU_DEP_2)
	v_cmp_lt_i16_e32 vcc_lo, -1, v47
	v_cndmask_b32_e32 v47, 0xff800000, v62, vcc_lo
	v_cmp_eq_u32_e32 vcc_lo, 0, v73
	v_cndmask_b32_e32 v47, 0x7f800001, v47, vcc_lo
; %bb.1675:                             ;   in Loop: Header=BB2_1030 Depth=2
	s_or_b32 exec_lo, exec_lo, s45
.LBB2_1676:                             ;   in Loop: Header=BB2_1030 Depth=2
	s_delay_alu instid0(SALU_CYCLE_1)
	s_or_b32 exec_lo, exec_lo, s14
.LBB2_1677:                             ;   in Loop: Header=BB2_1030 Depth=2
	s_delay_alu instid0(SALU_CYCLE_1) | instskip(SKIP_3) | instid1(VALU_DEP_1)
	s_or_b32 exec_lo, exec_lo, s13
	v_and_b32_e32 v74, 0xff, v45
	s_mov_b32 s13, 0
	s_mov_b32 s14, exec_lo
	v_cmpx_lt_i16_e32 0x7f, v74
	s_xor_b32 s14, exec_lo, s14
	s_cbranch_execz .LBB2_1913
; %bb.1678:                             ;   in Loop: Header=BB2_1030 Depth=2
	s_mov_b32 s13, -1
	s_mov_b32 s45, exec_lo
	v_cmpx_eq_u16_e32 0x80, v74
; %bb.1679:                             ;   in Loop: Header=BB2_1030 Depth=2
	s_xor_b32 s13, exec_lo, -1
; %bb.1680:                             ;   in Loop: Header=BB2_1030 Depth=2
	s_or_b32 exec_lo, exec_lo, s45
	s_delay_alu instid0(SALU_CYCLE_1)
	s_and_b32 s13, s13, exec_lo
                                        ; implicit-def: $vgpr74
	s_or_saveexec_b32 s14, s14
	v_bfrev_b32_e32 v73, 1
	s_xor_b32 exec_lo, exec_lo, s14
	s_cbranch_execnz .LBB2_1914
.LBB2_1681:                             ;   in Loop: Header=BB2_1030 Depth=2
	s_or_b32 exec_lo, exec_lo, s14
	s_and_saveexec_b32 s14, s13
.LBB2_1682:                             ;   in Loop: Header=BB2_1030 Depth=2
	v_dual_cndmask_b32 v73, v15, v101, s11 :: v_dual_cndmask_b32 v74, v14, v44, s11
	s_delay_alu instid0(VALU_DEP_1) | instskip(NEXT) | instid1(VALU_DEP_1)
	v_lshl_add_u32 v73, v73, 23, v11
	v_lshl_or_b32 v73, v74, 21, v73
	s_delay_alu instid0(VALU_DEP_1)
	v_cndmask_b32_e64 v73, v73, v100, s10
.LBB2_1683:                             ;   in Loop: Header=BB2_1030 Depth=2
	s_or_b32 exec_lo, exec_lo, s14
	s_delay_alu instid0(VALU_DEP_1) | instskip(SKIP_1) | instid1(VALU_DEP_1)
	v_dual_max_num_f32 v73, v73, v73 :: v_dual_max_num_f32 v47, v47, v47
	s_mov_b32 s13, 0
	v_max_num_f32_e32 v47, v47, v73
.LBB2_1684:                             ;   in Loop: Header=BB2_1030 Depth=2
	s_and_b32 vcc_lo, exec_lo, s13
	s_cbranch_vccz .LBB2_1702
; %bb.1685:                             ;   in Loop: Header=BB2_1030 Depth=2
	v_mov_b32_e32 v47, 0
	s_and_saveexec_b32 s13, s12
	s_cbranch_execz .LBB2_1695
; %bb.1686:                             ;   in Loop: Header=BB2_1030 Depth=2
	v_bfrev_b32_e32 v47, 1
	s_mov_b32 s12, exec_lo
	v_cmpx_ne_u16_e32 0x80, v46
	s_cbranch_execz .LBB2_1694
; %bb.1687:                             ;   in Loop: Header=BB2_1030 Depth=2
	v_and_b32_e32 v47, 0x7c, v13
	v_and_b32_e32 v46, 3, v13
	s_delay_alu instid0(VALU_DEP_2) | instskip(SKIP_1) | instid1(SALU_CYCLE_1)
	v_cmp_ne_u32_e32 vcc_lo, 0x7c, v47
                                        ; implicit-def: $vgpr47
	s_and_saveexec_b32 s14, vcc_lo
	s_xor_b32 s14, exec_lo, s14
	s_cbranch_execz .LBB2_1691
; %bb.1688:                             ;   in Loop: Header=BB2_1030 Depth=2
	v_bfe_u32 v47, v13, 2, 5
	s_mov_b32 s45, exec_lo
	s_delay_alu instid0(VALU_DEP_1)
	v_cmpx_eq_u32_e32 0, v47
; %bb.1689:                             ;   in Loop: Header=BB2_1030 Depth=2
	v_clz_i32_u32_e32 v46, v46
	s_delay_alu instid0(VALU_DEP_1) | instskip(NEXT) | instid1(VALU_DEP_1)
	v_min_u32_e32 v73, 32, v46
	v_subrev_nc_u32_e32 v46, 29, v73
	s_delay_alu instid0(VALU_DEP_1) | instskip(NEXT) | instid1(VALU_DEP_1)
	v_lshlrev_b64_e32 v[46:47], v46, v[38:39]
	v_dual_sub_nc_u32 v47, 30, v73 :: v_dual_bitop2_b32 v46, 3, v46 bitop3:0x40
; %bb.1690:                             ;   in Loop: Header=BB2_1030 Depth=2
	s_or_b32 exec_lo, exec_lo, s45
	v_lshlrev_b32_e32 v73, 24, v13
	s_delay_alu instid0(VALU_DEP_1) | instskip(NEXT) | instid1(VALU_DEP_1)
	v_and_b32_e32 v73, 0x80000000, v73
	v_lshl_add_u32 v47, v47, 23, v73
	s_delay_alu instid0(VALU_DEP_1) | instskip(NEXT) | instid1(VALU_DEP_1)
	v_lshl_or_b32 v46, v46, 21, v47
	v_add_nc_u32_e32 v47, 0x38000000, v46
                                        ; implicit-def: $vgpr46
.LBB2_1691:                             ;   in Loop: Header=BB2_1030 Depth=2
	s_and_not1_saveexec_b32 s14, s14
; %bb.1692:                             ;   in Loop: Header=BB2_1030 Depth=2
	v_bfe_i32 v47, v13, 0, 8
	s_delay_alu instid0(VALU_DEP_1) | instskip(SKIP_2) | instid1(VALU_DEP_2)
	v_cmp_lt_i16_e32 vcc_lo, -1, v47
	v_cndmask_b32_e32 v47, 0xff800000, v62, vcc_lo
	v_cmp_eq_u32_e32 vcc_lo, 0, v46
	v_cndmask_b32_e32 v47, 0x7f800001, v47, vcc_lo
; %bb.1693:                             ;   in Loop: Header=BB2_1030 Depth=2
	s_or_b32 exec_lo, exec_lo, s14
.LBB2_1694:                             ;   in Loop: Header=BB2_1030 Depth=2
	s_delay_alu instid0(SALU_CYCLE_1)
	s_or_b32 exec_lo, exec_lo, s12
.LBB2_1695:                             ;   in Loop: Header=BB2_1030 Depth=2
	s_delay_alu instid0(SALU_CYCLE_1) | instskip(SKIP_3) | instid1(VALU_DEP_1)
	s_or_b32 exec_lo, exec_lo, s13
	v_and_b32_e32 v46, 0xff, v45
	s_mov_b32 s12, 0
	s_mov_b32 s13, exec_lo
	v_cmpx_lt_i16_e32 0x7f, v46
	s_xor_b32 s13, exec_lo, s13
	s_cbranch_execz .LBB2_1915
; %bb.1696:                             ;   in Loop: Header=BB2_1030 Depth=2
	s_mov_b32 s12, -1
	s_mov_b32 s14, exec_lo
	v_cmpx_eq_u16_e32 0x80, v46
; %bb.1697:                             ;   in Loop: Header=BB2_1030 Depth=2
	s_xor_b32 s12, exec_lo, -1
; %bb.1698:                             ;   in Loop: Header=BB2_1030 Depth=2
	s_or_b32 exec_lo, exec_lo, s14
	s_delay_alu instid0(SALU_CYCLE_1)
	s_and_b32 s12, s12, exec_lo
                                        ; implicit-def: $vgpr46
	s_or_saveexec_b32 s13, s13
	v_bfrev_b32_e32 v45, 1
	s_xor_b32 exec_lo, exec_lo, s13
	s_cbranch_execnz .LBB2_1916
.LBB2_1699:                             ;   in Loop: Header=BB2_1030 Depth=2
	s_or_b32 exec_lo, exec_lo, s13
	s_and_saveexec_b32 s13, s12
.LBB2_1700:                             ;   in Loop: Header=BB2_1030 Depth=2
	v_dual_cndmask_b32 v15, v15, v101, s11 :: v_dual_cndmask_b32 v14, v14, v44, s11
	s_delay_alu instid0(VALU_DEP_1) | instskip(NEXT) | instid1(VALU_DEP_1)
	v_lshl_add_u32 v11, v15, 23, v11
	v_lshl_or_b32 v11, v14, 21, v11
	s_delay_alu instid0(VALU_DEP_1)
	v_cndmask_b32_e64 v45, v11, v100, s10
.LBB2_1701:                             ;   in Loop: Header=BB2_1030 Depth=2
	s_or_b32 exec_lo, exec_lo, s13
	s_delay_alu instid0(VALU_DEP_1) | instskip(NEXT) | instid1(VALU_DEP_1)
	v_dual_max_num_f32 v11, v45, v45 :: v_dual_max_num_f32 v14, v47, v47
	v_min_num_f32_e32 v47, v14, v11
.LBB2_1702:                             ;   in Loop: Header=BB2_1030 Depth=2
	s_delay_alu instid0(VALU_DEP_1) | instskip(SKIP_4) | instid1(VALU_DEP_3)
	v_and_b32_e32 v100, 0x7f800000, v47
	v_dual_mov_b32 v101, v39 :: v_dual_mov_b32 v15, v39
	v_and_b32_e32 v14, 0x7fffff, v47
	v_lshrrev_b32_e32 v11, 24, v47
                                        ; implicit-def: $vgpr44
	s_mov_b32 s10, exec_lo
	v_cmpx_ne_u64_e32 0x7f800000, v[100:101]
	s_xor_b32 s11, exec_lo, s10
	s_cbranch_execz .LBB2_1716
; %bb.1703:                             ;   in Loop: Header=BB2_1030 Depth=2
	v_and_b32_e32 v100, 0x7fffffff, v47
	v_mov_b32_e32 v101, v39
	v_and_b32_e32 v11, 0x80, v11
                                        ; implicit-def: $vgpr44
	s_mov_b32 s10, exec_lo
	s_delay_alu instid0(VALU_DEP_2)
	v_cmpx_gt_u64_e32 0x47600001, v[100:101]
	s_xor_b32 s12, exec_lo, s10
	s_cbranch_execz .LBB2_1713
; %bb.1704:                             ;   in Loop: Header=BB2_1030 Depth=2
	v_mov_b32_e32 v44, 0
	s_mov_b32 s13, exec_lo
	v_cmpx_ne_u32_e32 0, v47
	s_cbranch_execz .LBB2_1712
; %bb.1705:                             ;   in Loop: Header=BB2_1030 Depth=2
	v_bfe_u32 v44, v47, 23, 8
	v_or_b32_e32 v46, 0x800000, v14
	s_delay_alu instid0(VALU_DEP_2) | instskip(SKIP_1) | instid1(VALU_DEP_2)
	v_sub_nc_u32_e32 v100, 0x71, v44
	v_cmp_gt_u32_e32 vcc_lo, 0x72, v44
	v_cndmask_b32_e32 v100, 0, v100, vcc_lo
	v_cmp_eq_u32_e32 vcc_lo, 0, v44
	s_delay_alu instid0(VALU_DEP_2) | instskip(NEXT) | instid1(VALU_DEP_1)
	v_cndmask_b32_e64 v45, v100, 0x70, vcc_lo
	v_dual_cndmask_b32 v14, v46, v14, vcc_lo :: v_dual_add_nc_u32 v100, 21, v45
	v_add_nc_u32_e32 v47, 20, v45
	s_delay_alu instid0(VALU_DEP_2) | instskip(NEXT) | instid1(VALU_DEP_2)
	v_lshlrev_b64_e64 v[100:101], v100, -1
	v_lshlrev_b64_e64 v[46:47], v47, 1
	s_delay_alu instid0(VALU_DEP_2) | instskip(SKIP_1) | instid1(VALU_DEP_4)
	v_bfi_b32 v100, v100, 0, v14
	v_lshrrev_b64 v[14:15], v45, v[14:15]
	v_bfi_b32 v101, v101, 0, 0
	s_delay_alu instid0(VALU_DEP_1) | instskip(NEXT) | instid1(VALU_DEP_3)
	v_cmp_eq_u64_e64 s10, v[100:101], v[46:47]
	v_mov_b64_e32 v[100:101], v[14:15]
	s_and_saveexec_b32 s14, s10
; %bb.1706:                             ;   in Loop: Header=BB2_1030 Depth=2
	v_bfe_u32 v100, v14, 21, 1
	v_mov_b32_e32 v101, v39
	s_delay_alu instid0(VALU_DEP_1) | instskip(NEXT) | instid1(VALU_DEP_1)
	v_add_nc_u64_e32 v[100:101], v[14:15], v[100:101]
	v_add_nc_u64_e32 v[100:101], -1, v[100:101]
; %bb.1707:                             ;   in Loop: Header=BB2_1030 Depth=2
	s_or_b32 exec_lo, exec_lo, s14
	v_add_nc_u32_e32 v15, 0xffffff81, v44
	v_lshrrev_b32_e32 v101, 23, v14
	s_mov_b32 s10, exec_lo
	s_delay_alu instid0(VALU_DEP_2) | instskip(NEXT) | instid1(VALU_DEP_1)
	v_cndmask_b32_e64 v15, v15, 0xffffff82, vcc_lo
	v_add3_u32 v101, v45, v15, v101
	v_and_b32_e32 v15, 0x1fffff, v100
                                        ; implicit-def: $vgpr100
	s_delay_alu instid0(VALU_DEP_1) | instskip(SKIP_1) | instid1(VALU_DEP_2)
	v_dual_add_nc_u32 v44, 14, v101 :: v_dual_add_nc_u32 v14, v15, v14
	v_mov_b32_e32 v15, v39
	v_cmpx_ne_u32_e32 0, v44
	s_xor_b32 s10, exec_lo, s10
; %bb.1708:                             ;   in Loop: Header=BB2_1030 Depth=2
	s_delay_alu instid0(VALU_DEP_2) | instskip(SKIP_2) | instid1(VALU_DEP_2)
	v_cmp_lt_u64_e32 vcc_lo, 0xffffff, v[14:15]
	v_add_nc_u32_e32 v100, 15, v101
	v_cndmask_b32_e64 v101, 0, 1, vcc_lo
	v_cndmask_b32_e32 v100, v44, v100, vcc_lo
	s_delay_alu instid0(VALU_DEP_2)
	v_lshrrev_b64 v[14:15], v101, v[14:15]
; %bb.1709:                             ;   in Loop: Header=BB2_1030 Depth=2
	s_and_not1_saveexec_b32 s10, s10
; %bb.1710:                             ;   in Loop: Header=BB2_1030 Depth=2
	s_delay_alu instid0(VALU_DEP_1)
	v_bfe_u32 v100, v14, 23, 1
; %bb.1711:                             ;   in Loop: Header=BB2_1030 Depth=2
	s_or_b32 exec_lo, exec_lo, s10
	s_delay_alu instid0(VALU_DEP_2) | instskip(NEXT) | instid1(VALU_DEP_2)
	v_lshrrev_b64 v[14:15], 21, v[14:15]
	v_cmp_gt_i32_e32 vcc_lo, 32, v100
	v_min_i32_e32 v101, 31, v100
	v_cmp_eq_u32_e64 s10, 0, v100
	s_delay_alu instid0(VALU_DEP_2) | instskip(SKIP_1) | instid1(VALU_DEP_2)
	v_dual_cndmask_b32 v15, 0, v15, vcc_lo :: v_dual_lshlrev_b32 v101, 2, v101
	v_cndmask_b32_e32 v14, 3, v14, vcc_lo
	v_and_b32_e32 v101, 0xfc, v101
	s_delay_alu instid0(VALU_DEP_2) | instskip(NEXT) | instid1(VALU_DEP_2)
	v_cmp_eq_u64_e32 vcc_lo, 0, v[14:15]
	v_and_or_b32 v14, v14, 3, v101
	s_and_b32 s10, s10, vcc_lo
	s_delay_alu instid0(VALU_DEP_1) | instid1(SALU_CYCLE_1)
	v_cndmask_b32_e64 v14, v14, 0, s10
	s_delay_alu instid0(VALU_DEP_1)
	v_or_b32_e32 v44, v14, v11
.LBB2_1712:                             ;   in Loop: Header=BB2_1030 Depth=2
	s_or_b32 exec_lo, exec_lo, s13
                                        ; implicit-def: $vgpr11
.LBB2_1713:                             ;   in Loop: Header=BB2_1030 Depth=2
	s_and_not1_saveexec_b32 s10, s12
; %bb.1714:                             ;   in Loop: Header=BB2_1030 Depth=2
	v_or_b32_e32 v44, 0x7b, v11
; %bb.1715:                             ;   in Loop: Header=BB2_1030 Depth=2
	s_or_b32 exec_lo, exec_lo, s10
                                        ; implicit-def: $vgpr47
                                        ; implicit-def: $vgpr14_vgpr15
                                        ; implicit-def: $vgpr11
.LBB2_1716:                             ;   in Loop: Header=BB2_1030 Depth=2
	s_and_not1_saveexec_b32 s10, s11
	s_cbranch_execz .LBB2_1722
; %bb.1717:                             ;   in Loop: Header=BB2_1030 Depth=2
	s_mov_b32 s11, exec_lo
                                        ; implicit-def: $vgpr44
	v_cmpx_ne_u64_e32 0, v[14:15]
	s_xor_b32 s11, exec_lo, s11
; %bb.1718:                             ;   in Loop: Header=BB2_1030 Depth=2
	v_or_b32_e32 v44, 0x7f, v11
                                        ; implicit-def: $vgpr47
; %bb.1719:                             ;   in Loop: Header=BB2_1030 Depth=2
	s_and_not1_saveexec_b32 s11, s11
; %bb.1720:                             ;   in Loop: Header=BB2_1030 Depth=2
	v_cmp_lt_i32_e32 vcc_lo, -1, v47
	v_cndmask_b32_e32 v44, 0xfc, v63, vcc_lo
; %bb.1721:                             ;   in Loop: Header=BB2_1030 Depth=2
	s_or_b32 exec_lo, exec_lo, s11
.LBB2_1722:                             ;   in Loop: Header=BB2_1030 Depth=2
	s_delay_alu instid0(SALU_CYCLE_1) | instskip(SKIP_4) | instid1(VALU_DEP_3)
	s_or_b32 exec_lo, exec_lo, s10
	v_lshrrev_b16 v14, 8, v10
	v_cmp_lt_i16_e32 vcc_lo, -1, v10
	v_lshrrev_b16 v100, 8, v38
	s_mov_b32 s13, -1
	v_and_b32_e32 v101, 0xffff, v14
	v_cndmask_b32_e32 v45, 0xff800000, v62, vcc_lo
	v_lshlrev_b32_e32 v47, 24, v14
	v_and_b32_e32 v73, 0xffff, v100
	v_cmp_ne_u16_e64 s12, 0, v100
	v_and_b32_e32 v11, 3, v101
	v_and_b32_e32 v76, 0x7c, v101
	v_bfe_u32 v10, v101, 2, 5
	s_delay_alu instid0(VALU_DEP_3) | instskip(NEXT) | instid1(VALU_DEP_3)
	v_clz_i32_u32_e32 v15, v11
	v_cmp_eq_u32_e64 s10, 0x7c, v76
	s_delay_alu instid0(VALU_DEP_3) | instskip(NEXT) | instid1(VALU_DEP_3)
	v_cmp_eq_u32_e64 s11, 0, v10
	v_min_u32_e32 v46, 32, v15
	v_mov_b32_e32 v15, v39
	v_cmp_eq_u32_e32 vcc_lo, 0, v11
	s_delay_alu instid0(VALU_DEP_3) | instskip(SKIP_2) | instid1(VALU_DEP_2)
	v_subrev_nc_u32_e32 v74, 29, v46
	v_dual_cndmask_b32 v45, 0x7f800001, v45 :: v_dual_sub_nc_u32 v46, 30, v46
	s_and_b32 vcc_lo, exec_lo, s44
	v_lshlrev_b64_e32 v[74:75], v74, v[14:15]
	v_and_or_b32 v15, v47, s28, 0x38000000
	s_delay_alu instid0(VALU_DEP_2)
	v_and_b32_e32 v47, 3, v74
                                        ; implicit-def: $vgpr74
	s_cbranch_vccz .LBB2_1740
; %bb.1723:                             ;   in Loop: Header=BB2_1030 Depth=2
	v_mov_b32_e32 v101, 0
	s_and_saveexec_b32 s13, s12
	s_cbranch_execz .LBB2_1733
; %bb.1724:                             ;   in Loop: Header=BB2_1030 Depth=2
	v_bfrev_b32_e32 v101, 1
	s_mov_b32 s14, exec_lo
	v_cmpx_ne_u16_e32 0x80, v100
	s_cbranch_execz .LBB2_1732
; %bb.1725:                             ;   in Loop: Header=BB2_1030 Depth=2
	v_and_b32_e32 v101, 0x7c, v73
	v_and_b32_e32 v74, 3, v73
	s_delay_alu instid0(VALU_DEP_2) | instskip(SKIP_1) | instid1(SALU_CYCLE_1)
	v_cmp_ne_u32_e32 vcc_lo, 0x7c, v101
                                        ; implicit-def: $vgpr101
	s_and_saveexec_b32 s45, vcc_lo
	s_xor_b32 s45, exec_lo, s45
	s_cbranch_execz .LBB2_1729
; %bb.1726:                             ;   in Loop: Header=BB2_1030 Depth=2
	v_bfe_u32 v101, v73, 2, 5
	s_mov_b32 s46, exec_lo
	s_delay_alu instid0(VALU_DEP_1)
	v_cmpx_eq_u32_e32 0, v101
; %bb.1727:                             ;   in Loop: Header=BB2_1030 Depth=2
	v_clz_i32_u32_e32 v101, v74
	s_delay_alu instid0(VALU_DEP_1) | instskip(SKIP_1) | instid1(VALU_DEP_2)
	v_min_u32_e32 v76, 32, v101
	v_mov_b32_e32 v101, v39
	v_subrev_nc_u32_e32 v74, 29, v76
	s_delay_alu instid0(VALU_DEP_1) | instskip(NEXT) | instid1(VALU_DEP_1)
	v_lshlrev_b64_e32 v[74:75], v74, v[100:101]
	v_dual_sub_nc_u32 v101, 30, v76 :: v_dual_bitop2_b32 v74, 3, v74 bitop3:0x40
; %bb.1728:                             ;   in Loop: Header=BB2_1030 Depth=2
	s_or_b32 exec_lo, exec_lo, s46
	v_lshlrev_b32_e32 v75, 16, v38
	s_delay_alu instid0(VALU_DEP_1) | instskip(NEXT) | instid1(VALU_DEP_1)
	v_and_b32_e32 v75, 0x80000000, v75
	v_lshl_add_u32 v101, v101, 23, v75
	s_delay_alu instid0(VALU_DEP_1) | instskip(NEXT) | instid1(VALU_DEP_1)
	v_lshl_or_b32 v101, v74, 21, v101
                                        ; implicit-def: $vgpr74
	v_add_nc_u32_e32 v101, 0x38000000, v101
.LBB2_1729:                             ;   in Loop: Header=BB2_1030 Depth=2
	s_and_not1_saveexec_b32 s45, s45
; %bb.1730:                             ;   in Loop: Header=BB2_1030 Depth=2
	v_cmp_lt_i16_e32 vcc_lo, -1, v38
	v_cndmask_b32_e32 v101, 0xff800000, v62, vcc_lo
	v_cmp_eq_u32_e32 vcc_lo, 0, v74
	s_delay_alu instid0(VALU_DEP_2)
	v_cndmask_b32_e32 v101, 0x7f800001, v101, vcc_lo
; %bb.1731:                             ;   in Loop: Header=BB2_1030 Depth=2
	s_or_b32 exec_lo, exec_lo, s45
.LBB2_1732:                             ;   in Loop: Header=BB2_1030 Depth=2
	s_delay_alu instid0(SALU_CYCLE_1)
	s_or_b32 exec_lo, exec_lo, s14
.LBB2_1733:                             ;   in Loop: Header=BB2_1030 Depth=2
	s_delay_alu instid0(SALU_CYCLE_1)
	s_or_b32 exec_lo, exec_lo, s13
	s_mov_b32 s13, 0
	s_mov_b32 s14, exec_lo
	v_cmpx_lt_i16_e32 0x7f, v14
	s_xor_b32 s14, exec_lo, s14
	s_cbranch_execz .LBB2_1917
; %bb.1734:                             ;   in Loop: Header=BB2_1030 Depth=2
	s_mov_b32 s13, -1
	s_mov_b32 s45, exec_lo
	v_cmpx_eq_u16_e32 0x80, v14
; %bb.1735:                             ;   in Loop: Header=BB2_1030 Depth=2
	s_xor_b32 s13, exec_lo, -1
; %bb.1736:                             ;   in Loop: Header=BB2_1030 Depth=2
	s_or_b32 exec_lo, exec_lo, s45
	s_delay_alu instid0(SALU_CYCLE_1)
	s_and_b32 s13, s13, exec_lo
	s_or_saveexec_b32 s14, s14
	v_bfrev_b32_e32 v74, 1
	s_xor_b32 exec_lo, exec_lo, s14
	s_cbranch_execnz .LBB2_1918
.LBB2_1737:                             ;   in Loop: Header=BB2_1030 Depth=2
	s_or_b32 exec_lo, exec_lo, s14
	s_and_saveexec_b32 s14, s13
.LBB2_1738:                             ;   in Loop: Header=BB2_1030 Depth=2
	v_dual_cndmask_b32 v74, v10, v46, s11 :: v_dual_cndmask_b32 v75, v11, v47, s11
	s_delay_alu instid0(VALU_DEP_1) | instskip(NEXT) | instid1(VALU_DEP_1)
	v_lshl_add_u32 v74, v74, 23, v15
	v_lshl_or_b32 v74, v75, 21, v74
	s_delay_alu instid0(VALU_DEP_1)
	v_cndmask_b32_e64 v74, v74, v45, s10
.LBB2_1739:                             ;   in Loop: Header=BB2_1030 Depth=2
	s_or_b32 exec_lo, exec_lo, s14
	s_delay_alu instid0(VALU_DEP_1) | instskip(SKIP_1) | instid1(VALU_DEP_1)
	v_dual_max_num_f32 v74, v74, v74 :: v_dual_max_num_f32 v101, v101, v101
	s_mov_b32 s13, 0
	v_max_num_f32_e32 v74, v101, v74
.LBB2_1740:                             ;   in Loop: Header=BB2_1030 Depth=2
	s_and_b32 vcc_lo, exec_lo, s13
	s_cbranch_vccz .LBB2_1758
; %bb.1741:                             ;   in Loop: Header=BB2_1030 Depth=2
	v_mov_b32_e32 v101, 0
	s_and_saveexec_b32 s13, s12
	s_cbranch_execz .LBB2_1751
; %bb.1742:                             ;   in Loop: Header=BB2_1030 Depth=2
	v_bfrev_b32_e32 v101, 1
	s_mov_b32 s12, exec_lo
	v_cmpx_ne_u16_e32 0x80, v100
	s_cbranch_execz .LBB2_1750
; %bb.1743:                             ;   in Loop: Header=BB2_1030 Depth=2
	v_and_b32_e32 v101, 0x7c, v73
	v_and_b32_e32 v74, 3, v73
	s_delay_alu instid0(VALU_DEP_2) | instskip(SKIP_1) | instid1(SALU_CYCLE_1)
	v_cmp_ne_u32_e32 vcc_lo, 0x7c, v101
                                        ; implicit-def: $vgpr101
	s_and_saveexec_b32 s14, vcc_lo
	s_xor_b32 s14, exec_lo, s14
	s_cbranch_execz .LBB2_1747
; %bb.1744:                             ;   in Loop: Header=BB2_1030 Depth=2
	v_bfe_u32 v101, v73, 2, 5
	s_mov_b32 s45, exec_lo
	s_delay_alu instid0(VALU_DEP_1)
	v_cmpx_eq_u32_e32 0, v101
; %bb.1745:                             ;   in Loop: Header=BB2_1030 Depth=2
	v_clz_i32_u32_e32 v101, v74
	s_delay_alu instid0(VALU_DEP_1) | instskip(SKIP_1) | instid1(VALU_DEP_2)
	v_min_u32_e32 v73, 32, v101
	v_mov_b32_e32 v101, v39
	v_subrev_nc_u32_e32 v74, 29, v73
	s_delay_alu instid0(VALU_DEP_1) | instskip(NEXT) | instid1(VALU_DEP_1)
	v_lshlrev_b64_e32 v[100:101], v74, v[100:101]
	v_dual_sub_nc_u32 v101, 30, v73 :: v_dual_bitop2_b32 v74, 3, v100 bitop3:0x40
; %bb.1746:                             ;   in Loop: Header=BB2_1030 Depth=2
	s_or_b32 exec_lo, exec_lo, s45
	v_lshlrev_b32_e32 v38, 16, v38
	s_delay_alu instid0(VALU_DEP_1) | instskip(NEXT) | instid1(VALU_DEP_1)
	v_and_b32_e32 v38, 0x80000000, v38
	v_lshl_add_u32 v38, v101, 23, v38
	s_delay_alu instid0(VALU_DEP_1) | instskip(NEXT) | instid1(VALU_DEP_1)
	v_lshl_or_b32 v38, v74, 21, v38
                                        ; implicit-def: $vgpr74
	v_add_nc_u32_e32 v101, 0x38000000, v38
.LBB2_1747:                             ;   in Loop: Header=BB2_1030 Depth=2
	s_and_not1_saveexec_b32 s14, s14
; %bb.1748:                             ;   in Loop: Header=BB2_1030 Depth=2
	v_cmp_lt_i16_e32 vcc_lo, -1, v38
	v_cndmask_b32_e32 v38, 0xff800000, v62, vcc_lo
	v_cmp_eq_u32_e32 vcc_lo, 0, v74
	s_delay_alu instid0(VALU_DEP_2)
	v_cndmask_b32_e32 v101, 0x7f800001, v38, vcc_lo
; %bb.1749:                             ;   in Loop: Header=BB2_1030 Depth=2
	s_or_b32 exec_lo, exec_lo, s14
.LBB2_1750:                             ;   in Loop: Header=BB2_1030 Depth=2
	s_delay_alu instid0(SALU_CYCLE_1)
	s_or_b32 exec_lo, exec_lo, s12
.LBB2_1751:                             ;   in Loop: Header=BB2_1030 Depth=2
	s_delay_alu instid0(SALU_CYCLE_1)
	s_or_b32 exec_lo, exec_lo, s13
	s_mov_b32 s12, 0
	s_mov_b32 s13, exec_lo
	v_cmpx_lt_i16_e32 0x7f, v14
	s_xor_b32 s13, exec_lo, s13
	s_cbranch_execz .LBB2_1919
; %bb.1752:                             ;   in Loop: Header=BB2_1030 Depth=2
	s_mov_b32 s12, -1
	s_mov_b32 s14, exec_lo
	v_cmpx_eq_u16_e32 0x80, v14
; %bb.1753:                             ;   in Loop: Header=BB2_1030 Depth=2
	s_xor_b32 s12, exec_lo, -1
; %bb.1754:                             ;   in Loop: Header=BB2_1030 Depth=2
	s_or_b32 exec_lo, exec_lo, s14
	s_delay_alu instid0(SALU_CYCLE_1)
	s_and_b32 s12, s12, exec_lo
                                        ; implicit-def: $vgpr14
	s_or_saveexec_b32 s13, s13
	v_bfrev_b32_e32 v38, 1
	s_xor_b32 exec_lo, exec_lo, s13
	s_cbranch_execnz .LBB2_1920
.LBB2_1755:                             ;   in Loop: Header=BB2_1030 Depth=2
	s_or_b32 exec_lo, exec_lo, s13
	s_and_saveexec_b32 s13, s12
.LBB2_1756:                             ;   in Loop: Header=BB2_1030 Depth=2
	v_dual_cndmask_b32 v10, v10, v46, s11 :: v_dual_cndmask_b32 v11, v11, v47, s11
	s_delay_alu instid0(VALU_DEP_1) | instskip(NEXT) | instid1(VALU_DEP_1)
	v_lshl_add_u32 v10, v10, 23, v15
	v_lshl_or_b32 v10, v11, 21, v10
	s_delay_alu instid0(VALU_DEP_1)
	v_cndmask_b32_e64 v38, v10, v45, s10
.LBB2_1757:                             ;   in Loop: Header=BB2_1030 Depth=2
	s_or_b32 exec_lo, exec_lo, s13
	s_delay_alu instid0(VALU_DEP_1) | instskip(NEXT) | instid1(VALU_DEP_1)
	v_dual_max_num_f32 v10, v38, v38 :: v_dual_max_num_f32 v11, v101, v101
	v_min_num_f32_e32 v74, v11, v10
.LBB2_1758:                             ;   in Loop: Header=BB2_1030 Depth=2
	s_delay_alu instid0(VALU_DEP_1) | instskip(SKIP_2) | instid1(VALU_DEP_2)
	v_and_b32_e32 v10, 0x7f800000, v74
	v_mov_b32_e32 v11, v39
	v_and_b32_e32 v38, 0x7fffff, v74
                                        ; implicit-def: $vgpr100
	v_cmp_ne_u64_e32 vcc_lo, 0x7f800000, v[10:11]
	v_lshrrev_b32_e32 v10, 24, v74
	s_and_saveexec_b32 s10, vcc_lo
	s_delay_alu instid0(SALU_CYCLE_1)
	s_xor_b32 s11, exec_lo, s10
	s_cbranch_execz .LBB2_1772
; %bb.1759:                             ;   in Loop: Header=BB2_1030 Depth=2
	v_and_b32_e32 v14, 0x7fffffff, v74
	v_mov_b32_e32 v15, v39
	v_and_b32_e32 v101, 0x80, v10
                                        ; implicit-def: $vgpr100
	s_mov_b32 s10, exec_lo
	s_delay_alu instid0(VALU_DEP_2)
	v_cmpx_gt_u64_e32 0x47600001, v[14:15]
	s_xor_b32 s12, exec_lo, s10
	s_cbranch_execz .LBB2_1769
; %bb.1760:                             ;   in Loop: Header=BB2_1030 Depth=2
	v_mov_b32_e32 v100, 0
	s_mov_b32 s13, exec_lo
	v_cmpx_ne_u32_e32 0, v74
	s_cbranch_execz .LBB2_1768
; %bb.1761:                             ;   in Loop: Header=BB2_1030 Depth=2
	v_bfe_u32 v100, v74, 23, 8
	v_or_b32_e32 v14, 0x800000, v38
	s_delay_alu instid0(VALU_DEP_2) | instskip(SKIP_1) | instid1(VALU_DEP_2)
	v_sub_nc_u32_e32 v10, 0x71, v100
	v_cmp_gt_u32_e32 vcc_lo, 0x72, v100
	v_cndmask_b32_e32 v10, 0, v10, vcc_lo
	v_cmp_eq_u32_e32 vcc_lo, 0, v100
	s_delay_alu instid0(VALU_DEP_2) | instskip(NEXT) | instid1(VALU_DEP_1)
	v_cndmask_b32_e64 v45, v10, 0x70, vcc_lo
	v_dual_cndmask_b32 v38, v14, v38, vcc_lo :: v_dual_add_nc_u32 v10, 21, v45
	v_add_nc_u32_e32 v15, 20, v45
	s_delay_alu instid0(VALU_DEP_2) | instskip(NEXT) | instid1(VALU_DEP_2)
	v_lshlrev_b64_e64 v[10:11], v10, -1
	v_lshlrev_b64_e64 v[14:15], v15, 1
	s_delay_alu instid0(VALU_DEP_2) | instskip(NEXT) | instid1(VALU_DEP_3)
	v_bfi_b32 v47, v11, 0, 0
	v_bfi_b32 v46, v10, 0, v38
	v_lshrrev_b64 v[10:11], v45, v[38:39]
	s_delay_alu instid0(VALU_DEP_2) | instskip(NEXT) | instid1(VALU_DEP_2)
	v_cmp_eq_u64_e64 s10, v[46:47], v[14:15]
	v_mov_b64_e32 v[14:15], v[10:11]
	s_and_saveexec_b32 s14, s10
; %bb.1762:                             ;   in Loop: Header=BB2_1030 Depth=2
	v_bfe_u32 v38, v10, 21, 1
	s_delay_alu instid0(VALU_DEP_1) | instskip(NEXT) | instid1(VALU_DEP_1)
	v_add_nc_u64_e32 v[14:15], v[10:11], v[38:39]
	v_add_nc_u64_e32 v[14:15], -1, v[14:15]
; %bb.1763:                             ;   in Loop: Header=BB2_1030 Depth=2
	s_or_b32 exec_lo, exec_lo, s14
	v_add_nc_u32_e32 v11, 0xffffff81, v100
	v_lshrrev_b32_e32 v15, 23, v10
	s_mov_b32 s10, exec_lo
	s_delay_alu instid0(VALU_DEP_2) | instskip(NEXT) | instid1(VALU_DEP_1)
	v_cndmask_b32_e64 v11, v11, 0xffffff82, vcc_lo
	v_add3_u32 v15, v45, v11, v15
	v_and_b32_e32 v11, 0x1fffff, v14
                                        ; implicit-def: $vgpr14
	s_delay_alu instid0(VALU_DEP_1) | instskip(NEXT) | instid1(VALU_DEP_1)
	v_dual_add_nc_u32 v100, 14, v15 :: v_dual_add_nc_u32 v38, v11, v10
                                        ; implicit-def: $vgpr10_vgpr11
	v_cmpx_ne_u32_e32 0, v100
	s_xor_b32 s10, exec_lo, s10
; %bb.1764:                             ;   in Loop: Header=BB2_1030 Depth=2
	s_delay_alu instid0(VALU_DEP_2) | instskip(SKIP_1) | instid1(VALU_DEP_1)
	v_cmp_lt_u64_e32 vcc_lo, 0xffffff, v[38:39]
	v_add_nc_u32_e32 v10, 15, v15
	v_cndmask_b32_e32 v14, v100, v10, vcc_lo
	v_cndmask_b32_e64 v10, 0, 1, vcc_lo
	s_delay_alu instid0(VALU_DEP_1)
	v_lshrrev_b64 v[10:11], v10, v[38:39]
; %bb.1765:                             ;   in Loop: Header=BB2_1030 Depth=2
	s_and_not1_saveexec_b32 s10, s10
; %bb.1766:                             ;   in Loop: Header=BB2_1030 Depth=2
	v_mov_b64_e32 v[10:11], v[38:39]
	v_bfe_u32 v14, v38, 23, 1
; %bb.1767:                             ;   in Loop: Header=BB2_1030 Depth=2
	s_or_b32 exec_lo, exec_lo, s10
	s_delay_alu instid0(VALU_DEP_2) | instskip(NEXT) | instid1(VALU_DEP_2)
	v_lshrrev_b64 v[10:11], 21, v[10:11]
	v_cmp_gt_i32_e32 vcc_lo, 32, v14
	v_min_i32_e32 v15, 31, v14
	v_cmp_eq_u32_e64 s10, 0, v14
	s_delay_alu instid0(VALU_DEP_4) | instskip(NEXT) | instid1(VALU_DEP_3)
	v_cndmask_b32_e32 v11, 0, v11, vcc_lo
	v_dual_cndmask_b32 v10, 3, v10 :: v_dual_lshlrev_b32 v15, 2, v15
	s_delay_alu instid0(VALU_DEP_1) | instskip(NEXT) | instid1(VALU_DEP_2)
	v_and_b32_e32 v15, 0xfc, v15
	v_cmp_eq_u64_e32 vcc_lo, 0, v[10:11]
	s_delay_alu instid0(VALU_DEP_2)
	v_and_or_b32 v10, v10, 3, v15
	s_and_b32 s10, s10, vcc_lo
	s_delay_alu instid0(VALU_DEP_1) | instid1(SALU_CYCLE_1)
	v_cndmask_b32_e64 v10, v10, 0, s10
	s_delay_alu instid0(VALU_DEP_1)
	v_or_b32_e32 v100, v10, v101
.LBB2_1768:                             ;   in Loop: Header=BB2_1030 Depth=2
	s_or_b32 exec_lo, exec_lo, s13
                                        ; implicit-def: $vgpr101
.LBB2_1769:                             ;   in Loop: Header=BB2_1030 Depth=2
	s_and_not1_saveexec_b32 s10, s12
; %bb.1770:                             ;   in Loop: Header=BB2_1030 Depth=2
	v_or_b32_e32 v100, 0x7b, v101
; %bb.1771:                             ;   in Loop: Header=BB2_1030 Depth=2
	s_or_b32 exec_lo, exec_lo, s10
                                        ; implicit-def: $vgpr74
                                        ; implicit-def: $vgpr10
.LBB2_1772:                             ;   in Loop: Header=BB2_1030 Depth=2
	s_and_not1_saveexec_b32 s10, s11
	s_cbranch_execz .LBB2_1778
; %bb.1773:                             ;   in Loop: Header=BB2_1030 Depth=2
	s_mov_b32 s11, exec_lo
                                        ; implicit-def: $vgpr100
	v_cmpx_ne_u64_e32 0, v[38:39]
	s_xor_b32 s11, exec_lo, s11
; %bb.1774:                             ;   in Loop: Header=BB2_1030 Depth=2
	v_or_b32_e32 v100, 0x7f, v10
                                        ; implicit-def: $vgpr74
; %bb.1775:                             ;   in Loop: Header=BB2_1030 Depth=2
	s_and_not1_saveexec_b32 s11, s11
; %bb.1776:                             ;   in Loop: Header=BB2_1030 Depth=2
	v_cmp_lt_i32_e32 vcc_lo, -1, v74
	v_cndmask_b32_e32 v100, 0xfc, v63, vcc_lo
; %bb.1777:                             ;   in Loop: Header=BB2_1030 Depth=2
	s_or_b32 exec_lo, exec_lo, s11
.LBB2_1778:                             ;   in Loop: Header=BB2_1030 Depth=2
	s_delay_alu instid0(SALU_CYCLE_1) | instskip(SKIP_4) | instid1(VALU_DEP_3)
	s_or_b32 exec_lo, exec_lo, s10
	v_bfe_u32 v11, v17, 16, 2
	v_dual_lshrrev_b32 v38, 16, v17 :: v_dual_lshlrev_b32 v45, 8, v17
	v_and_b32_e32 v15, 0x7c0000, v17
	s_mov_b32 s13, -1
	v_clz_i32_u32_e32 v14, v11
	s_delay_alu instid0(VALU_DEP_3) | instskip(NEXT) | instid1(VALU_DEP_3)
	v_bfe_i32 v46, v38, 0, 8
	v_cmp_eq_u32_e64 s10, 0x7c0000, v15
	v_and_or_b32 v15, v45, s28, 0x38000000
	s_delay_alu instid0(VALU_DEP_4) | instskip(NEXT) | instid1(VALU_DEP_4)
	v_min_u32_e32 v101, 32, v14
	v_cmp_lt_i16_e32 vcc_lo, -1, v46
	v_bfe_u32 v14, v17, 18, 5
	s_delay_alu instid0(VALU_DEP_3) | instskip(SKIP_1) | instid1(VALU_DEP_3)
	v_subrev_nc_u32_e32 v73, 29, v101
	v_sub_nc_u32_e32 v101, 30, v101
	v_cmp_eq_u32_e64 s11, 0, v14
	s_delay_alu instid0(VALU_DEP_3) | instskip(SKIP_3) | instid1(VALU_DEP_4)
	v_lshlrev_b64_e32 v[74:75], v73, v[38:39]
	v_lshrrev_b32_e32 v10, 16, v13
	v_cndmask_b32_e32 v38, 0xff800000, v62, vcc_lo
	v_cmp_eq_u32_e32 vcc_lo, 0, v11
                                        ; implicit-def: $vgpr73
	v_and_b32_e32 v45, 3, v74
	s_delay_alu instid0(VALU_DEP_4) | instskip(NEXT) | instid1(VALU_DEP_4)
	v_and_b32_e32 v47, 0xff, v10
	v_cndmask_b32_e32 v38, 0x7f800001, v38, vcc_lo
	s_and_b32 vcc_lo, exec_lo, s44
	s_delay_alu instid0(VALU_DEP_2)
	v_cmp_ne_u16_e64 s12, 0, v47
	s_cbranch_vccz .LBB2_1796
; %bb.1779:                             ;   in Loop: Header=BB2_1030 Depth=2
	v_mov_b32_e32 v73, 0
	s_and_saveexec_b32 s13, s12
	s_cbranch_execz .LBB2_1789
; %bb.1780:                             ;   in Loop: Header=BB2_1030 Depth=2
	v_bfrev_b32_e32 v73, 1
	s_mov_b32 s14, exec_lo
	v_cmpx_ne_u16_e32 0x80, v47
	s_cbranch_execz .LBB2_1788
; %bb.1781:                             ;   in Loop: Header=BB2_1030 Depth=2
	v_and_b32_e32 v73, 0x7c0000, v13
	v_bfe_u32 v74, v13, 16, 2
	s_delay_alu instid0(VALU_DEP_2) | instskip(SKIP_1) | instid1(SALU_CYCLE_1)
	v_cmp_ne_u32_e32 vcc_lo, 0x7c0000, v73
                                        ; implicit-def: $vgpr73
	s_and_saveexec_b32 s45, vcc_lo
	s_xor_b32 s45, exec_lo, s45
	s_cbranch_execz .LBB2_1785
; %bb.1782:                             ;   in Loop: Header=BB2_1030 Depth=2
	v_bfe_u32 v73, v13, 18, 5
	s_mov_b32 s46, exec_lo
	s_delay_alu instid0(VALU_DEP_1)
	v_cmpx_eq_u32_e32 0, v73
; %bb.1783:                             ;   in Loop: Header=BB2_1030 Depth=2
	v_clz_i32_u32_e32 v73, v74
	s_delay_alu instid0(VALU_DEP_1) | instskip(NEXT) | instid1(VALU_DEP_1)
	v_min_u32_e32 v73, 32, v73
	v_subrev_nc_u32_e32 v74, 29, v73
	s_delay_alu instid0(VALU_DEP_1) | instskip(NEXT) | instid1(VALU_DEP_1)
	v_lshlrev_b64_e32 v[74:75], v74, v[10:11]
	v_dual_sub_nc_u32 v73, 30, v73 :: v_dual_bitop2_b32 v74, 3, v74 bitop3:0x40
; %bb.1784:                             ;   in Loop: Header=BB2_1030 Depth=2
	s_or_b32 exec_lo, exec_lo, s46
	v_lshlrev_b32_e32 v75, 24, v10
	s_delay_alu instid0(VALU_DEP_1) | instskip(NEXT) | instid1(VALU_DEP_1)
	v_and_b32_e32 v75, 0x80000000, v75
	v_lshl_add_u32 v73, v73, 23, v75
	s_delay_alu instid0(VALU_DEP_1) | instskip(NEXT) | instid1(VALU_DEP_1)
	v_lshl_or_b32 v73, v74, 21, v73
                                        ; implicit-def: $vgpr74
	v_add_nc_u32_e32 v73, 0x38000000, v73
.LBB2_1785:                             ;   in Loop: Header=BB2_1030 Depth=2
	s_and_not1_saveexec_b32 s45, s45
; %bb.1786:                             ;   in Loop: Header=BB2_1030 Depth=2
	v_bfe_i32 v73, v10, 0, 8
	s_delay_alu instid0(VALU_DEP_1) | instskip(SKIP_2) | instid1(VALU_DEP_2)
	v_cmp_lt_i16_e32 vcc_lo, -1, v73
	v_cndmask_b32_e32 v73, 0xff800000, v62, vcc_lo
	v_cmp_eq_u32_e32 vcc_lo, 0, v74
	v_cndmask_b32_e32 v73, 0x7f800001, v73, vcc_lo
; %bb.1787:                             ;   in Loop: Header=BB2_1030 Depth=2
	s_or_b32 exec_lo, exec_lo, s45
.LBB2_1788:                             ;   in Loop: Header=BB2_1030 Depth=2
	s_delay_alu instid0(SALU_CYCLE_1)
	s_or_b32 exec_lo, exec_lo, s14
.LBB2_1789:                             ;   in Loop: Header=BB2_1030 Depth=2
	s_delay_alu instid0(SALU_CYCLE_1) | instskip(SKIP_3) | instid1(VALU_DEP_1)
	s_or_b32 exec_lo, exec_lo, s13
	v_and_b32_e32 v75, 0xff, v46
	s_mov_b32 s13, 0
	s_mov_b32 s14, exec_lo
	v_cmpx_lt_i16_e32 0x7f, v75
	s_xor_b32 s14, exec_lo, s14
	s_cbranch_execz .LBB2_1921
; %bb.1790:                             ;   in Loop: Header=BB2_1030 Depth=2
	s_mov_b32 s13, -1
	s_mov_b32 s45, exec_lo
	v_cmpx_eq_u16_e32 0x80, v75
; %bb.1791:                             ;   in Loop: Header=BB2_1030 Depth=2
	s_xor_b32 s13, exec_lo, -1
; %bb.1792:                             ;   in Loop: Header=BB2_1030 Depth=2
	s_or_b32 exec_lo, exec_lo, s45
	s_delay_alu instid0(SALU_CYCLE_1)
	s_and_b32 s13, s13, exec_lo
                                        ; implicit-def: $vgpr75
	s_or_saveexec_b32 s14, s14
	v_bfrev_b32_e32 v74, 1
	s_xor_b32 exec_lo, exec_lo, s14
	s_cbranch_execnz .LBB2_1922
.LBB2_1793:                             ;   in Loop: Header=BB2_1030 Depth=2
	s_or_b32 exec_lo, exec_lo, s14
	s_and_saveexec_b32 s14, s13
.LBB2_1794:                             ;   in Loop: Header=BB2_1030 Depth=2
	v_cndmask_b32_e64 v74, v14, v101, s11
	v_cndmask_b32_e64 v75, v11, v45, s11
	s_delay_alu instid0(VALU_DEP_2) | instskip(NEXT) | instid1(VALU_DEP_1)
	v_lshl_add_u32 v74, v74, 23, v15
	v_lshl_or_b32 v74, v75, 21, v74
	s_delay_alu instid0(VALU_DEP_1)
	v_cndmask_b32_e64 v74, v74, v38, s10
.LBB2_1795:                             ;   in Loop: Header=BB2_1030 Depth=2
	s_or_b32 exec_lo, exec_lo, s14
	s_delay_alu instid0(VALU_DEP_1) | instskip(SKIP_1) | instid1(VALU_DEP_1)
	v_dual_max_num_f32 v74, v74, v74 :: v_dual_max_num_f32 v73, v73, v73
	s_mov_b32 s13, 0
	v_max_num_f32_e32 v73, v73, v74
.LBB2_1796:                             ;   in Loop: Header=BB2_1030 Depth=2
	s_and_b32 vcc_lo, exec_lo, s13
	s_cbranch_vccz .LBB2_1814
; %bb.1797:                             ;   in Loop: Header=BB2_1030 Depth=2
	v_mov_b32_e32 v73, 0
	s_and_saveexec_b32 s13, s12
	s_cbranch_execz .LBB2_1807
; %bb.1798:                             ;   in Loop: Header=BB2_1030 Depth=2
	v_bfrev_b32_e32 v73, 1
	s_mov_b32 s12, exec_lo
	v_cmpx_ne_u16_e32 0x80, v47
	s_cbranch_execz .LBB2_1806
; %bb.1799:                             ;   in Loop: Header=BB2_1030 Depth=2
	v_and_b32_e32 v73, 0x7c0000, v13
	v_bfe_u32 v47, v13, 16, 2
	s_delay_alu instid0(VALU_DEP_2) | instskip(SKIP_1) | instid1(SALU_CYCLE_1)
	v_cmp_ne_u32_e32 vcc_lo, 0x7c0000, v73
                                        ; implicit-def: $vgpr73
	s_and_saveexec_b32 s14, vcc_lo
	s_xor_b32 s14, exec_lo, s14
	s_cbranch_execz .LBB2_1803
; %bb.1800:                             ;   in Loop: Header=BB2_1030 Depth=2
	v_bfe_u32 v73, v13, 18, 5
	s_mov_b32 s45, exec_lo
	s_delay_alu instid0(VALU_DEP_1)
	v_cmpx_eq_u32_e32 0, v73
; %bb.1801:                             ;   in Loop: Header=BB2_1030 Depth=2
	v_clz_i32_u32_e32 v47, v47
	s_delay_alu instid0(VALU_DEP_1) | instskip(NEXT) | instid1(VALU_DEP_1)
	v_min_u32_e32 v47, 32, v47
	v_subrev_nc_u32_e32 v73, 29, v47
	s_delay_alu instid0(VALU_DEP_1) | instskip(NEXT) | instid1(VALU_DEP_1)
	v_lshlrev_b64_e32 v[74:75], v73, v[10:11]
	v_dual_sub_nc_u32 v73, 30, v47 :: v_dual_bitop2_b32 v47, 3, v74 bitop3:0x40
; %bb.1802:                             ;   in Loop: Header=BB2_1030 Depth=2
	s_or_b32 exec_lo, exec_lo, s45
	v_lshlrev_b32_e32 v10, 24, v10
	s_delay_alu instid0(VALU_DEP_1) | instskip(NEXT) | instid1(VALU_DEP_1)
	v_and_b32_e32 v10, 0x80000000, v10
	v_lshl_add_u32 v10, v73, 23, v10
	s_delay_alu instid0(VALU_DEP_1) | instskip(NEXT) | instid1(VALU_DEP_1)
	v_lshl_or_b32 v10, v47, 21, v10
                                        ; implicit-def: $vgpr47
	v_add_nc_u32_e32 v73, 0x38000000, v10
                                        ; implicit-def: $vgpr10
.LBB2_1803:                             ;   in Loop: Header=BB2_1030 Depth=2
	s_and_not1_saveexec_b32 s14, s14
; %bb.1804:                             ;   in Loop: Header=BB2_1030 Depth=2
	v_bfe_i32 v10, v10, 0, 8
	s_delay_alu instid0(VALU_DEP_1) | instskip(SKIP_2) | instid1(VALU_DEP_2)
	v_cmp_lt_i16_e32 vcc_lo, -1, v10
	v_cndmask_b32_e32 v10, 0xff800000, v62, vcc_lo
	v_cmp_eq_u32_e32 vcc_lo, 0, v47
	v_cndmask_b32_e32 v73, 0x7f800001, v10, vcc_lo
; %bb.1805:                             ;   in Loop: Header=BB2_1030 Depth=2
	s_or_b32 exec_lo, exec_lo, s14
.LBB2_1806:                             ;   in Loop: Header=BB2_1030 Depth=2
	s_delay_alu instid0(SALU_CYCLE_1)
	s_or_b32 exec_lo, exec_lo, s12
.LBB2_1807:                             ;   in Loop: Header=BB2_1030 Depth=2
	s_delay_alu instid0(SALU_CYCLE_1) | instskip(SKIP_3) | instid1(VALU_DEP_1)
	s_or_b32 exec_lo, exec_lo, s13
	v_and_b32_e32 v46, 0xff, v46
	s_mov_b32 s12, 0
	s_mov_b32 s13, exec_lo
	v_cmpx_lt_i16_e32 0x7f, v46
	s_xor_b32 s13, exec_lo, s13
	s_cbranch_execz .LBB2_1923
; %bb.1808:                             ;   in Loop: Header=BB2_1030 Depth=2
	s_mov_b32 s12, -1
	s_mov_b32 s14, exec_lo
	v_cmpx_eq_u16_e32 0x80, v46
; %bb.1809:                             ;   in Loop: Header=BB2_1030 Depth=2
	s_xor_b32 s12, exec_lo, -1
; %bb.1810:                             ;   in Loop: Header=BB2_1030 Depth=2
	s_or_b32 exec_lo, exec_lo, s14
	s_delay_alu instid0(SALU_CYCLE_1)
	s_and_b32 s12, s12, exec_lo
                                        ; implicit-def: $vgpr46
	s_or_saveexec_b32 s13, s13
	v_bfrev_b32_e32 v10, 1
	s_xor_b32 exec_lo, exec_lo, s13
	s_cbranch_execnz .LBB2_1924
.LBB2_1811:                             ;   in Loop: Header=BB2_1030 Depth=2
	s_or_b32 exec_lo, exec_lo, s13
	s_and_saveexec_b32 s13, s12
.LBB2_1812:                             ;   in Loop: Header=BB2_1030 Depth=2
	v_cndmask_b32_e64 v10, v14, v101, s11
	v_cndmask_b32_e64 v11, v11, v45, s11
	s_delay_alu instid0(VALU_DEP_2) | instskip(NEXT) | instid1(VALU_DEP_1)
	v_lshl_add_u32 v10, v10, 23, v15
	v_lshl_or_b32 v10, v11, 21, v10
	s_delay_alu instid0(VALU_DEP_1)
	v_cndmask_b32_e64 v10, v10, v38, s10
.LBB2_1813:                             ;   in Loop: Header=BB2_1030 Depth=2
	s_or_b32 exec_lo, exec_lo, s13
	s_delay_alu instid0(VALU_DEP_1) | instskip(NEXT) | instid1(VALU_DEP_1)
	v_dual_max_num_f32 v10, v10, v10 :: v_dual_max_num_f32 v11, v73, v73
	v_min_num_f32_e32 v73, v11, v10
.LBB2_1814:                             ;   in Loop: Header=BB2_1030 Depth=2
	s_delay_alu instid0(VALU_DEP_1) | instskip(SKIP_2) | instid1(VALU_DEP_2)
	v_and_b32_e32 v10, 0x7f800000, v73
	v_mov_b32_e32 v11, v39
	v_and_b32_e32 v38, 0x7fffff, v73
                                        ; implicit-def: $vgpr14
	v_cmp_ne_u64_e32 vcc_lo, 0x7f800000, v[10:11]
	v_lshrrev_b32_e32 v10, 24, v73
	s_and_saveexec_b32 s10, vcc_lo
	s_delay_alu instid0(SALU_CYCLE_1)
	s_xor_b32 s11, exec_lo, s10
	s_cbranch_execz .LBB2_1828
; %bb.1815:                             ;   in Loop: Header=BB2_1030 Depth=2
	v_and_b32_e32 v14, 0x7fffffff, v73
	v_mov_b32_e32 v15, v39
	v_and_b32_e32 v101, 0x80, v10
	s_delay_alu instid0(VALU_DEP_2) | instskip(SKIP_1) | instid1(SALU_CYCLE_1)
	v_cmp_gt_u64_e32 vcc_lo, 0x47600001, v[14:15]
                                        ; implicit-def: $vgpr14
	s_and_saveexec_b32 s10, vcc_lo
	s_xor_b32 s12, exec_lo, s10
	s_cbranch_execz .LBB2_1825
; %bb.1816:                             ;   in Loop: Header=BB2_1030 Depth=2
	v_mov_b32_e32 v14, 0
	s_mov_b32 s13, exec_lo
	v_cmpx_ne_u32_e32 0, v73
	s_cbranch_execz .LBB2_1824
; %bb.1817:                             ;   in Loop: Header=BB2_1030 Depth=2
	v_bfe_u32 v45, v73, 23, 8
	v_or_b32_e32 v14, 0x800000, v38
	s_delay_alu instid0(VALU_DEP_2) | instskip(SKIP_1) | instid1(VALU_DEP_2)
	v_sub_nc_u32_e32 v10, 0x71, v45
	v_cmp_gt_u32_e32 vcc_lo, 0x72, v45
	v_cndmask_b32_e32 v10, 0, v10, vcc_lo
	v_cmp_eq_u32_e32 vcc_lo, 0, v45
	s_delay_alu instid0(VALU_DEP_2) | instskip(SKIP_1) | instid1(VALU_DEP_2)
	v_cndmask_b32_e64 v46, v10, 0x70, vcc_lo
	v_cndmask_b32_e32 v38, v14, v38, vcc_lo
	v_dual_add_nc_u32 v10, 21, v46 :: v_dual_add_nc_u32 v15, 20, v46
	s_delay_alu instid0(VALU_DEP_1) | instskip(NEXT) | instid1(VALU_DEP_2)
	v_lshlrev_b64_e64 v[10:11], v10, -1
	v_lshlrev_b64_e64 v[14:15], v15, 1
	s_delay_alu instid0(VALU_DEP_2) | instskip(NEXT) | instid1(VALU_DEP_3)
	v_bfi_b32 v75, v11, 0, 0
	v_bfi_b32 v74, v10, 0, v38
	v_lshrrev_b64 v[10:11], v46, v[38:39]
	s_delay_alu instid0(VALU_DEP_2) | instskip(NEXT) | instid1(VALU_DEP_2)
	v_cmp_eq_u64_e64 s10, v[74:75], v[14:15]
	v_mov_b64_e32 v[14:15], v[10:11]
	s_and_saveexec_b32 s14, s10
; %bb.1818:                             ;   in Loop: Header=BB2_1030 Depth=2
	v_bfe_u32 v38, v10, 21, 1
	s_delay_alu instid0(VALU_DEP_1) | instskip(NEXT) | instid1(VALU_DEP_1)
	v_add_nc_u64_e32 v[14:15], v[10:11], v[38:39]
	v_add_nc_u64_e32 v[14:15], -1, v[14:15]
; %bb.1819:                             ;   in Loop: Header=BB2_1030 Depth=2
	s_or_b32 exec_lo, exec_lo, s14
	v_add_nc_u32_e32 v11, 0xffffff81, v45
	v_lshrrev_b32_e32 v15, 23, v10
	s_mov_b32 s10, exec_lo
	s_delay_alu instid0(VALU_DEP_2) | instskip(NEXT) | instid1(VALU_DEP_1)
	v_cndmask_b32_e64 v11, v11, 0xffffff82, vcc_lo
	v_add3_u32 v15, v46, v11, v15
	v_and_b32_e32 v11, 0x1fffff, v14
                                        ; implicit-def: $vgpr14
	s_delay_alu instid0(VALU_DEP_1) | instskip(NEXT) | instid1(VALU_DEP_1)
	v_dual_add_nc_u32 v45, 14, v15 :: v_dual_add_nc_u32 v38, v11, v10
                                        ; implicit-def: $vgpr10_vgpr11
	v_cmpx_ne_u32_e32 0, v45
	s_xor_b32 s10, exec_lo, s10
; %bb.1820:                             ;   in Loop: Header=BB2_1030 Depth=2
	s_delay_alu instid0(VALU_DEP_2) | instskip(SKIP_1) | instid1(VALU_DEP_1)
	v_cmp_lt_u64_e32 vcc_lo, 0xffffff, v[38:39]
	v_add_nc_u32_e32 v10, 15, v15
	v_cndmask_b32_e32 v14, v45, v10, vcc_lo
	v_cndmask_b32_e64 v10, 0, 1, vcc_lo
	s_delay_alu instid0(VALU_DEP_1)
	v_lshrrev_b64 v[10:11], v10, v[38:39]
; %bb.1821:                             ;   in Loop: Header=BB2_1030 Depth=2
	s_and_not1_saveexec_b32 s10, s10
; %bb.1822:                             ;   in Loop: Header=BB2_1030 Depth=2
	v_mov_b64_e32 v[10:11], v[38:39]
	v_bfe_u32 v14, v38, 23, 1
; %bb.1823:                             ;   in Loop: Header=BB2_1030 Depth=2
	s_or_b32 exec_lo, exec_lo, s10
	s_delay_alu instid0(VALU_DEP_2) | instskip(NEXT) | instid1(VALU_DEP_2)
	v_lshrrev_b64 v[10:11], 21, v[10:11]
	v_cmp_gt_i32_e32 vcc_lo, 32, v14
	v_min_i32_e32 v15, 31, v14
	v_cmp_eq_u32_e64 s10, 0, v14
	s_delay_alu instid0(VALU_DEP_4) | instskip(NEXT) | instid1(VALU_DEP_3)
	v_cndmask_b32_e32 v11, 0, v11, vcc_lo
	v_dual_cndmask_b32 v10, 3, v10 :: v_dual_lshlrev_b32 v15, 2, v15
	s_delay_alu instid0(VALU_DEP_1) | instskip(NEXT) | instid1(VALU_DEP_2)
	v_and_b32_e32 v15, 0xfc, v15
	v_cmp_eq_u64_e32 vcc_lo, 0, v[10:11]
	s_delay_alu instid0(VALU_DEP_2)
	v_and_or_b32 v10, v10, 3, v15
	s_and_b32 s10, s10, vcc_lo
	s_delay_alu instid0(VALU_DEP_1) | instid1(SALU_CYCLE_1)
	v_cndmask_b32_e64 v10, v10, 0, s10
	s_delay_alu instid0(VALU_DEP_1)
	v_or_b32_e32 v14, v10, v101
.LBB2_1824:                             ;   in Loop: Header=BB2_1030 Depth=2
	s_or_b32 exec_lo, exec_lo, s13
                                        ; implicit-def: $vgpr101
.LBB2_1825:                             ;   in Loop: Header=BB2_1030 Depth=2
	s_and_not1_saveexec_b32 s10, s12
; %bb.1826:                             ;   in Loop: Header=BB2_1030 Depth=2
	v_or_b32_e32 v14, 0x7b, v101
; %bb.1827:                             ;   in Loop: Header=BB2_1030 Depth=2
	s_or_b32 exec_lo, exec_lo, s10
                                        ; implicit-def: $vgpr73
                                        ; implicit-def: $vgpr10
.LBB2_1828:                             ;   in Loop: Header=BB2_1030 Depth=2
	s_and_not1_saveexec_b32 s10, s11
	s_cbranch_execz .LBB2_1834
; %bb.1829:                             ;   in Loop: Header=BB2_1030 Depth=2
	s_mov_b32 s11, exec_lo
                                        ; implicit-def: $vgpr14
	v_cmpx_ne_u64_e32 0, v[38:39]
	s_xor_b32 s11, exec_lo, s11
; %bb.1830:                             ;   in Loop: Header=BB2_1030 Depth=2
	v_or_b32_e32 v14, 0x7f, v10
                                        ; implicit-def: $vgpr73
; %bb.1831:                             ;   in Loop: Header=BB2_1030 Depth=2
	s_and_not1_saveexec_b32 s11, s11
; %bb.1832:                             ;   in Loop: Header=BB2_1030 Depth=2
	v_cmp_lt_i32_e32 vcc_lo, -1, v73
	v_cndmask_b32_e32 v14, 0xfc, v63, vcc_lo
; %bb.1833:                             ;   in Loop: Header=BB2_1030 Depth=2
	s_or_b32 exec_lo, exec_lo, s11
.LBB2_1834:                             ;   in Loop: Header=BB2_1030 Depth=2
	s_delay_alu instid0(SALU_CYCLE_1)
	s_or_b32 exec_lo, exec_lo, s10
	v_bfe_u32 v11, v17, 24, 2
	v_lshrrev_b32_e32 v46, 24, v17
	v_cmp_lt_i64_e32 vcc_lo, -1, v[16:17]
	v_cmp_gt_u64_e64 s10, s[16:17], v[16:17]
	v_and_b32_e32 v45, 0x7c000000, v17
	v_clz_i32_u32_e32 v15, v11
	v_cmp_lt_u64_e64 s14, s[18:19], v[12:13]
	v_and_or_b32 v38, v17, s28, 0x38000000
	v_cmp_eq_u32_e64 s11, 0x80, v46
	v_cmp_eq_u32_e64 s12, 0x7c000000, v45
	v_min_u32_e32 v101, 32, v15
	v_bfe_u32 v15, v17, 26, 5
	v_cndmask_b32_e32 v16, 0xff800000, v62, vcc_lo
	v_cmp_eq_u32_e32 vcc_lo, 0, v11
	s_mov_b32 s45, -1
	v_subrev_nc_u32_e32 v47, 29, v101
	v_cmp_eq_u32_e64 s13, 0, v15
	v_dual_cndmask_b32 v16, 0x7f800001, v16 :: v_dual_sub_nc_u32 v17, 30, v101
	s_and_b32 vcc_lo, exec_lo, s44
	v_lshlrev_b64_e32 v[74:75], v47, v[46:47]
	v_lshrrev_b32_e32 v10, 24, v13
                                        ; implicit-def: $vgpr45
	s_delay_alu instid0(VALU_DEP_2)
	v_and_b32_e32 v101, 3, v74
	s_cbranch_vccz .LBB2_1846
; %bb.1835:                             ;   in Loop: Header=BB2_1030 Depth=2
	v_mov_b32_e32 v45, 0
	s_and_saveexec_b32 s45, s14
	s_cbranch_execz .LBB2_1845
; %bb.1836:                             ;   in Loop: Header=BB2_1030 Depth=2
	v_bfrev_b32_e32 v45, 1
	s_mov_b32 s46, exec_lo
	v_cmpx_ne_u32_e32 0x80, v10
	s_cbranch_execz .LBB2_1844
; %bb.1837:                             ;   in Loop: Header=BB2_1030 Depth=2
	v_and_b32_e32 v45, 0x7c000000, v13
	v_bfe_u32 v46, v13, 24, 2
	s_delay_alu instid0(VALU_DEP_2) | instskip(SKIP_1) | instid1(SALU_CYCLE_1)
	v_cmp_ne_u32_e32 vcc_lo, 0x7c000000, v45
                                        ; implicit-def: $vgpr45
	s_and_saveexec_b32 s47, vcc_lo
	s_xor_b32 s47, exec_lo, s47
	s_cbranch_execz .LBB2_1841
; %bb.1838:                             ;   in Loop: Header=BB2_1030 Depth=2
	v_bfe_u32 v45, v13, 26, 5
	s_mov_b32 s56, exec_lo
	s_delay_alu instid0(VALU_DEP_1)
	v_cmpx_eq_u32_e32 0, v45
; %bb.1839:                             ;   in Loop: Header=BB2_1030 Depth=2
	v_clz_i32_u32_e32 v45, v46
	s_delay_alu instid0(VALU_DEP_1) | instskip(NEXT) | instid1(VALU_DEP_1)
	v_min_u32_e32 v45, 32, v45
	v_subrev_nc_u32_e32 v46, 29, v45
	s_delay_alu instid0(VALU_DEP_1) | instskip(NEXT) | instid1(VALU_DEP_1)
	v_lshlrev_b64_e32 v[46:47], v46, v[10:11]
	v_dual_sub_nc_u32 v45, 30, v45 :: v_dual_bitop2_b32 v46, 3, v46 bitop3:0x40
; %bb.1840:                             ;   in Loop: Header=BB2_1030 Depth=2
	s_or_b32 exec_lo, exec_lo, s56
	v_and_b32_e32 v47, 0x80000000, v13
	s_delay_alu instid0(VALU_DEP_1) | instskip(NEXT) | instid1(VALU_DEP_1)
	v_lshl_add_u32 v45, v45, 23, v47
	v_lshl_or_b32 v45, v46, 21, v45
                                        ; implicit-def: $vgpr46
	s_delay_alu instid0(VALU_DEP_1)
	v_add_nc_u32_e32 v45, 0x38000000, v45
.LBB2_1841:                             ;   in Loop: Header=BB2_1030 Depth=2
	s_and_not1_saveexec_b32 s47, s47
; %bb.1842:                             ;   in Loop: Header=BB2_1030 Depth=2
	v_cmp_lt_i64_e32 vcc_lo, -1, v[12:13]
	v_cndmask_b32_e32 v45, 0xff800000, v62, vcc_lo
	v_cmp_eq_u32_e32 vcc_lo, 0, v46
	s_delay_alu instid0(VALU_DEP_2)
	v_cndmask_b32_e32 v45, 0x7f800001, v45, vcc_lo
; %bb.1843:                             ;   in Loop: Header=BB2_1030 Depth=2
	s_or_b32 exec_lo, exec_lo, s47
.LBB2_1844:                             ;   in Loop: Header=BB2_1030 Depth=2
	s_delay_alu instid0(SALU_CYCLE_1)
	s_or_b32 exec_lo, exec_lo, s46
.LBB2_1845:                             ;   in Loop: Header=BB2_1030 Depth=2
	s_delay_alu instid0(SALU_CYCLE_1) | instskip(SKIP_4) | instid1(VALU_DEP_3)
	s_or_b32 exec_lo, exec_lo, s45
	v_cndmask_b32_e64 v46, v15, v17, s13
	v_cndmask_b32_e64 v47, v11, v101, s13
	s_mov_b32 s45, 0
	v_max_num_f32_e32 v45, v45, v45
	v_lshl_add_u32 v46, v46, 23, v38
	s_delay_alu instid0(VALU_DEP_1) | instskip(NEXT) | instid1(VALU_DEP_1)
	v_lshl_or_b32 v46, v47, 21, v46
	v_cndmask_b32_e64 v46, v46, v16, s12
	s_delay_alu instid0(VALU_DEP_1) | instskip(NEXT) | instid1(VALU_DEP_1)
	v_cndmask_b32_e64 v46, v46, 0x80000000, s11
	v_cndmask_b32_e64 v46, v46, 0, s10
	s_delay_alu instid0(VALU_DEP_1) | instskip(NEXT) | instid1(VALU_DEP_1)
	v_max_num_f32_e32 v46, v46, v46
	v_max_num_f32_e32 v45, v45, v46
.LBB2_1846:                             ;   in Loop: Header=BB2_1030 Depth=2
	s_and_b32 vcc_lo, exec_lo, s45
	s_cbranch_vccz .LBB2_1858
; %bb.1847:                             ;   in Loop: Header=BB2_1030 Depth=2
	v_mov_b32_e32 v45, 0
	s_and_saveexec_b32 s45, s14
	s_cbranch_execz .LBB2_1857
; %bb.1848:                             ;   in Loop: Header=BB2_1030 Depth=2
	v_bfrev_b32_e32 v45, 1
	s_mov_b32 s14, exec_lo
	v_cmpx_ne_u32_e32 0x80, v10
	s_cbranch_execz .LBB2_1856
; %bb.1849:                             ;   in Loop: Header=BB2_1030 Depth=2
	v_and_b32_e32 v45, 0x7c000000, v13
	v_bfe_u32 v46, v13, 24, 2
	s_delay_alu instid0(VALU_DEP_2) | instskip(SKIP_1) | instid1(SALU_CYCLE_1)
	v_cmp_ne_u32_e32 vcc_lo, 0x7c000000, v45
                                        ; implicit-def: $vgpr45
	s_and_saveexec_b32 s46, vcc_lo
	s_xor_b32 s46, exec_lo, s46
	s_cbranch_execz .LBB2_1853
; %bb.1850:                             ;   in Loop: Header=BB2_1030 Depth=2
	v_bfe_u32 v12, v13, 26, 5
	s_mov_b32 s47, exec_lo
	s_delay_alu instid0(VALU_DEP_1)
	v_cmpx_eq_u32_e32 0, v12
; %bb.1851:                             ;   in Loop: Header=BB2_1030 Depth=2
	v_clz_i32_u32_e32 v12, v46
	s_delay_alu instid0(VALU_DEP_1) | instskip(NEXT) | instid1(VALU_DEP_1)
	v_min_u32_e32 v12, 32, v12
	v_subrev_nc_u32_e32 v45, 29, v12
	s_delay_alu instid0(VALU_DEP_1) | instskip(NEXT) | instid1(VALU_DEP_1)
	v_lshlrev_b64_e32 v[46:47], v45, v[10:11]
	v_dual_sub_nc_u32 v12, 30, v12 :: v_dual_bitop2_b32 v46, 3, v46 bitop3:0x40
; %bb.1852:                             ;   in Loop: Header=BB2_1030 Depth=2
	s_or_b32 exec_lo, exec_lo, s47
	v_and_b32_e32 v10, 0x80000000, v13
	s_delay_alu instid0(VALU_DEP_1) | instskip(NEXT) | instid1(VALU_DEP_1)
	v_lshl_add_u32 v10, v12, 23, v10
                                        ; implicit-def: $vgpr12_vgpr13
	v_lshl_or_b32 v10, v46, 21, v10
                                        ; implicit-def: $vgpr46
	s_delay_alu instid0(VALU_DEP_1)
	v_add_nc_u32_e32 v45, 0x38000000, v10
.LBB2_1853:                             ;   in Loop: Header=BB2_1030 Depth=2
	s_and_not1_saveexec_b32 s46, s46
; %bb.1854:                             ;   in Loop: Header=BB2_1030 Depth=2
	v_cmp_lt_i64_e32 vcc_lo, -1, v[12:13]
	v_cndmask_b32_e32 v10, 0xff800000, v62, vcc_lo
	v_cmp_eq_u32_e32 vcc_lo, 0, v46
	s_delay_alu instid0(VALU_DEP_2)
	v_cndmask_b32_e32 v45, 0x7f800001, v10, vcc_lo
; %bb.1855:                             ;   in Loop: Header=BB2_1030 Depth=2
	s_or_b32 exec_lo, exec_lo, s46
.LBB2_1856:                             ;   in Loop: Header=BB2_1030 Depth=2
	s_delay_alu instid0(SALU_CYCLE_1)
	s_or_b32 exec_lo, exec_lo, s14
.LBB2_1857:                             ;   in Loop: Header=BB2_1030 Depth=2
	s_delay_alu instid0(SALU_CYCLE_1) | instskip(SKIP_2) | instid1(VALU_DEP_2)
	s_or_b32 exec_lo, exec_lo, s45
	v_cndmask_b32_e64 v10, v15, v17, s13
	v_cndmask_b32_e64 v11, v11, v101, s13
	v_lshl_add_u32 v10, v10, 23, v38
	s_delay_alu instid0(VALU_DEP_1) | instskip(NEXT) | instid1(VALU_DEP_1)
	v_lshl_or_b32 v10, v11, 21, v10
	v_dual_max_num_f32 v11, v45, v45 :: v_dual_cndmask_b32 v10, v10, v16, s12
	s_delay_alu instid0(VALU_DEP_1) | instskip(NEXT) | instid1(VALU_DEP_1)
	v_cndmask_b32_e64 v10, v10, 0x80000000, s11
	v_cndmask_b32_e64 v10, v10, 0, s10
	s_delay_alu instid0(VALU_DEP_1) | instskip(NEXT) | instid1(VALU_DEP_1)
	v_max_num_f32_e32 v10, v10, v10
	v_min_num_f32_e32 v45, v11, v10
.LBB2_1858:                             ;   in Loop: Header=BB2_1030 Depth=2
	s_delay_alu instid0(VALU_DEP_1) | instskip(SKIP_2) | instid1(VALU_DEP_2)
	v_and_b32_e32 v10, 0x7f800000, v45
	v_mov_b32_e32 v11, v39
	v_and_b32_e32 v38, 0x7fffff, v45
	v_cmp_ne_u64_e32 vcc_lo, 0x7f800000, v[10:11]
	v_lshrrev_b32_e32 v11, 24, v45
                                        ; implicit-def: $vgpr10
	s_and_saveexec_b32 s10, vcc_lo
	s_delay_alu instid0(SALU_CYCLE_1)
	s_xor_b32 s11, exec_lo, s10
	s_cbranch_execz .LBB2_1872
; %bb.1859:                             ;   in Loop: Header=BB2_1030 Depth=2
	v_and_b32_e32 v12, 0x7fffffff, v45
	v_mov_b32_e32 v13, v39
	v_and_b32_e32 v15, 0x80, v11
                                        ; implicit-def: $vgpr10
	s_mov_b32 s10, exec_lo
	s_delay_alu instid0(VALU_DEP_2)
	v_cmpx_gt_u64_e32 0x47600001, v[12:13]
	s_xor_b32 s12, exec_lo, s10
	s_cbranch_execz .LBB2_1869
; %bb.1860:                             ;   in Loop: Header=BB2_1030 Depth=2
	v_mov_b32_e32 v10, 0
	s_mov_b32 s13, exec_lo
	v_cmpx_ne_u32_e32 0, v45
	s_cbranch_execz .LBB2_1868
; %bb.1861:                             ;   in Loop: Header=BB2_1030 Depth=2
	v_bfe_u32 v16, v45, 23, 8
	v_or_b32_e32 v12, 0x800000, v38
	s_delay_alu instid0(VALU_DEP_2) | instskip(SKIP_1) | instid1(VALU_DEP_2)
	v_sub_nc_u32_e32 v10, 0x71, v16
	v_cmp_gt_u32_e32 vcc_lo, 0x72, v16
	v_cndmask_b32_e32 v10, 0, v10, vcc_lo
	v_cmp_eq_u32_e32 vcc_lo, 0, v16
	s_delay_alu instid0(VALU_DEP_2) | instskip(NEXT) | instid1(VALU_DEP_1)
	v_cndmask_b32_e64 v17, v10, 0x70, vcc_lo
	v_dual_cndmask_b32 v38, v12, v38, vcc_lo :: v_dual_add_nc_u32 v10, 21, v17
	v_add_nc_u32_e32 v13, 20, v17
	s_delay_alu instid0(VALU_DEP_2) | instskip(NEXT) | instid1(VALU_DEP_2)
	v_lshlrev_b64_e64 v[10:11], v10, -1
	v_lshlrev_b64_e64 v[12:13], v13, 1
	s_delay_alu instid0(VALU_DEP_2) | instskip(NEXT) | instid1(VALU_DEP_3)
	v_bfi_b32 v47, v11, 0, 0
	v_bfi_b32 v46, v10, 0, v38
	v_lshrrev_b64 v[10:11], v17, v[38:39]
	s_delay_alu instid0(VALU_DEP_2) | instskip(NEXT) | instid1(VALU_DEP_2)
	v_cmp_eq_u64_e64 s10, v[46:47], v[12:13]
	v_mov_b64_e32 v[12:13], v[10:11]
	s_and_saveexec_b32 s14, s10
; %bb.1862:                             ;   in Loop: Header=BB2_1030 Depth=2
	v_bfe_u32 v38, v10, 21, 1
	s_delay_alu instid0(VALU_DEP_1) | instskip(NEXT) | instid1(VALU_DEP_1)
	v_add_nc_u64_e32 v[12:13], v[10:11], v[38:39]
	v_add_nc_u64_e32 v[12:13], -1, v[12:13]
; %bb.1863:                             ;   in Loop: Header=BB2_1030 Depth=2
	s_or_b32 exec_lo, exec_lo, s14
	v_add_nc_u32_e32 v11, 0xffffff81, v16
	v_lshrrev_b32_e32 v13, 23, v10
	s_mov_b32 s10, exec_lo
	s_delay_alu instid0(VALU_DEP_2) | instskip(NEXT) | instid1(VALU_DEP_1)
	v_cndmask_b32_e64 v11, v11, 0xffffff82, vcc_lo
	v_add3_u32 v13, v17, v11, v13
	v_and_b32_e32 v11, 0x1fffff, v12
                                        ; implicit-def: $vgpr12
	s_delay_alu instid0(VALU_DEP_1) | instskip(NEXT) | instid1(VALU_DEP_1)
	v_dual_add_nc_u32 v16, 14, v13 :: v_dual_add_nc_u32 v38, v11, v10
                                        ; implicit-def: $vgpr10_vgpr11
	v_cmpx_ne_u32_e32 0, v16
	s_xor_b32 s10, exec_lo, s10
; %bb.1864:                             ;   in Loop: Header=BB2_1030 Depth=2
	s_delay_alu instid0(VALU_DEP_2) | instskip(SKIP_1) | instid1(VALU_DEP_1)
	v_cmp_lt_u64_e32 vcc_lo, 0xffffff, v[38:39]
	v_add_nc_u32_e32 v10, 15, v13
	v_cndmask_b32_e32 v12, v16, v10, vcc_lo
	v_cndmask_b32_e64 v10, 0, 1, vcc_lo
	s_delay_alu instid0(VALU_DEP_1)
	v_lshrrev_b64 v[10:11], v10, v[38:39]
; %bb.1865:                             ;   in Loop: Header=BB2_1030 Depth=2
	s_and_not1_saveexec_b32 s10, s10
; %bb.1866:                             ;   in Loop: Header=BB2_1030 Depth=2
	v_mov_b64_e32 v[10:11], v[38:39]
	v_bfe_u32 v12, v38, 23, 1
; %bb.1867:                             ;   in Loop: Header=BB2_1030 Depth=2
	s_or_b32 exec_lo, exec_lo, s10
	s_delay_alu instid0(VALU_DEP_2) | instskip(NEXT) | instid1(VALU_DEP_2)
	v_lshrrev_b64 v[10:11], 21, v[10:11]
	v_cmp_gt_i32_e32 vcc_lo, 32, v12
	v_min_i32_e32 v13, 31, v12
	v_cmp_eq_u32_e64 s10, 0, v12
	s_delay_alu instid0(VALU_DEP_2) | instskip(SKIP_1) | instid1(VALU_DEP_2)
	v_dual_cndmask_b32 v11, 0, v11, vcc_lo :: v_dual_lshlrev_b32 v13, 2, v13
	v_cndmask_b32_e32 v10, 3, v10, vcc_lo
	v_and_b32_e32 v13, 0xfc, v13
	s_delay_alu instid0(VALU_DEP_2) | instskip(NEXT) | instid1(VALU_DEP_2)
	v_cmp_eq_u64_e32 vcc_lo, 0, v[10:11]
	v_and_or_b32 v10, v10, 3, v13
	s_and_b32 s10, s10, vcc_lo
	s_delay_alu instid0(VALU_DEP_1) | instid1(SALU_CYCLE_1)
	v_cndmask_b32_e64 v10, v10, 0, s10
	s_delay_alu instid0(VALU_DEP_1)
	v_or_b32_e32 v10, v10, v15
.LBB2_1868:                             ;   in Loop: Header=BB2_1030 Depth=2
	s_or_b32 exec_lo, exec_lo, s13
                                        ; implicit-def: $vgpr15
.LBB2_1869:                             ;   in Loop: Header=BB2_1030 Depth=2
	s_and_not1_saveexec_b32 s10, s12
; %bb.1870:                             ;   in Loop: Header=BB2_1030 Depth=2
	v_or_b32_e32 v10, 0x7b, v15
; %bb.1871:                             ;   in Loop: Header=BB2_1030 Depth=2
	s_or_b32 exec_lo, exec_lo, s10
                                        ; implicit-def: $vgpr45
                                        ; implicit-def: $vgpr11
.LBB2_1872:                             ;   in Loop: Header=BB2_1030 Depth=2
	s_and_not1_saveexec_b32 s10, s11
	s_cbranch_execz .LBB2_1029
; %bb.1873:                             ;   in Loop: Header=BB2_1030 Depth=2
	s_mov_b32 s11, exec_lo
                                        ; implicit-def: $vgpr10
	v_cmpx_ne_u64_e32 0, v[38:39]
	s_xor_b32 s11, exec_lo, s11
; %bb.1874:                             ;   in Loop: Header=BB2_1030 Depth=2
	v_or_b32_e32 v10, 0x7f, v11
                                        ; implicit-def: $vgpr45
; %bb.1875:                             ;   in Loop: Header=BB2_1030 Depth=2
	s_and_not1_saveexec_b32 s11, s11
	s_cbranch_execz .LBB2_1028
; %bb.1876:                             ;   in Loop: Header=BB2_1030 Depth=2
	v_cmp_lt_i32_e32 vcc_lo, -1, v45
	v_cndmask_b32_e32 v10, 0xfc, v63, vcc_lo
	s_branch .LBB2_1028
.LBB2_1877:                             ;   in Loop: Header=BB2_1030 Depth=2
	s_or_saveexec_b32 s14, s14
	v_bfrev_b32_e32 v118, 1
	s_xor_b32 exec_lo, exec_lo, s14
	s_cbranch_execz .LBB2_1045
.LBB2_1878:                             ;   in Loop: Header=BB2_1030 Depth=2
	v_cmp_ne_u16_e32 vcc_lo, 0, v119
	v_mov_b32_e32 v118, 0
	s_and_not1_b32 s13, s13, exec_lo
	s_and_b32 s45, vcc_lo, exec_lo
	s_delay_alu instid0(SALU_CYCLE_1)
	s_or_b32 s13, s13, s45
	s_or_b32 exec_lo, exec_lo, s14
	s_and_saveexec_b32 s14, s13
	s_cbranch_execnz .LBB2_1046
	s_branch .LBB2_1047
.LBB2_1879:                             ;   in Loop: Header=BB2_1030 Depth=2
	s_or_saveexec_b32 s13, s13
	v_bfrev_b32_e32 v112, 1
	s_xor_b32 exec_lo, exec_lo, s13
	s_cbranch_execz .LBB2_1063
.LBB2_1880:                             ;   in Loop: Header=BB2_1030 Depth=2
	v_cmp_ne_u16_e32 vcc_lo, 0, v113
	v_mov_b32_e32 v112, 0
	s_and_not1_b32 s12, s12, exec_lo
	s_and_b32 s14, vcc_lo, exec_lo
	s_delay_alu instid0(SALU_CYCLE_1)
	s_or_b32 s12, s12, s14
	s_or_b32 exec_lo, exec_lo, s13
	s_and_saveexec_b32 s13, s12
	s_cbranch_execnz .LBB2_1064
	s_branch .LBB2_1065
.LBB2_1881:                             ;   in Loop: Header=BB2_1030 Depth=2
	s_or_saveexec_b32 s14, s14
	v_bfrev_b32_e32 v40, 1
	s_xor_b32 exec_lo, exec_lo, s14
	s_cbranch_execz .LBB2_1101
.LBB2_1882:                             ;   in Loop: Header=BB2_1030 Depth=2
	v_cmp_ne_u16_e32 vcc_lo, 0, v38
	v_mov_b32_e32 v40, 0
	s_and_not1_b32 s13, s13, exec_lo
	s_and_b32 s45, vcc_lo, exec_lo
	s_delay_alu instid0(SALU_CYCLE_1)
	s_or_b32 s13, s13, s45
	s_or_b32 exec_lo, exec_lo, s14
	s_and_saveexec_b32 s14, s13
	s_cbranch_execnz .LBB2_1102
	s_branch .LBB2_1103
.LBB2_1883:                             ;   in Loop: Header=BB2_1030 Depth=2
	s_or_saveexec_b32 s13, s13
	v_bfrev_b32_e32 v100, 1
	s_xor_b32 exec_lo, exec_lo, s13
	s_cbranch_execz .LBB2_1119
.LBB2_1884:                             ;   in Loop: Header=BB2_1030 Depth=2
	v_cmp_ne_u16_e32 vcc_lo, 0, v38
	v_mov_b32_e32 v100, 0
	s_and_not1_b32 s12, s12, exec_lo
	s_and_b32 s14, vcc_lo, exec_lo
	s_delay_alu instid0(SALU_CYCLE_1)
	s_or_b32 s12, s12, s14
	s_or_b32 exec_lo, exec_lo, s13
	s_and_saveexec_b32 s13, s12
	s_cbranch_execnz .LBB2_1120
	s_branch .LBB2_1121
.LBB2_1885:                             ;   in Loop: Header=BB2_1030 Depth=2
	s_or_saveexec_b32 s14, s14
	v_bfrev_b32_e32 v41, 1
	s_xor_b32 exec_lo, exec_lo, s14
	s_cbranch_execz .LBB2_1157
.LBB2_1886:                             ;   in Loop: Header=BB2_1030 Depth=2
	v_cmp_ne_u16_e32 vcc_lo, 0, v42
	v_mov_b32_e32 v41, 0
	s_and_not1_b32 s13, s13, exec_lo
	s_and_b32 s45, vcc_lo, exec_lo
	s_delay_alu instid0(SALU_CYCLE_1)
	s_or_b32 s13, s13, s45
	s_or_b32 exec_lo, exec_lo, s14
	s_and_saveexec_b32 s14, s13
	s_cbranch_execnz .LBB2_1158
	s_branch .LBB2_1159
.LBB2_1887:                             ;   in Loop: Header=BB2_1030 Depth=2
	s_or_saveexec_b32 s13, s13
	v_bfrev_b32_e32 v30, 1
	s_xor_b32 exec_lo, exec_lo, s13
	s_cbranch_execz .LBB2_1175
.LBB2_1888:                             ;   in Loop: Header=BB2_1030 Depth=2
	v_cmp_ne_u16_e32 vcc_lo, 0, v113
	v_mov_b32_e32 v30, 0
	s_and_not1_b32 s12, s12, exec_lo
	s_and_b32 s14, vcc_lo, exec_lo
	s_delay_alu instid0(SALU_CYCLE_1)
	s_or_b32 s12, s12, s14
	s_or_b32 exec_lo, exec_lo, s13
	s_and_saveexec_b32 s13, s12
	s_cbranch_execnz .LBB2_1176
	s_branch .LBB2_1177
.LBB2_1889:                             ;   in Loop: Header=BB2_1030 Depth=2
	s_or_saveexec_b32 s14, s14
	v_bfrev_b32_e32 v45, 1
	s_xor_b32 exec_lo, exec_lo, s14
	s_cbranch_execz .LBB2_1257
.LBB2_1890:                             ;   in Loop: Header=BB2_1030 Depth=2
	v_cmp_ne_u16_e32 vcc_lo, 0, v46
	v_mov_b32_e32 v45, 0
	s_and_not1_b32 s13, s13, exec_lo
	s_and_b32 s45, vcc_lo, exec_lo
	s_delay_alu instid0(SALU_CYCLE_1)
	s_or_b32 s13, s13, s45
	s_or_b32 exec_lo, exec_lo, s14
	s_and_saveexec_b32 s14, s13
	s_cbranch_execnz .LBB2_1258
	s_branch .LBB2_1259
.LBB2_1891:                             ;   in Loop: Header=BB2_1030 Depth=2
	s_or_saveexec_b32 s13, s13
	v_bfrev_b32_e32 v101, 1
	s_xor_b32 exec_lo, exec_lo, s13
	s_cbranch_execz .LBB2_1275
.LBB2_1892:                             ;   in Loop: Header=BB2_1030 Depth=2
	v_cmp_ne_u16_e32 vcc_lo, 0, v42
	v_mov_b32_e32 v101, 0
	s_and_not1_b32 s12, s12, exec_lo
	s_and_b32 s14, vcc_lo, exec_lo
	s_delay_alu instid0(SALU_CYCLE_1)
	s_or_b32 s12, s12, s14
	s_or_b32 exec_lo, exec_lo, s13
	s_and_saveexec_b32 s13, s12
	s_cbranch_execnz .LBB2_1276
	s_branch .LBB2_1277
.LBB2_1893:                             ;   in Loop: Header=BB2_1030 Depth=2
	s_or_saveexec_b32 s14, s14
	v_bfrev_b32_e32 v45, 1
	s_xor_b32 exec_lo, exec_lo, s14
	s_cbranch_execz .LBB2_1313
.LBB2_1894:                             ;   in Loop: Header=BB2_1030 Depth=2
	v_cmp_ne_u16_e32 vcc_lo, 0, v102
	v_mov_b32_e32 v45, 0
	s_and_not1_b32 s13, s13, exec_lo
	s_and_b32 s45, vcc_lo, exec_lo
	s_delay_alu instid0(SALU_CYCLE_1)
	s_or_b32 s13, s13, s45
	s_or_b32 exec_lo, exec_lo, s14
	s_and_saveexec_b32 s14, s13
	s_cbranch_execnz .LBB2_1314
	s_branch .LBB2_1315
.LBB2_1895:                             ;   in Loop: Header=BB2_1030 Depth=2
	s_or_saveexec_b32 s13, s13
	v_bfrev_b32_e32 v100, 1
	s_xor_b32 exec_lo, exec_lo, s13
	s_cbranch_execz .LBB2_1331
.LBB2_1896:                             ;   in Loop: Header=BB2_1030 Depth=2
	v_cmp_ne_u16_e32 vcc_lo, 0, v102
	v_mov_b32_e32 v100, 0
	s_and_not1_b32 s12, s12, exec_lo
	s_and_b32 s14, vcc_lo, exec_lo
	s_delay_alu instid0(SALU_CYCLE_1)
	s_or_b32 s12, s12, s14
	s_or_b32 exec_lo, exec_lo, s13
	s_and_saveexec_b32 s13, s12
	s_cbranch_execnz .LBB2_1332
	s_branch .LBB2_1333
.LBB2_1897:                             ;   in Loop: Header=BB2_1030 Depth=2
	s_or_saveexec_b32 s14, s14
	v_bfrev_b32_e32 v45, 1
	s_xor_b32 exec_lo, exec_lo, s14
	s_cbranch_execz .LBB2_1369
.LBB2_1898:                             ;   in Loop: Header=BB2_1030 Depth=2
	v_cmp_ne_u16_e32 vcc_lo, 0, v46
	v_mov_b32_e32 v45, 0
	s_and_not1_b32 s13, s13, exec_lo
	s_and_b32 s45, vcc_lo, exec_lo
	s_delay_alu instid0(SALU_CYCLE_1)
	s_or_b32 s13, s13, s45
	s_or_b32 exec_lo, exec_lo, s14
	s_and_saveexec_b32 s14, s13
	s_cbranch_execnz .LBB2_1370
	s_branch .LBB2_1371
.LBB2_1899:                             ;   in Loop: Header=BB2_1030 Depth=2
	s_or_saveexec_b32 s13, s13
	v_bfrev_b32_e32 v30, 1
	s_xor_b32 exec_lo, exec_lo, s13
	s_cbranch_execz .LBB2_1387
.LBB2_1900:                             ;   in Loop: Header=BB2_1030 Depth=2
	v_cmp_ne_u16_e32 vcc_lo, 0, v42
	v_mov_b32_e32 v30, 0
	s_and_not1_b32 s12, s12, exec_lo
	s_and_b32 s14, vcc_lo, exec_lo
	s_delay_alu instid0(SALU_CYCLE_1)
	s_or_b32 s12, s12, s14
	s_or_b32 exec_lo, exec_lo, s13
	s_and_saveexec_b32 s13, s12
	s_cbranch_execnz .LBB2_1388
	s_branch .LBB2_1389
.LBB2_1901:                             ;   in Loop: Header=BB2_1030 Depth=2
	s_or_saveexec_b32 s14, s14
	v_bfrev_b32_e32 v42, 1
	s_xor_b32 exec_lo, exec_lo, s14
	s_cbranch_execz .LBB2_1469
.LBB2_1902:                             ;   in Loop: Header=BB2_1030 Depth=2
	v_cmp_ne_u16_e32 vcc_lo, 0, v43
	v_mov_b32_e32 v42, 0
	s_and_not1_b32 s13, s13, exec_lo
	s_and_b32 s45, vcc_lo, exec_lo
	s_delay_alu instid0(SALU_CYCLE_1)
	s_or_b32 s13, s13, s45
	s_or_b32 exec_lo, exec_lo, s14
	s_and_saveexec_b32 s14, s13
	s_cbranch_execnz .LBB2_1470
	s_branch .LBB2_1471
.LBB2_1903:                             ;   in Loop: Header=BB2_1030 Depth=2
	s_or_saveexec_b32 s13, s13
	v_bfrev_b32_e32 v101, 1
	s_xor_b32 exec_lo, exec_lo, s13
	s_cbranch_execz .LBB2_1487
.LBB2_1904:                             ;   in Loop: Header=BB2_1030 Depth=2
	v_cmp_ne_u16_e32 vcc_lo, 0, v103
	v_mov_b32_e32 v101, 0
	s_and_not1_b32 s12, s12, exec_lo
	s_and_b32 s14, vcc_lo, exec_lo
	s_delay_alu instid0(SALU_CYCLE_1)
	s_or_b32 s12, s12, s14
	s_or_b32 exec_lo, exec_lo, s13
	s_and_saveexec_b32 s13, s12
	s_cbranch_execnz .LBB2_1488
	s_branch .LBB2_1489
.LBB2_1905:                             ;   in Loop: Header=BB2_1030 Depth=2
	s_or_saveexec_b32 s14, s14
	v_bfrev_b32_e32 v44, 1
	s_xor_b32 exec_lo, exec_lo, s14
	s_cbranch_execz .LBB2_1525
.LBB2_1906:                             ;   in Loop: Header=BB2_1030 Depth=2
	v_cmp_ne_u16_e32 vcc_lo, 0, v38
	v_mov_b32_e32 v44, 0
	s_and_not1_b32 s13, s13, exec_lo
	s_and_b32 s45, vcc_lo, exec_lo
	s_delay_alu instid0(SALU_CYCLE_1)
	s_or_b32 s13, s13, s45
	s_or_b32 exec_lo, exec_lo, s14
	s_and_saveexec_b32 s14, s13
	s_cbranch_execnz .LBB2_1526
	s_branch .LBB2_1527
.LBB2_1907:                             ;   in Loop: Header=BB2_1030 Depth=2
	s_or_saveexec_b32 s13, s13
	v_bfrev_b32_e32 v10, 1
	s_xor_b32 exec_lo, exec_lo, s13
	s_cbranch_execz .LBB2_1543
.LBB2_1908:                             ;   in Loop: Header=BB2_1030 Depth=2
	v_cmp_ne_u16_e32 vcc_lo, 0, v38
	v_mov_b32_e32 v10, 0
	s_and_not1_b32 s12, s12, exec_lo
	s_and_b32 s14, vcc_lo, exec_lo
	s_delay_alu instid0(SALU_CYCLE_1)
	s_or_b32 s12, s12, s14
	s_or_b32 exec_lo, exec_lo, s13
	s_and_saveexec_b32 s13, s12
	s_cbranch_execnz .LBB2_1544
	s_branch .LBB2_1545
.LBB2_1909:                             ;   in Loop: Header=BB2_1030 Depth=2
	s_or_saveexec_b32 s14, s14
	v_bfrev_b32_e32 v45, 1
	s_xor_b32 exec_lo, exec_lo, s14
	s_cbranch_execz .LBB2_1581
.LBB2_1910:                             ;   in Loop: Header=BB2_1030 Depth=2
	v_cmp_ne_u16_e32 vcc_lo, 0, v46
	v_mov_b32_e32 v45, 0
	s_and_not1_b32 s13, s13, exec_lo
	s_and_b32 s45, vcc_lo, exec_lo
	s_delay_alu instid0(SALU_CYCLE_1)
	s_or_b32 s13, s13, s45
	s_or_b32 exec_lo, exec_lo, s14
	s_and_saveexec_b32 s14, s13
	s_cbranch_execnz .LBB2_1582
	s_branch .LBB2_1583
.LBB2_1911:                             ;   in Loop: Header=BB2_1030 Depth=2
	s_or_saveexec_b32 s13, s13
	v_bfrev_b32_e32 v10, 1
	s_xor_b32 exec_lo, exec_lo, s13
	s_cbranch_execz .LBB2_1599
.LBB2_1912:                             ;   in Loop: Header=BB2_1030 Depth=2
	v_cmp_ne_u16_e32 vcc_lo, 0, v42
	v_mov_b32_e32 v10, 0
	s_and_not1_b32 s12, s12, exec_lo
	s_and_b32 s14, vcc_lo, exec_lo
	s_delay_alu instid0(SALU_CYCLE_1)
	s_or_b32 s12, s12, s14
	s_or_b32 exec_lo, exec_lo, s13
	s_and_saveexec_b32 s13, s12
	s_cbranch_execnz .LBB2_1600
	s_branch .LBB2_1601
.LBB2_1913:                             ;   in Loop: Header=BB2_1030 Depth=2
	s_or_saveexec_b32 s14, s14
	v_bfrev_b32_e32 v73, 1
	s_xor_b32 exec_lo, exec_lo, s14
	s_cbranch_execz .LBB2_1681
.LBB2_1914:                             ;   in Loop: Header=BB2_1030 Depth=2
	v_cmp_ne_u16_e32 vcc_lo, 0, v74
	v_mov_b32_e32 v73, 0
	s_and_not1_b32 s13, s13, exec_lo
	s_and_b32 s45, vcc_lo, exec_lo
	s_delay_alu instid0(SALU_CYCLE_1)
	s_or_b32 s13, s13, s45
	s_or_b32 exec_lo, exec_lo, s14
	s_and_saveexec_b32 s14, s13
	s_cbranch_execnz .LBB2_1682
	s_branch .LBB2_1683
.LBB2_1915:                             ;   in Loop: Header=BB2_1030 Depth=2
	s_or_saveexec_b32 s13, s13
	v_bfrev_b32_e32 v45, 1
	s_xor_b32 exec_lo, exec_lo, s13
	s_cbranch_execz .LBB2_1699
.LBB2_1916:                             ;   in Loop: Header=BB2_1030 Depth=2
	v_cmp_ne_u16_e32 vcc_lo, 0, v46
	v_mov_b32_e32 v45, 0
	s_and_not1_b32 s12, s12, exec_lo
	s_and_b32 s14, vcc_lo, exec_lo
	s_delay_alu instid0(SALU_CYCLE_1)
	s_or_b32 s12, s12, s14
	s_or_b32 exec_lo, exec_lo, s13
	s_and_saveexec_b32 s13, s12
	s_cbranch_execnz .LBB2_1700
	s_branch .LBB2_1701
.LBB2_1917:                             ;   in Loop: Header=BB2_1030 Depth=2
	s_or_saveexec_b32 s14, s14
	v_bfrev_b32_e32 v74, 1
	s_xor_b32 exec_lo, exec_lo, s14
	s_cbranch_execz .LBB2_1737
.LBB2_1918:                             ;   in Loop: Header=BB2_1030 Depth=2
	v_cmp_ne_u16_e32 vcc_lo, 0, v14
	v_mov_b32_e32 v74, 0
	s_and_not1_b32 s13, s13, exec_lo
	s_and_b32 s45, vcc_lo, exec_lo
	s_delay_alu instid0(SALU_CYCLE_1)
	s_or_b32 s13, s13, s45
	s_or_b32 exec_lo, exec_lo, s14
	s_and_saveexec_b32 s14, s13
	s_cbranch_execnz .LBB2_1738
	s_branch .LBB2_1739
.LBB2_1919:                             ;   in Loop: Header=BB2_1030 Depth=2
	s_or_saveexec_b32 s13, s13
	v_bfrev_b32_e32 v38, 1
	s_xor_b32 exec_lo, exec_lo, s13
	s_cbranch_execz .LBB2_1755
.LBB2_1920:                             ;   in Loop: Header=BB2_1030 Depth=2
	v_cmp_ne_u16_e32 vcc_lo, 0, v14
	v_mov_b32_e32 v38, 0
	s_and_not1_b32 s12, s12, exec_lo
	s_and_b32 s14, vcc_lo, exec_lo
	s_delay_alu instid0(SALU_CYCLE_1)
	s_or_b32 s12, s12, s14
	s_or_b32 exec_lo, exec_lo, s13
	s_and_saveexec_b32 s13, s12
	s_cbranch_execnz .LBB2_1756
	s_branch .LBB2_1757
.LBB2_1921:                             ;   in Loop: Header=BB2_1030 Depth=2
	s_or_saveexec_b32 s14, s14
	v_bfrev_b32_e32 v74, 1
	s_xor_b32 exec_lo, exec_lo, s14
	s_cbranch_execz .LBB2_1793
.LBB2_1922:                             ;   in Loop: Header=BB2_1030 Depth=2
	v_cmp_ne_u16_e32 vcc_lo, 0, v75
	v_mov_b32_e32 v74, 0
	s_and_not1_b32 s13, s13, exec_lo
	s_and_b32 s45, vcc_lo, exec_lo
	s_delay_alu instid0(SALU_CYCLE_1)
	s_or_b32 s13, s13, s45
	s_or_b32 exec_lo, exec_lo, s14
	s_and_saveexec_b32 s14, s13
	s_cbranch_execnz .LBB2_1794
	s_branch .LBB2_1795
.LBB2_1923:                             ;   in Loop: Header=BB2_1030 Depth=2
	s_or_saveexec_b32 s13, s13
	v_bfrev_b32_e32 v10, 1
	s_xor_b32 exec_lo, exec_lo, s13
	s_cbranch_execz .LBB2_1811
.LBB2_1924:                             ;   in Loop: Header=BB2_1030 Depth=2
	v_cmp_ne_u16_e32 vcc_lo, 0, v46
	v_mov_b32_e32 v10, 0
	s_and_not1_b32 s12, s12, exec_lo
	s_and_b32 s14, vcc_lo, exec_lo
	s_delay_alu instid0(SALU_CYCLE_1)
	s_or_b32 s12, s12, s14
	s_or_b32 exec_lo, exec_lo, s13
	s_and_saveexec_b32 s13, s12
	s_cbranch_execnz .LBB2_1812
	s_branch .LBB2_1813
.LBB2_1925:                             ;   in Loop: Header=BB2_49 Depth=1
	s_or_b32 exec_lo, exec_lo, s43
.LBB2_1926:                             ;   in Loop: Header=BB2_49 Depth=1
	s_delay_alu instid0(SALU_CYCLE_1) | instskip(SKIP_3) | instid1(VALU_DEP_1)
	s_or_b32 exec_lo, exec_lo, s42
	v_cmp_lt_i32_e32 vcc_lo, 0, v115
	s_mov_b32 s11, exec_lo
	v_cndmask_b32_e32 v10, 0, v48, vcc_lo
	v_sub_nc_u32_e32 v10, v10, v115
	s_delay_alu instid0(VALU_DEP_1)
	v_lshl_add_u32 v30, v10, 5, v114
.LBB2_1927:                             ;   in Loop: Header=BB2_49 Depth=1
	s_or_b32 exec_lo, exec_lo, s15
	s_and_saveexec_b32 s13, s11
	s_cbranch_execz .LBB2_2548
.LBB2_1928:                             ;   in Loop: Header=BB2_49 Depth=1
	s_delay_alu instid0(VALU_DEP_1) | instskip(SKIP_1) | instid1(VALU_DEP_1)
	v_dual_ashrrev_i32 v10, 31, v30 :: v_dual_lshrrev_b32 v11, 8, v72
	s_mov_b32 s11, exec_lo
	v_lshrrev_b32_e32 v10, 27, v10
	s_delay_alu instid0(VALU_DEP_1) | instskip(NEXT) | instid1(VALU_DEP_1)
	v_add_nc_u32_e32 v10, v30, v10
	v_ashrrev_i32_e32 v73, 5, v10
	s_delay_alu instid0(VALU_DEP_1) | instskip(NEXT) | instid1(VALU_DEP_1)
	v_sub_nc_u32_e32 v74, v11, v73
	v_cmpx_lt_i32_e32 0, v74
	s_cbranch_execz .LBB2_2476
; %bb.1929:                             ;   in Loop: Header=BB2_49 Depth=1
	v_and_b32_e32 v10, 0xffffffe0, v10
	s_trap 2
	ds_load_b64 v[12:13], v0
	v_lshlrev_b32_e32 v11, 8, v73
	v_add_nc_u64_e32 v[16:17], 0xe0, v[84:85]
	v_sub_nc_u32_e32 v10, v30, v10
	s_bitcmp1_b32 s41, 0
	s_mov_b32 s12, 0
	s_cselect_b32 s14, -1, 0
	s_delay_alu instid0(VALU_DEP_1) | instskip(NEXT) | instid1(VALU_DEP_1)
	v_add3_u32 v14, v81, v10, v11
	v_ashrrev_i32_e32 v15, 31, v14
	s_delay_alu instid0(VALU_DEP_1)
	v_add_nc_u64_e32 v[10:11], v[14:15], v[82:83]
	s_wait_dscnt 0x0
	v_add_nc_u64_e32 v[12:13], v[12:13], v[14:15]
	v_add_nc_u64_e32 v[14:15], v[16:17], v[14:15]
	s_branch .LBB2_1932
.LBB2_1930:                             ;   in Loop: Header=BB2_1932 Depth=2
	s_or_b32 exec_lo, exec_lo, s15
.LBB2_1931:                             ;   in Loop: Header=BB2_1932 Depth=2
	s_delay_alu instid0(SALU_CYCLE_1)
	s_or_b32 exec_lo, exec_lo, s10
	v_sub_nc_u32_e32 v74, v74, v48
	s_clause 0x7
	flat_store_b8 v[14:15], v45 offset:-224 th:TH_STORE_NT
	flat_store_b8 v[14:15], v41 offset:-192 th:TH_STORE_NT
	;; [unrolled: 1-line block ×7, first 2 shown]
	flat_store_b8 v[14:15], v17 th:TH_STORE_NT
	v_add_nc_u64_e32 v[10:11], v[10:11], v[54:55]
	v_add_nc_u64_e32 v[12:13], v[12:13], v[54:55]
	s_wait_xcnt 0x0
	v_add_nc_u64_e32 v[14:15], v[14:15], v[54:55]
	v_cmp_gt_i32_e32 vcc_lo, 1, v74
	s_or_b32 s12, vcc_lo, s12
	s_delay_alu instid0(SALU_CYCLE_1)
	s_and_not1_b32 exec_lo, exec_lo, s12
	s_cbranch_execz .LBB2_2475
.LBB2_1932:                             ;   Parent Loop BB2_49 Depth=1
                                        ; =>  This Inner Loop Header: Depth=2
	s_clause 0x7
	flat_load_u8 v83, v[10:11] th:TH_LOAD_NT
	flat_load_i8 v42, v[10:11] offset:32 th:TH_LOAD_NT
	flat_load_i8 v118, v[10:11] offset:64 th:TH_LOAD_NT
	;; [unrolled: 1-line block ×7, first 2 shown]
	s_clause 0x7
	flat_load_i8 v44, v[12:13] th:TH_LOAD_NT
	flat_load_i8 v40, v[12:13] offset:32 th:TH_LOAD_NT
	flat_load_i8 v116, v[12:13] offset:64 th:TH_LOAD_NT
	;; [unrolled: 1-line block ×7, first 2 shown]
	s_and_b32 vcc_lo, exec_lo, s14
	s_mov_b32 s15, -1
	s_wait_loadcnt_dscnt 0xf0f
	v_bfe_i32 v38, v83, 0, 8
	v_and_b32_e32 v17, 0xffff, v83
	v_cmp_ne_u16_e64 s10, 0, v83
                                        ; implicit-def: $vgpr83
	s_cbranch_vccz .LBB2_1954
; %bb.1933:                             ;   in Loop: Header=BB2_1932 Depth=2
	v_dual_mov_b32 v85, 0 :: v_dual_mov_b32 v83, 0
	s_wait_xcnt 0x0
	s_and_saveexec_b32 s15, s10
	s_cbranch_execz .LBB2_1943
; %bb.1934:                             ;   in Loop: Header=BB2_1932 Depth=2
	v_bfrev_b32_e32 v83, 1
	s_mov_b32 s42, exec_lo
	v_cmpx_ne_u16_e32 0xff80, v38
	s_cbranch_execz .LBB2_1942
; %bb.1935:                             ;   in Loop: Header=BB2_1932 Depth=2
	v_and_b32_e32 v83, 0x7c, v17
	v_and_b32_e32 v87, 3, v17
	s_delay_alu instid0(VALU_DEP_2) | instskip(SKIP_1) | instid1(SALU_CYCLE_1)
	v_cmp_ne_u32_e32 vcc_lo, 0x7c, v83
                                        ; implicit-def: $vgpr83
	s_and_saveexec_b32 s43, vcc_lo
	s_xor_b32 s43, exec_lo, s43
	s_cbranch_execz .LBB2_1939
; %bb.1936:                             ;   in Loop: Header=BB2_1932 Depth=2
	v_bfe_u32 v83, v17, 2, 5
	s_mov_b32 s44, exec_lo
	s_delay_alu instid0(VALU_DEP_1)
	v_cmpx_eq_u32_e32 0, v83
; %bb.1937:                             ;   in Loop: Header=BB2_1932 Depth=2
	v_clz_i32_u32_e32 v83, v87
	s_delay_alu instid0(VALU_DEP_1) | instskip(NEXT) | instid1(VALU_DEP_1)
	v_min_u32_e32 v83, 32, v83
	v_subrev_nc_u32_e32 v87, 29, v83
	s_delay_alu instid0(VALU_DEP_1) | instskip(NEXT) | instid1(VALU_DEP_1)
	v_lshlrev_b64_e32 v[46:47], v87, v[38:39]
	v_dual_sub_nc_u32 v83, 30, v83 :: v_dual_bitop2_b32 v87, 3, v46 bitop3:0x40
; %bb.1938:                             ;   in Loop: Header=BB2_1932 Depth=2
	s_or_b32 exec_lo, exec_lo, s44
	v_bfe_i32 v97, v38, 0, 16
	s_delay_alu instid0(VALU_DEP_1) | instskip(NEXT) | instid1(VALU_DEP_1)
	v_and_b32_e32 v97, 0x80000000, v97
	v_lshl_add_u32 v83, v83, 23, v97
	s_delay_alu instid0(VALU_DEP_1) | instskip(NEXT) | instid1(VALU_DEP_1)
	v_lshl_or_b32 v83, v87, 21, v83
                                        ; implicit-def: $vgpr87
	v_add_nc_u32_e32 v83, 0x38000000, v83
.LBB2_1939:                             ;   in Loop: Header=BB2_1932 Depth=2
	s_and_not1_saveexec_b32 s43, s43
; %bb.1940:                             ;   in Loop: Header=BB2_1932 Depth=2
	v_cmp_lt_i16_e32 vcc_lo, -1, v38
	v_cndmask_b32_e32 v83, 0xff800000, v62, vcc_lo
	v_cmp_eq_u32_e32 vcc_lo, 0, v87
	s_delay_alu instid0(VALU_DEP_2)
	v_cndmask_b32_e32 v83, 0x7f800001, v83, vcc_lo
; %bb.1941:                             ;   in Loop: Header=BB2_1932 Depth=2
	s_or_b32 exec_lo, exec_lo, s43
.LBB2_1942:                             ;   in Loop: Header=BB2_1932 Depth=2
	s_delay_alu instid0(SALU_CYCLE_1)
	s_or_b32 exec_lo, exec_lo, s42
.LBB2_1943:                             ;   in Loop: Header=BB2_1932 Depth=2
	s_delay_alu instid0(SALU_CYCLE_1) | instskip(NEXT) | instid1(SALU_CYCLE_1)
	s_or_b32 exec_lo, exec_lo, s15
	s_mov_b32 s15, exec_lo
	s_wait_loadcnt_dscnt 0x707
	v_cmpx_ne_u16_e32 0, v44
	s_cbranch_execz .LBB2_1953
; %bb.1944:                             ;   in Loop: Header=BB2_1932 Depth=2
	v_bfrev_b32_e32 v85, 1
	s_mov_b32 s42, exec_lo
	v_cmpx_ne_u16_e32 0xff80, v44
	s_cbranch_execz .LBB2_1952
; %bb.1945:                             ;   in Loop: Header=BB2_1932 Depth=2
	v_and_b32_e32 v85, 0x7c, v44
	v_and_b32_e32 v87, 3, v44
	s_delay_alu instid0(VALU_DEP_2) | instskip(SKIP_1) | instid1(SALU_CYCLE_1)
	v_cmp_ne_u32_e32 vcc_lo, 0x7c, v85
                                        ; implicit-def: $vgpr85
	s_and_saveexec_b32 s43, vcc_lo
	s_xor_b32 s43, exec_lo, s43
	s_cbranch_execz .LBB2_1949
; %bb.1946:                             ;   in Loop: Header=BB2_1932 Depth=2
	v_and_b32_e32 v85, 0xff, v44
	s_mov_b32 s44, exec_lo
	s_delay_alu instid0(VALU_DEP_1) | instskip(NEXT) | instid1(VALU_DEP_1)
	v_bfe_u32 v85, v85, 2, 5
	v_cmpx_eq_u32_e32 0, v85
	s_cbranch_execz .LBB2_1948
; %bb.1947:                             ;   in Loop: Header=BB2_1932 Depth=2
	v_clz_i32_u32_e32 v85, v87
	s_delay_alu instid0(VALU_DEP_1) | instskip(SKIP_1) | instid1(VALU_DEP_2)
	v_min_u32_e32 v85, 32, v85
	v_mov_b32_e32 v45, v39
	v_subrev_nc_u32_e32 v87, 29, v85
	v_sub_nc_u32_e32 v85, 30, v85
	s_delay_alu instid0(VALU_DEP_2) | instskip(NEXT) | instid1(VALU_DEP_1)
	v_lshlrev_b64_e32 v[46:47], v87, v[44:45]
	v_and_b32_e32 v87, 3, v46
.LBB2_1948:                             ;   in Loop: Header=BB2_1932 Depth=2
	s_or_b32 exec_lo, exec_lo, s44
	v_bfe_i32 v97, v44, 0, 16
	s_delay_alu instid0(VALU_DEP_1) | instskip(NEXT) | instid1(VALU_DEP_1)
	v_and_b32_e32 v97, 0x80000000, v97
	v_lshl_add_u32 v85, v85, 23, v97
	s_delay_alu instid0(VALU_DEP_1) | instskip(NEXT) | instid1(VALU_DEP_1)
	v_lshl_or_b32 v85, v87, 21, v85
                                        ; implicit-def: $vgpr87
	v_add_nc_u32_e32 v85, 0x38000000, v85
.LBB2_1949:                             ;   in Loop: Header=BB2_1932 Depth=2
	s_and_not1_saveexec_b32 s43, s43
; %bb.1950:                             ;   in Loop: Header=BB2_1932 Depth=2
	v_cmp_lt_i16_e32 vcc_lo, -1, v44
	v_cndmask_b32_e32 v85, 0xff800000, v62, vcc_lo
	v_cmp_eq_u32_e32 vcc_lo, 0, v87
	s_delay_alu instid0(VALU_DEP_2)
	v_cndmask_b32_e32 v85, 0x7f800001, v85, vcc_lo
; %bb.1951:                             ;   in Loop: Header=BB2_1932 Depth=2
	s_or_b32 exec_lo, exec_lo, s43
.LBB2_1952:                             ;   in Loop: Header=BB2_1932 Depth=2
	s_delay_alu instid0(SALU_CYCLE_1)
	s_or_b32 exec_lo, exec_lo, s42
.LBB2_1953:                             ;   in Loop: Header=BB2_1932 Depth=2
	s_delay_alu instid0(SALU_CYCLE_1) | instskip(NEXT) | instid1(VALU_DEP_1)
	s_or_b32 exec_lo, exec_lo, s15
	v_dual_max_num_f32 v85, v85, v85 :: v_dual_max_num_f32 v83, v83, v83
	s_mov_b32 s15, 0
	s_delay_alu instid0(VALU_DEP_1)
	v_max_num_f32_e32 v83, v83, v85
.LBB2_1954:                             ;   in Loop: Header=BB2_1932 Depth=2
	s_and_b32 vcc_lo, exec_lo, s15
	s_cbranch_vccz .LBB2_1976
; %bb.1955:                             ;   in Loop: Header=BB2_1932 Depth=2
	v_dual_mov_b32 v85, 0 :: v_dual_mov_b32 v83, 0
	s_wait_xcnt 0x0
	s_and_saveexec_b32 s15, s10
	s_cbranch_execz .LBB2_1965
; %bb.1956:                             ;   in Loop: Header=BB2_1932 Depth=2
	v_bfrev_b32_e32 v83, 1
	s_mov_b32 s10, exec_lo
	v_cmpx_ne_u16_e32 0xff80, v38
	s_cbranch_execz .LBB2_1964
; %bb.1957:                             ;   in Loop: Header=BB2_1932 Depth=2
	v_and_b32_e32 v83, 0x7c, v17
	v_and_b32_e32 v87, 3, v17
	s_delay_alu instid0(VALU_DEP_2) | instskip(SKIP_1) | instid1(SALU_CYCLE_1)
	v_cmp_ne_u32_e32 vcc_lo, 0x7c, v83
                                        ; implicit-def: $vgpr83
	s_and_saveexec_b32 s42, vcc_lo
	s_xor_b32 s42, exec_lo, s42
	s_cbranch_execz .LBB2_1961
; %bb.1958:                             ;   in Loop: Header=BB2_1932 Depth=2
	v_bfe_u32 v17, v17, 2, 5
	s_mov_b32 s43, exec_lo
	s_delay_alu instid0(VALU_DEP_1)
	v_cmpx_eq_u32_e32 0, v17
; %bb.1959:                             ;   in Loop: Header=BB2_1932 Depth=2
	v_clz_i32_u32_e32 v17, v87
	s_delay_alu instid0(VALU_DEP_1) | instskip(NEXT) | instid1(VALU_DEP_1)
	v_min_u32_e32 v17, 32, v17
	v_subrev_nc_u32_e32 v83, 29, v17
	s_delay_alu instid0(VALU_DEP_1) | instskip(NEXT) | instid1(VALU_DEP_1)
	v_lshlrev_b64_e32 v[46:47], v83, v[38:39]
	v_dual_sub_nc_u32 v17, 30, v17 :: v_dual_bitop2_b32 v87, 3, v46 bitop3:0x40
; %bb.1960:                             ;   in Loop: Header=BB2_1932 Depth=2
	s_or_b32 exec_lo, exec_lo, s43
	v_bfe_i32 v38, v38, 0, 16
	s_delay_alu instid0(VALU_DEP_1) | instskip(NEXT) | instid1(VALU_DEP_1)
	v_and_b32_e32 v38, 0x80000000, v38
	v_lshl_add_u32 v17, v17, 23, v38
	s_delay_alu instid0(VALU_DEP_1) | instskip(NEXT) | instid1(VALU_DEP_1)
	v_lshl_or_b32 v17, v87, 21, v17
                                        ; implicit-def: $vgpr87
	v_add_nc_u32_e32 v83, 0x38000000, v17
.LBB2_1961:                             ;   in Loop: Header=BB2_1932 Depth=2
	s_and_not1_saveexec_b32 s42, s42
; %bb.1962:                             ;   in Loop: Header=BB2_1932 Depth=2
	v_cmp_lt_i16_e32 vcc_lo, -1, v38
	v_cndmask_b32_e32 v17, 0xff800000, v62, vcc_lo
	v_cmp_eq_u32_e32 vcc_lo, 0, v87
	s_delay_alu instid0(VALU_DEP_2)
	v_cndmask_b32_e32 v83, 0x7f800001, v17, vcc_lo
; %bb.1963:                             ;   in Loop: Header=BB2_1932 Depth=2
	s_or_b32 exec_lo, exec_lo, s42
.LBB2_1964:                             ;   in Loop: Header=BB2_1932 Depth=2
	s_delay_alu instid0(SALU_CYCLE_1)
	s_or_b32 exec_lo, exec_lo, s10
.LBB2_1965:                             ;   in Loop: Header=BB2_1932 Depth=2
	s_delay_alu instid0(SALU_CYCLE_1) | instskip(NEXT) | instid1(SALU_CYCLE_1)
	s_or_b32 exec_lo, exec_lo, s15
	s_mov_b32 s10, exec_lo
	s_wait_loadcnt_dscnt 0x707
	v_cmpx_ne_u16_e32 0, v44
	s_cbranch_execz .LBB2_1975
; %bb.1966:                             ;   in Loop: Header=BB2_1932 Depth=2
	v_bfrev_b32_e32 v85, 1
	s_mov_b32 s15, exec_lo
	v_cmpx_ne_u16_e32 0xff80, v44
	s_cbranch_execz .LBB2_1974
; %bb.1967:                             ;   in Loop: Header=BB2_1932 Depth=2
	v_and_b32_e32 v38, 0x7c, v44
	v_and_b32_e32 v17, 3, v44
	s_mov_b32 s42, exec_lo
                                        ; implicit-def: $vgpr85
	s_delay_alu instid0(VALU_DEP_2)
	v_cmpx_ne_u32_e32 0x7c, v38
	s_xor_b32 s42, exec_lo, s42
	s_cbranch_execz .LBB2_1971
; %bb.1968:                             ;   in Loop: Header=BB2_1932 Depth=2
	v_and_b32_e32 v38, 0xff, v44
	s_mov_b32 s43, exec_lo
	s_delay_alu instid0(VALU_DEP_1) | instskip(NEXT) | instid1(VALU_DEP_1)
	v_bfe_u32 v38, v38, 2, 5
	v_cmpx_eq_u32_e32 0, v38
; %bb.1969:                             ;   in Loop: Header=BB2_1932 Depth=2
	v_clz_i32_u32_e32 v17, v17
	s_delay_alu instid0(VALU_DEP_1) | instskip(SKIP_1) | instid1(VALU_DEP_2)
	v_min_u32_e32 v17, 32, v17
	v_mov_b32_e32 v45, v39
	v_subrev_nc_u32_e32 v38, 29, v17
	s_delay_alu instid0(VALU_DEP_1) | instskip(NEXT) | instid1(VALU_DEP_1)
	v_lshlrev_b64_e32 v[46:47], v38, v[44:45]
	v_dual_sub_nc_u32 v38, 30, v17 :: v_dual_bitop2_b32 v17, 3, v46 bitop3:0x40
; %bb.1970:                             ;   in Loop: Header=BB2_1932 Depth=2
	s_or_b32 exec_lo, exec_lo, s43
	v_bfe_i32 v85, v44, 0, 16
                                        ; implicit-def: $vgpr44
	s_delay_alu instid0(VALU_DEP_1) | instskip(NEXT) | instid1(VALU_DEP_1)
	v_and_b32_e32 v85, 0x80000000, v85
	v_lshl_add_u32 v38, v38, 23, v85
	s_delay_alu instid0(VALU_DEP_1) | instskip(NEXT) | instid1(VALU_DEP_1)
	v_lshl_or_b32 v17, v17, 21, v38
	v_add_nc_u32_e32 v85, 0x38000000, v17
                                        ; implicit-def: $vgpr17
.LBB2_1971:                             ;   in Loop: Header=BB2_1932 Depth=2
	s_and_not1_saveexec_b32 s42, s42
; %bb.1972:                             ;   in Loop: Header=BB2_1932 Depth=2
	v_cmp_lt_i16_e32 vcc_lo, -1, v44
	v_cndmask_b32_e32 v38, 0xff800000, v62, vcc_lo
	v_cmp_eq_u32_e32 vcc_lo, 0, v17
	s_delay_alu instid0(VALU_DEP_2)
	v_cndmask_b32_e32 v85, 0x7f800001, v38, vcc_lo
; %bb.1973:                             ;   in Loop: Header=BB2_1932 Depth=2
	s_or_b32 exec_lo, exec_lo, s42
.LBB2_1974:                             ;   in Loop: Header=BB2_1932 Depth=2
	s_delay_alu instid0(SALU_CYCLE_1)
	s_or_b32 exec_lo, exec_lo, s15
.LBB2_1975:                             ;   in Loop: Header=BB2_1932 Depth=2
	s_delay_alu instid0(SALU_CYCLE_1) | instskip(NEXT) | instid1(VALU_DEP_1)
	s_or_b32 exec_lo, exec_lo, s10
	v_dual_max_num_f32 v17, v85, v85 :: v_dual_max_num_f32 v38, v83, v83
	s_delay_alu instid0(VALU_DEP_1)
	v_min_num_f32_e32 v83, v38, v17
.LBB2_1976:                             ;   in Loop: Header=BB2_1932 Depth=2
	s_wait_loadcnt_dscnt 0x707
	s_delay_alu instid0(VALU_DEP_1) | instskip(SKIP_2) | instid1(VALU_DEP_2)
	v_and_b32_e32 v44, 0x7f800000, v83
	v_mov_b32_e32 v45, v39
	v_and_b32_e32 v38, 0x7fffff, v83
	v_cmp_ne_u64_e32 vcc_lo, 0x7f800000, v[44:45]
                                        ; implicit-def: $vgpr45
	s_wait_xcnt 0x0
	s_and_saveexec_b32 s10, vcc_lo
	s_delay_alu instid0(SALU_CYCLE_1)
	s_xor_b32 s15, exec_lo, s10
	s_cbranch_execz .LBB2_1994
; %bb.1977:                             ;   in Loop: Header=BB2_1932 Depth=2
	v_and_b32_e32 v44, 0x7fffffff, v83
	v_dual_mov_b32 v45, v39 :: v_dual_lshrrev_b32 v17, 24, v83
	s_delay_alu instid0(VALU_DEP_1) | instskip(NEXT) | instid1(VALU_DEP_2)
	v_cmp_gt_u64_e32 vcc_lo, 0x47600001, v[44:45]
	v_and_b32_e32 v17, 0x80, v17
                                        ; implicit-def: $vgpr45
	s_and_saveexec_b32 s10, vcc_lo
	s_delay_alu instid0(SALU_CYCLE_1)
	s_xor_b32 s42, exec_lo, s10
	s_cbranch_execz .LBB2_1991
; %bb.1978:                             ;   in Loop: Header=BB2_1932 Depth=2
	v_mov_b32_e32 v45, 0
	s_mov_b32 s43, exec_lo
	v_cmpx_ne_u32_e32 0, v83
	s_cbranch_execz .LBB2_1990
; %bb.1979:                             ;   in Loop: Header=BB2_1932 Depth=2
	v_bfe_u32 v83, v83, 23, 8
	v_or_b32_e32 v97, 0x800000, v38
	s_delay_alu instid0(VALU_DEP_2) | instskip(SKIP_1) | instid1(VALU_DEP_2)
	v_sub_nc_u32_e32 v85, 0x71, v83
	v_cmp_gt_u32_e32 vcc_lo, 0x72, v83
	v_cndmask_b32_e32 v85, 0, v85, vcc_lo
	v_cmp_eq_u32_e32 vcc_lo, 0, v83
	s_delay_alu instid0(VALU_DEP_2) | instskip(NEXT) | instid1(VALU_DEP_1)
	v_cndmask_b32_e64 v85, v85, 0x70, vcc_lo
	v_dual_cndmask_b32 v38, v97, v38 :: v_dual_add_nc_u32 v87, 21, v85
	s_delay_alu instid0(VALU_DEP_1) | instskip(SKIP_1) | instid1(VALU_DEP_1)
	v_lshlrev_b64_e64 v[44:45], v87, -1
	v_add_nc_u32_e32 v87, 20, v85
	v_lshlrev_b64_e64 v[46:47], v87, 1
	s_delay_alu instid0(VALU_DEP_3) | instskip(NEXT) | instid1(VALU_DEP_4)
	v_bfi_b32 v77, v45, 0, 0
	v_bfi_b32 v76, v44, 0, v38
	v_lshrrev_b64 v[44:45], v85, v[38:39]
	s_delay_alu instid0(VALU_DEP_2) | instskip(NEXT) | instid1(VALU_DEP_2)
	v_cmp_eq_u64_e64 s10, v[76:77], v[46:47]
	v_mov_b64_e32 v[46:47], v[44:45]
	s_and_saveexec_b32 s44, s10
; %bb.1980:                             ;   in Loop: Header=BB2_1932 Depth=2
	v_bfe_u32 v38, v44, 21, 1
	s_delay_alu instid0(VALU_DEP_1) | instskip(NEXT) | instid1(VALU_DEP_1)
	v_add_nc_u64_e32 v[46:47], v[44:45], v[38:39]
	v_add_nc_u64_e32 v[46:47], -1, v[46:47]
; %bb.1981:                             ;   in Loop: Header=BB2_1932 Depth=2
	s_or_b32 exec_lo, exec_lo, s44
	v_add_nc_u32_e32 v38, 0xffffff81, v83
	v_lshrrev_b32_e32 v83, 23, v44
	s_mov_b32 s10, exec_lo
	s_delay_alu instid0(VALU_DEP_2) | instskip(NEXT) | instid1(VALU_DEP_1)
	v_cndmask_b32_e64 v38, v38, 0xffffff82, vcc_lo
	v_add3_u32 v85, v85, v38, v83
	v_and_b32_e32 v38, 0x1fffff, v46
                                        ; implicit-def: $vgpr83
	s_delay_alu instid0(VALU_DEP_1) | instskip(NEXT) | instid1(VALU_DEP_1)
	v_dual_add_nc_u32 v87, 14, v85 :: v_dual_add_nc_u32 v38, v38, v44
                                        ; implicit-def: $vgpr44_vgpr45
	v_cmpx_ne_u32_e32 0, v87
	s_xor_b32 s10, exec_lo, s10
; %bb.1982:                             ;   in Loop: Header=BB2_1932 Depth=2
	s_delay_alu instid0(VALU_DEP_2) | instskip(SKIP_2) | instid1(VALU_DEP_2)
	v_cmp_lt_u64_e32 vcc_lo, 0xffffff, v[38:39]
	v_add_nc_u32_e32 v83, 15, v85
	v_cndmask_b32_e64 v85, 0, 1, vcc_lo
	v_cndmask_b32_e32 v83, v87, v83, vcc_lo
	s_delay_alu instid0(VALU_DEP_2)
	v_lshrrev_b64 v[44:45], v85, v[38:39]
; %bb.1983:                             ;   in Loop: Header=BB2_1932 Depth=2
	s_and_not1_saveexec_b32 s10, s10
; %bb.1984:                             ;   in Loop: Header=BB2_1932 Depth=2
	v_mov_b64_e32 v[44:45], v[38:39]
	v_bfe_u32 v83, v38, 23, 1
; %bb.1985:                             ;   in Loop: Header=BB2_1932 Depth=2
	s_or_b32 exec_lo, exec_lo, s10
	s_delay_alu instid0(VALU_DEP_2) | instskip(NEXT) | instid1(VALU_DEP_2)
	v_lshrrev_b64 v[44:45], 21, v[44:45]
	v_cmp_gt_i32_e32 vcc_lo, 32, v83
	v_cmp_ne_u32_e64 s10, 0, v83
	s_delay_alu instid0(VALU_DEP_3) | instskip(NEXT) | instid1(VALU_DEP_1)
	v_dual_cndmask_b32 v45, 0, v45 :: v_dual_cndmask_b32 v44, 3, v44
	v_cmp_ne_u64_e32 vcc_lo, 0, v[44:45]
                                        ; implicit-def: $vgpr45
	s_or_b32 s10, s10, vcc_lo
	s_delay_alu instid0(SALU_CYCLE_1) | instskip(NEXT) | instid1(SALU_CYCLE_1)
	s_and_saveexec_b32 s44, s10
	s_xor_b32 s10, exec_lo, s44
; %bb.1986:                             ;   in Loop: Header=BB2_1932 Depth=2
	v_min_i32_e32 v38, 31, v83
	s_delay_alu instid0(VALU_DEP_1) | instskip(NEXT) | instid1(VALU_DEP_1)
	v_lshl_or_b32 v17, v38, 2, v17
	v_and_or_b32 v45, v44, 3, v17
                                        ; implicit-def: $vgpr17
; %bb.1987:                             ;   in Loop: Header=BB2_1932 Depth=2
	s_and_not1_saveexec_b32 s10, s10
; %bb.1988:                             ;   in Loop: Header=BB2_1932 Depth=2
	v_mov_b32_e32 v45, v17
; %bb.1989:                             ;   in Loop: Header=BB2_1932 Depth=2
	s_or_b32 exec_lo, exec_lo, s10
.LBB2_1990:                             ;   in Loop: Header=BB2_1932 Depth=2
	s_delay_alu instid0(SALU_CYCLE_1)
	s_or_b32 exec_lo, exec_lo, s43
                                        ; implicit-def: $vgpr17
.LBB2_1991:                             ;   in Loop: Header=BB2_1932 Depth=2
	s_and_not1_saveexec_b32 s10, s42
; %bb.1992:                             ;   in Loop: Header=BB2_1932 Depth=2
	v_or_b32_e32 v45, 0x7b, v17
; %bb.1993:                             ;   in Loop: Header=BB2_1932 Depth=2
	s_or_b32 exec_lo, exec_lo, s10
                                        ; implicit-def: $vgpr83
.LBB2_1994:                             ;   in Loop: Header=BB2_1932 Depth=2
	s_and_not1_saveexec_b32 s10, s15
	s_cbranch_execz .LBB2_2000
; %bb.1995:                             ;   in Loop: Header=BB2_1932 Depth=2
	s_mov_b32 s15, exec_lo
                                        ; implicit-def: $vgpr45
	v_cmpx_ne_u64_e32 0, v[38:39]
	s_xor_b32 s15, exec_lo, s15
; %bb.1996:                             ;   in Loop: Header=BB2_1932 Depth=2
	v_lshrrev_b32_e32 v17, 24, v83
                                        ; implicit-def: $vgpr83
	s_delay_alu instid0(VALU_DEP_1)
	v_or_b32_e32 v45, 0x7f, v17
; %bb.1997:                             ;   in Loop: Header=BB2_1932 Depth=2
	s_and_not1_saveexec_b32 s15, s15
; %bb.1998:                             ;   in Loop: Header=BB2_1932 Depth=2
	v_cmp_lt_i32_e32 vcc_lo, -1, v83
	v_cndmask_b32_e64 v45, -4, 0x7c, vcc_lo
; %bb.1999:                             ;   in Loop: Header=BB2_1932 Depth=2
	s_or_b32 exec_lo, exec_lo, s15
.LBB2_2000:                             ;   in Loop: Header=BB2_1932 Depth=2
	s_delay_alu instid0(SALU_CYCLE_1)
	s_or_b32 exec_lo, exec_lo, s10
	v_and_b32_e32 v17, 0xff, v42
	v_cmp_ne_u16_e64 s10, 0, v42
	s_and_not1_b32 vcc_lo, exec_lo, s14
	s_mov_b32 s15, -1
                                        ; implicit-def: $vgpr83
	s_cbranch_vccnz .LBB2_2022
; %bb.2001:                             ;   in Loop: Header=BB2_1932 Depth=2
	v_dual_mov_b32 v83, 0 :: v_dual_mov_b32 v38, 0
	s_and_saveexec_b32 s15, s10
	s_cbranch_execz .LBB2_2011
; %bb.2002:                             ;   in Loop: Header=BB2_1932 Depth=2
	v_bfrev_b32_e32 v38, 1
	s_mov_b32 s42, exec_lo
	v_cmpx_ne_u16_e32 0xff80, v42
	s_cbranch_execz .LBB2_2010
; %bb.2003:                             ;   in Loop: Header=BB2_1932 Depth=2
	v_and_b32_e32 v38, 0x7c, v17
	v_and_b32_e32 v85, 3, v17
	s_delay_alu instid0(VALU_DEP_2) | instskip(SKIP_1) | instid1(SALU_CYCLE_1)
	v_cmp_ne_u32_e32 vcc_lo, 0x7c, v38
                                        ; implicit-def: $vgpr38
	s_and_saveexec_b32 s43, vcc_lo
	s_xor_b32 s43, exec_lo, s43
	s_cbranch_execz .LBB2_2007
; %bb.2004:                             ;   in Loop: Header=BB2_1932 Depth=2
	v_bfe_u32 v38, v17, 2, 5
	s_mov_b32 s44, exec_lo
	s_delay_alu instid0(VALU_DEP_1)
	v_cmpx_eq_u32_e32 0, v38
	s_cbranch_execz .LBB2_2006
; %bb.2005:                             ;   in Loop: Header=BB2_1932 Depth=2
	v_clz_i32_u32_e32 v38, v85
	s_delay_alu instid0(VALU_DEP_1) | instskip(SKIP_1) | instid1(VALU_DEP_2)
	v_min_u32_e32 v38, 32, v38
	v_mov_b32_e32 v43, v39
	v_subrev_nc_u32_e32 v85, 29, v38
	v_sub_nc_u32_e32 v38, 30, v38
	s_delay_alu instid0(VALU_DEP_2) | instskip(NEXT) | instid1(VALU_DEP_1)
	v_lshlrev_b64_e32 v[46:47], v85, v[42:43]
	v_and_b32_e32 v85, 3, v46
.LBB2_2006:                             ;   in Loop: Header=BB2_1932 Depth=2
	s_or_b32 exec_lo, exec_lo, s44
	v_bfe_i32 v87, v42, 0, 16
	s_delay_alu instid0(VALU_DEP_1) | instskip(NEXT) | instid1(VALU_DEP_1)
	v_and_b32_e32 v87, 0x80000000, v87
	v_lshl_add_u32 v38, v38, 23, v87
	s_delay_alu instid0(VALU_DEP_1) | instskip(NEXT) | instid1(VALU_DEP_1)
	v_lshl_or_b32 v38, v85, 21, v38
                                        ; implicit-def: $vgpr85
	v_add_nc_u32_e32 v38, 0x38000000, v38
.LBB2_2007:                             ;   in Loop: Header=BB2_1932 Depth=2
	s_and_not1_saveexec_b32 s43, s43
; %bb.2008:                             ;   in Loop: Header=BB2_1932 Depth=2
	v_cmp_lt_i16_e32 vcc_lo, -1, v42
	v_cndmask_b32_e32 v38, 0xff800000, v62, vcc_lo
	v_cmp_eq_u32_e32 vcc_lo, 0, v85
	s_delay_alu instid0(VALU_DEP_2)
	v_cndmask_b32_e32 v38, 0x7f800001, v38, vcc_lo
; %bb.2009:                             ;   in Loop: Header=BB2_1932 Depth=2
	s_or_b32 exec_lo, exec_lo, s43
.LBB2_2010:                             ;   in Loop: Header=BB2_1932 Depth=2
	s_delay_alu instid0(SALU_CYCLE_1)
	s_or_b32 exec_lo, exec_lo, s42
.LBB2_2011:                             ;   in Loop: Header=BB2_1932 Depth=2
	s_delay_alu instid0(SALU_CYCLE_1) | instskip(NEXT) | instid1(SALU_CYCLE_1)
	s_or_b32 exec_lo, exec_lo, s15
	s_mov_b32 s15, exec_lo
	s_wait_loadcnt_dscnt 0x606
	v_cmpx_ne_u16_e32 0, v40
	s_cbranch_execz .LBB2_2021
; %bb.2012:                             ;   in Loop: Header=BB2_1932 Depth=2
	v_bfrev_b32_e32 v83, 1
	s_mov_b32 s42, exec_lo
	v_cmpx_ne_u16_e32 0xff80, v40
	s_cbranch_execz .LBB2_2020
; %bb.2013:                             ;   in Loop: Header=BB2_1932 Depth=2
	v_and_b32_e32 v83, 0x7c, v40
	v_and_b32_e32 v85, 3, v40
	s_delay_alu instid0(VALU_DEP_2) | instskip(SKIP_1) | instid1(SALU_CYCLE_1)
	v_cmp_ne_u32_e32 vcc_lo, 0x7c, v83
                                        ; implicit-def: $vgpr83
	s_and_saveexec_b32 s43, vcc_lo
	s_xor_b32 s43, exec_lo, s43
	s_cbranch_execz .LBB2_2017
; %bb.2014:                             ;   in Loop: Header=BB2_1932 Depth=2
	v_and_b32_e32 v83, 0xff, v40
	s_mov_b32 s44, exec_lo
	s_delay_alu instid0(VALU_DEP_1) | instskip(NEXT) | instid1(VALU_DEP_1)
	v_bfe_u32 v83, v83, 2, 5
	v_cmpx_eq_u32_e32 0, v83
	s_cbranch_execz .LBB2_2016
; %bb.2015:                             ;   in Loop: Header=BB2_1932 Depth=2
	v_clz_i32_u32_e32 v83, v85
	s_delay_alu instid0(VALU_DEP_1) | instskip(SKIP_1) | instid1(VALU_DEP_2)
	v_min_u32_e32 v83, 32, v83
	v_mov_b32_e32 v41, v39
	v_subrev_nc_u32_e32 v85, 29, v83
	v_sub_nc_u32_e32 v83, 30, v83
	s_delay_alu instid0(VALU_DEP_2) | instskip(NEXT) | instid1(VALU_DEP_1)
	v_lshlrev_b64_e32 v[46:47], v85, v[40:41]
	v_and_b32_e32 v85, 3, v46
.LBB2_2016:                             ;   in Loop: Header=BB2_1932 Depth=2
	s_or_b32 exec_lo, exec_lo, s44
	v_bfe_i32 v87, v40, 0, 16
	s_delay_alu instid0(VALU_DEP_1) | instskip(NEXT) | instid1(VALU_DEP_1)
	v_and_b32_e32 v87, 0x80000000, v87
	v_lshl_add_u32 v83, v83, 23, v87
	s_delay_alu instid0(VALU_DEP_1) | instskip(NEXT) | instid1(VALU_DEP_1)
	v_lshl_or_b32 v83, v85, 21, v83
                                        ; implicit-def: $vgpr85
	v_add_nc_u32_e32 v83, 0x38000000, v83
.LBB2_2017:                             ;   in Loop: Header=BB2_1932 Depth=2
	s_and_not1_saveexec_b32 s43, s43
; %bb.2018:                             ;   in Loop: Header=BB2_1932 Depth=2
	v_cmp_lt_i16_e32 vcc_lo, -1, v40
	v_cndmask_b32_e32 v83, 0xff800000, v62, vcc_lo
	v_cmp_eq_u32_e32 vcc_lo, 0, v85
	s_delay_alu instid0(VALU_DEP_2)
	v_cndmask_b32_e32 v83, 0x7f800001, v83, vcc_lo
; %bb.2019:                             ;   in Loop: Header=BB2_1932 Depth=2
	s_or_b32 exec_lo, exec_lo, s43
.LBB2_2020:                             ;   in Loop: Header=BB2_1932 Depth=2
	s_delay_alu instid0(SALU_CYCLE_1)
	s_or_b32 exec_lo, exec_lo, s42
.LBB2_2021:                             ;   in Loop: Header=BB2_1932 Depth=2
	s_delay_alu instid0(SALU_CYCLE_1) | instskip(NEXT) | instid1(VALU_DEP_1)
	s_or_b32 exec_lo, exec_lo, s15
	v_dual_max_num_f32 v83, v83, v83 :: v_dual_max_num_f32 v38, v38, v38
	s_mov_b32 s15, 0
	s_delay_alu instid0(VALU_DEP_1)
	v_max_num_f32_e32 v83, v38, v83
.LBB2_2022:                             ;   in Loop: Header=BB2_1932 Depth=2
	s_and_b32 vcc_lo, exec_lo, s15
	s_cbranch_vccz .LBB2_2044
; %bb.2023:                             ;   in Loop: Header=BB2_1932 Depth=2
	v_dual_mov_b32 v83, 0 :: v_dual_mov_b32 v38, 0
	s_and_saveexec_b32 s15, s10
	s_cbranch_execz .LBB2_2033
; %bb.2024:                             ;   in Loop: Header=BB2_1932 Depth=2
	v_bfrev_b32_e32 v38, 1
	s_mov_b32 s10, exec_lo
	v_cmpx_ne_u16_e32 0xff80, v42
	s_cbranch_execz .LBB2_2032
; %bb.2025:                             ;   in Loop: Header=BB2_1932 Depth=2
	v_and_b32_e32 v38, 0x7c, v17
	v_and_b32_e32 v85, 3, v17
	s_delay_alu instid0(VALU_DEP_2) | instskip(SKIP_1) | instid1(SALU_CYCLE_1)
	v_cmp_ne_u32_e32 vcc_lo, 0x7c, v38
                                        ; implicit-def: $vgpr38
	s_and_saveexec_b32 s42, vcc_lo
	s_xor_b32 s42, exec_lo, s42
	s_cbranch_execz .LBB2_2029
; %bb.2026:                             ;   in Loop: Header=BB2_1932 Depth=2
	v_bfe_u32 v17, v17, 2, 5
	s_mov_b32 s43, exec_lo
	s_delay_alu instid0(VALU_DEP_1)
	v_cmpx_eq_u32_e32 0, v17
	s_cbranch_execz .LBB2_2028
; %bb.2027:                             ;   in Loop: Header=BB2_1932 Depth=2
	v_clz_i32_u32_e32 v17, v85
	s_delay_alu instid0(VALU_DEP_1) | instskip(SKIP_1) | instid1(VALU_DEP_2)
	v_min_u32_e32 v17, 32, v17
	v_mov_b32_e32 v43, v39
	v_subrev_nc_u32_e32 v38, 29, v17
	v_sub_nc_u32_e32 v17, 30, v17
	s_delay_alu instid0(VALU_DEP_2) | instskip(NEXT) | instid1(VALU_DEP_1)
	v_lshlrev_b64_e32 v[46:47], v38, v[42:43]
	v_and_b32_e32 v85, 3, v46
.LBB2_2028:                             ;   in Loop: Header=BB2_1932 Depth=2
	s_or_b32 exec_lo, exec_lo, s43
	v_bfe_i32 v38, v42, 0, 16
                                        ; implicit-def: $vgpr42
	s_delay_alu instid0(VALU_DEP_1) | instskip(NEXT) | instid1(VALU_DEP_1)
	v_and_b32_e32 v38, 0x80000000, v38
	v_lshl_add_u32 v17, v17, 23, v38
	s_delay_alu instid0(VALU_DEP_1) | instskip(NEXT) | instid1(VALU_DEP_1)
	v_lshl_or_b32 v17, v85, 21, v17
                                        ; implicit-def: $vgpr85
	v_add_nc_u32_e32 v38, 0x38000000, v17
.LBB2_2029:                             ;   in Loop: Header=BB2_1932 Depth=2
	s_and_not1_saveexec_b32 s42, s42
; %bb.2030:                             ;   in Loop: Header=BB2_1932 Depth=2
	v_cmp_lt_i16_e32 vcc_lo, -1, v42
	v_cndmask_b32_e32 v17, 0xff800000, v62, vcc_lo
	v_cmp_eq_u32_e32 vcc_lo, 0, v85
	s_delay_alu instid0(VALU_DEP_2)
	v_cndmask_b32_e32 v38, 0x7f800001, v17, vcc_lo
; %bb.2031:                             ;   in Loop: Header=BB2_1932 Depth=2
	s_or_b32 exec_lo, exec_lo, s42
.LBB2_2032:                             ;   in Loop: Header=BB2_1932 Depth=2
	s_delay_alu instid0(SALU_CYCLE_1)
	s_or_b32 exec_lo, exec_lo, s10
.LBB2_2033:                             ;   in Loop: Header=BB2_1932 Depth=2
	s_delay_alu instid0(SALU_CYCLE_1) | instskip(NEXT) | instid1(SALU_CYCLE_1)
	s_or_b32 exec_lo, exec_lo, s15
	s_mov_b32 s10, exec_lo
	s_wait_loadcnt_dscnt 0x606
	v_cmpx_ne_u16_e32 0, v40
	s_cbranch_execz .LBB2_2043
; %bb.2034:                             ;   in Loop: Header=BB2_1932 Depth=2
	v_bfrev_b32_e32 v83, 1
	s_mov_b32 s15, exec_lo
	v_cmpx_ne_u16_e32 0xff80, v40
	s_cbranch_execz .LBB2_2042
; %bb.2035:                             ;   in Loop: Header=BB2_1932 Depth=2
	v_and_b32_e32 v83, 0x7c, v40
	v_and_b32_e32 v17, 3, v40
	s_delay_alu instid0(VALU_DEP_2) | instskip(SKIP_1) | instid1(SALU_CYCLE_1)
	v_cmp_ne_u32_e32 vcc_lo, 0x7c, v83
                                        ; implicit-def: $vgpr83
	s_and_saveexec_b32 s42, vcc_lo
	s_xor_b32 s42, exec_lo, s42
	s_cbranch_execz .LBB2_2039
; %bb.2036:                             ;   in Loop: Header=BB2_1932 Depth=2
	v_and_b32_e32 v83, 0xff, v40
	s_mov_b32 s43, exec_lo
	s_delay_alu instid0(VALU_DEP_1) | instskip(NEXT) | instid1(VALU_DEP_1)
	v_bfe_u32 v83, v83, 2, 5
	v_cmpx_eq_u32_e32 0, v83
; %bb.2037:                             ;   in Loop: Header=BB2_1932 Depth=2
	v_clz_i32_u32_e32 v17, v17
	s_delay_alu instid0(VALU_DEP_1) | instskip(SKIP_1) | instid1(VALU_DEP_2)
	v_min_u32_e32 v17, 32, v17
	v_mov_b32_e32 v41, v39
	v_subrev_nc_u32_e32 v83, 29, v17
	s_delay_alu instid0(VALU_DEP_1) | instskip(NEXT) | instid1(VALU_DEP_1)
	v_lshlrev_b64_e32 v[42:43], v83, v[40:41]
	v_dual_sub_nc_u32 v83, 30, v17 :: v_dual_bitop2_b32 v17, 3, v42 bitop3:0x40
; %bb.2038:                             ;   in Loop: Header=BB2_1932 Depth=2
	s_or_b32 exec_lo, exec_lo, s43
	v_bfe_i32 v85, v40, 0, 16
                                        ; implicit-def: $vgpr40
	s_delay_alu instid0(VALU_DEP_1) | instskip(NEXT) | instid1(VALU_DEP_1)
	v_and_b32_e32 v85, 0x80000000, v85
	v_lshl_add_u32 v83, v83, 23, v85
	s_delay_alu instid0(VALU_DEP_1) | instskip(NEXT) | instid1(VALU_DEP_1)
	v_lshl_or_b32 v17, v17, 21, v83
	v_add_nc_u32_e32 v83, 0x38000000, v17
                                        ; implicit-def: $vgpr17
.LBB2_2039:                             ;   in Loop: Header=BB2_1932 Depth=2
	s_and_not1_saveexec_b32 s42, s42
; %bb.2040:                             ;   in Loop: Header=BB2_1932 Depth=2
	v_cmp_lt_i16_e32 vcc_lo, -1, v40
	v_cndmask_b32_e32 v83, 0xff800000, v62, vcc_lo
	v_cmp_eq_u32_e32 vcc_lo, 0, v17
	s_delay_alu instid0(VALU_DEP_2)
	v_cndmask_b32_e32 v83, 0x7f800001, v83, vcc_lo
; %bb.2041:                             ;   in Loop: Header=BB2_1932 Depth=2
	s_or_b32 exec_lo, exec_lo, s42
.LBB2_2042:                             ;   in Loop: Header=BB2_1932 Depth=2
	s_delay_alu instid0(SALU_CYCLE_1)
	s_or_b32 exec_lo, exec_lo, s15
.LBB2_2043:                             ;   in Loop: Header=BB2_1932 Depth=2
	s_delay_alu instid0(SALU_CYCLE_1) | instskip(NEXT) | instid1(VALU_DEP_1)
	s_or_b32 exec_lo, exec_lo, s10
	v_dual_max_num_f32 v17, v83, v83 :: v_dual_max_num_f32 v38, v38, v38
	s_delay_alu instid0(VALU_DEP_1)
	v_min_num_f32_e32 v83, v38, v17
.LBB2_2044:                             ;   in Loop: Header=BB2_1932 Depth=2
	s_wait_loadcnt_dscnt 0x606
	s_delay_alu instid0(VALU_DEP_1) | instskip(SKIP_2) | instid1(VALU_DEP_2)
	v_and_b32_e32 v40, 0x7f800000, v83
	v_mov_b32_e32 v41, v39
	v_and_b32_e32 v38, 0x7fffff, v83
	v_cmp_ne_u64_e32 vcc_lo, 0x7f800000, v[40:41]
                                        ; implicit-def: $vgpr41
	s_and_saveexec_b32 s10, vcc_lo
	s_delay_alu instid0(SALU_CYCLE_1)
	s_xor_b32 s15, exec_lo, s10
	s_cbranch_execz .LBB2_2062
; %bb.2045:                             ;   in Loop: Header=BB2_1932 Depth=2
	v_and_b32_e32 v40, 0x7fffffff, v83
	v_dual_mov_b32 v41, v39 :: v_dual_lshrrev_b32 v17, 24, v83
	s_delay_alu instid0(VALU_DEP_1) | instskip(NEXT) | instid1(VALU_DEP_2)
	v_cmp_gt_u64_e32 vcc_lo, 0x47600001, v[40:41]
	v_and_b32_e32 v17, 0x80, v17
                                        ; implicit-def: $vgpr41
	s_and_saveexec_b32 s10, vcc_lo
	s_delay_alu instid0(SALU_CYCLE_1)
	s_xor_b32 s42, exec_lo, s10
	s_cbranch_execz .LBB2_2059
; %bb.2046:                             ;   in Loop: Header=BB2_1932 Depth=2
	v_mov_b32_e32 v41, 0
	s_mov_b32 s43, exec_lo
	v_cmpx_ne_u32_e32 0, v83
	s_cbranch_execz .LBB2_2058
; %bb.2047:                             ;   in Loop: Header=BB2_1932 Depth=2
	v_bfe_u32 v83, v83, 23, 8
	v_or_b32_e32 v97, 0x800000, v38
	s_delay_alu instid0(VALU_DEP_2) | instskip(SKIP_1) | instid1(VALU_DEP_2)
	v_sub_nc_u32_e32 v85, 0x71, v83
	v_cmp_gt_u32_e32 vcc_lo, 0x72, v83
	v_cndmask_b32_e32 v85, 0, v85, vcc_lo
	v_cmp_eq_u32_e32 vcc_lo, 0, v83
	s_delay_alu instid0(VALU_DEP_2) | instskip(NEXT) | instid1(VALU_DEP_1)
	v_cndmask_b32_e64 v85, v85, 0x70, vcc_lo
	v_dual_cndmask_b32 v38, v97, v38 :: v_dual_add_nc_u32 v87, 21, v85
	s_delay_alu instid0(VALU_DEP_1) | instskip(SKIP_1) | instid1(VALU_DEP_1)
	v_lshlrev_b64_e64 v[40:41], v87, -1
	v_add_nc_u32_e32 v87, 20, v85
	v_lshlrev_b64_e64 v[42:43], v87, 1
	s_delay_alu instid0(VALU_DEP_3) | instskip(NEXT) | instid1(VALU_DEP_4)
	v_bfi_b32 v47, v41, 0, 0
	v_bfi_b32 v46, v40, 0, v38
	v_lshrrev_b64 v[40:41], v85, v[38:39]
	s_delay_alu instid0(VALU_DEP_2) | instskip(NEXT) | instid1(VALU_DEP_2)
	v_cmp_eq_u64_e64 s10, v[46:47], v[42:43]
	v_mov_b64_e32 v[42:43], v[40:41]
	s_and_saveexec_b32 s44, s10
; %bb.2048:                             ;   in Loop: Header=BB2_1932 Depth=2
	v_bfe_u32 v38, v40, 21, 1
	s_delay_alu instid0(VALU_DEP_1) | instskip(NEXT) | instid1(VALU_DEP_1)
	v_add_nc_u64_e32 v[42:43], v[40:41], v[38:39]
	v_add_nc_u64_e32 v[42:43], -1, v[42:43]
; %bb.2049:                             ;   in Loop: Header=BB2_1932 Depth=2
	s_or_b32 exec_lo, exec_lo, s44
	v_add_nc_u32_e32 v38, 0xffffff81, v83
	v_lshrrev_b32_e32 v83, 23, v40
	s_mov_b32 s10, exec_lo
	s_delay_alu instid0(VALU_DEP_2) | instskip(NEXT) | instid1(VALU_DEP_1)
	v_cndmask_b32_e64 v38, v38, 0xffffff82, vcc_lo
	v_add3_u32 v85, v85, v38, v83
	v_and_b32_e32 v38, 0x1fffff, v42
                                        ; implicit-def: $vgpr83
	s_delay_alu instid0(VALU_DEP_1) | instskip(NEXT) | instid1(VALU_DEP_1)
	v_dual_add_nc_u32 v87, 14, v85 :: v_dual_add_nc_u32 v38, v38, v40
                                        ; implicit-def: $vgpr40_vgpr41
	v_cmpx_ne_u32_e32 0, v87
	s_xor_b32 s10, exec_lo, s10
; %bb.2050:                             ;   in Loop: Header=BB2_1932 Depth=2
	s_delay_alu instid0(VALU_DEP_2) | instskip(SKIP_2) | instid1(VALU_DEP_2)
	v_cmp_lt_u64_e32 vcc_lo, 0xffffff, v[38:39]
	v_add_nc_u32_e32 v83, 15, v85
	v_cndmask_b32_e64 v85, 0, 1, vcc_lo
	v_cndmask_b32_e32 v83, v87, v83, vcc_lo
	s_delay_alu instid0(VALU_DEP_2)
	v_lshrrev_b64 v[40:41], v85, v[38:39]
; %bb.2051:                             ;   in Loop: Header=BB2_1932 Depth=2
	s_and_not1_saveexec_b32 s10, s10
; %bb.2052:                             ;   in Loop: Header=BB2_1932 Depth=2
	v_mov_b64_e32 v[40:41], v[38:39]
	v_bfe_u32 v83, v38, 23, 1
; %bb.2053:                             ;   in Loop: Header=BB2_1932 Depth=2
	s_or_b32 exec_lo, exec_lo, s10
	s_delay_alu instid0(VALU_DEP_2) | instskip(NEXT) | instid1(VALU_DEP_2)
	v_lshrrev_b64 v[40:41], 21, v[40:41]
	v_cmp_gt_i32_e32 vcc_lo, 32, v83
	v_cmp_ne_u32_e64 s10, 0, v83
	s_delay_alu instid0(VALU_DEP_3) | instskip(NEXT) | instid1(VALU_DEP_1)
	v_dual_cndmask_b32 v41, 0, v41 :: v_dual_cndmask_b32 v40, 3, v40
	v_cmp_ne_u64_e32 vcc_lo, 0, v[40:41]
                                        ; implicit-def: $vgpr41
	s_or_b32 s10, s10, vcc_lo
	s_delay_alu instid0(SALU_CYCLE_1) | instskip(NEXT) | instid1(SALU_CYCLE_1)
	s_and_saveexec_b32 s44, s10
	s_xor_b32 s10, exec_lo, s44
; %bb.2054:                             ;   in Loop: Header=BB2_1932 Depth=2
	v_min_i32_e32 v38, 31, v83
	s_delay_alu instid0(VALU_DEP_1) | instskip(NEXT) | instid1(VALU_DEP_1)
	v_lshl_or_b32 v17, v38, 2, v17
	v_and_or_b32 v41, v40, 3, v17
                                        ; implicit-def: $vgpr17
; %bb.2055:                             ;   in Loop: Header=BB2_1932 Depth=2
	s_and_not1_saveexec_b32 s10, s10
; %bb.2056:                             ;   in Loop: Header=BB2_1932 Depth=2
	v_mov_b32_e32 v41, v17
; %bb.2057:                             ;   in Loop: Header=BB2_1932 Depth=2
	s_or_b32 exec_lo, exec_lo, s10
.LBB2_2058:                             ;   in Loop: Header=BB2_1932 Depth=2
	s_delay_alu instid0(SALU_CYCLE_1)
	s_or_b32 exec_lo, exec_lo, s43
                                        ; implicit-def: $vgpr17
.LBB2_2059:                             ;   in Loop: Header=BB2_1932 Depth=2
	s_and_not1_saveexec_b32 s10, s42
; %bb.2060:                             ;   in Loop: Header=BB2_1932 Depth=2
	v_or_b32_e32 v41, 0x7b, v17
; %bb.2061:                             ;   in Loop: Header=BB2_1932 Depth=2
	s_or_b32 exec_lo, exec_lo, s10
                                        ; implicit-def: $vgpr83
.LBB2_2062:                             ;   in Loop: Header=BB2_1932 Depth=2
	s_and_not1_saveexec_b32 s10, s15
	s_cbranch_execz .LBB2_2068
; %bb.2063:                             ;   in Loop: Header=BB2_1932 Depth=2
	s_mov_b32 s15, exec_lo
                                        ; implicit-def: $vgpr41
	v_cmpx_ne_u64_e32 0, v[38:39]
	s_xor_b32 s15, exec_lo, s15
; %bb.2064:                             ;   in Loop: Header=BB2_1932 Depth=2
	v_lshrrev_b32_e32 v17, 24, v83
                                        ; implicit-def: $vgpr83
	s_delay_alu instid0(VALU_DEP_1)
	v_or_b32_e32 v41, 0x7f, v17
; %bb.2065:                             ;   in Loop: Header=BB2_1932 Depth=2
	s_and_not1_saveexec_b32 s15, s15
; %bb.2066:                             ;   in Loop: Header=BB2_1932 Depth=2
	v_cmp_lt_i32_e32 vcc_lo, -1, v83
	v_cndmask_b32_e64 v41, -4, 0x7c, vcc_lo
; %bb.2067:                             ;   in Loop: Header=BB2_1932 Depth=2
	s_or_b32 exec_lo, exec_lo, s15
.LBB2_2068:                             ;   in Loop: Header=BB2_1932 Depth=2
	s_delay_alu instid0(SALU_CYCLE_1)
	s_or_b32 exec_lo, exec_lo, s10
	v_and_b32_e32 v17, 0xff, v118
	v_cmp_ne_u16_e64 s10, 0, v118
	s_and_not1_b32 vcc_lo, exec_lo, s14
	s_mov_b32 s15, -1
                                        ; implicit-def: $vgpr83
	s_cbranch_vccnz .LBB2_2090
; %bb.2069:                             ;   in Loop: Header=BB2_1932 Depth=2
	v_dual_mov_b32 v83, 0 :: v_dual_mov_b32 v38, 0
	s_and_saveexec_b32 s15, s10
	s_cbranch_execz .LBB2_2079
; %bb.2070:                             ;   in Loop: Header=BB2_1932 Depth=2
	v_bfrev_b32_e32 v38, 1
	s_mov_b32 s42, exec_lo
	v_cmpx_ne_u16_e32 0xff80, v118
	s_cbranch_execz .LBB2_2078
; %bb.2071:                             ;   in Loop: Header=BB2_1932 Depth=2
	v_and_b32_e32 v38, 0x7c, v17
	v_and_b32_e32 v85, 3, v17
	s_delay_alu instid0(VALU_DEP_2) | instskip(SKIP_1) | instid1(SALU_CYCLE_1)
	v_cmp_ne_u32_e32 vcc_lo, 0x7c, v38
                                        ; implicit-def: $vgpr38
	s_and_saveexec_b32 s43, vcc_lo
	s_xor_b32 s43, exec_lo, s43
	s_cbranch_execz .LBB2_2075
; %bb.2072:                             ;   in Loop: Header=BB2_1932 Depth=2
	v_bfe_u32 v38, v17, 2, 5
	s_mov_b32 s44, exec_lo
	s_delay_alu instid0(VALU_DEP_1)
	v_cmpx_eq_u32_e32 0, v38
	s_cbranch_execz .LBB2_2074
; %bb.2073:                             ;   in Loop: Header=BB2_1932 Depth=2
	v_clz_i32_u32_e32 v38, v85
	s_delay_alu instid0(VALU_DEP_1) | instskip(SKIP_1) | instid1(VALU_DEP_2)
	v_min_u32_e32 v38, 32, v38
	v_mov_b32_e32 v119, v39
	v_subrev_nc_u32_e32 v85, 29, v38
	v_sub_nc_u32_e32 v38, 30, v38
	s_delay_alu instid0(VALU_DEP_2) | instskip(NEXT) | instid1(VALU_DEP_1)
	v_lshlrev_b64_e32 v[42:43], v85, v[118:119]
	v_and_b32_e32 v85, 3, v42
.LBB2_2074:                             ;   in Loop: Header=BB2_1932 Depth=2
	s_or_b32 exec_lo, exec_lo, s44
	v_bfe_i32 v87, v118, 0, 16
	s_delay_alu instid0(VALU_DEP_1) | instskip(NEXT) | instid1(VALU_DEP_1)
	v_and_b32_e32 v87, 0x80000000, v87
	v_lshl_add_u32 v38, v38, 23, v87
	s_delay_alu instid0(VALU_DEP_1) | instskip(NEXT) | instid1(VALU_DEP_1)
	v_lshl_or_b32 v38, v85, 21, v38
                                        ; implicit-def: $vgpr85
	v_add_nc_u32_e32 v38, 0x38000000, v38
.LBB2_2075:                             ;   in Loop: Header=BB2_1932 Depth=2
	s_and_not1_saveexec_b32 s43, s43
; %bb.2076:                             ;   in Loop: Header=BB2_1932 Depth=2
	v_cmp_lt_i16_e32 vcc_lo, -1, v118
	v_cndmask_b32_e32 v38, 0xff800000, v62, vcc_lo
	v_cmp_eq_u32_e32 vcc_lo, 0, v85
	s_delay_alu instid0(VALU_DEP_2)
	v_cndmask_b32_e32 v38, 0x7f800001, v38, vcc_lo
; %bb.2077:                             ;   in Loop: Header=BB2_1932 Depth=2
	s_or_b32 exec_lo, exec_lo, s43
.LBB2_2078:                             ;   in Loop: Header=BB2_1932 Depth=2
	s_delay_alu instid0(SALU_CYCLE_1)
	s_or_b32 exec_lo, exec_lo, s42
.LBB2_2079:                             ;   in Loop: Header=BB2_1932 Depth=2
	s_delay_alu instid0(SALU_CYCLE_1) | instskip(NEXT) | instid1(SALU_CYCLE_1)
	s_or_b32 exec_lo, exec_lo, s15
	s_mov_b32 s15, exec_lo
	s_wait_loadcnt_dscnt 0x505
	v_cmpx_ne_u16_e32 0, v116
	s_cbranch_execz .LBB2_2089
; %bb.2080:                             ;   in Loop: Header=BB2_1932 Depth=2
	v_bfrev_b32_e32 v83, 1
	s_mov_b32 s42, exec_lo
	v_cmpx_ne_u16_e32 0xff80, v116
	s_cbranch_execz .LBB2_2088
; %bb.2081:                             ;   in Loop: Header=BB2_1932 Depth=2
	v_and_b32_e32 v83, 0x7c, v116
	v_and_b32_e32 v85, 3, v116
	s_delay_alu instid0(VALU_DEP_2) | instskip(SKIP_1) | instid1(SALU_CYCLE_1)
	v_cmp_ne_u32_e32 vcc_lo, 0x7c, v83
                                        ; implicit-def: $vgpr83
	s_and_saveexec_b32 s43, vcc_lo
	s_xor_b32 s43, exec_lo, s43
	s_cbranch_execz .LBB2_2085
; %bb.2082:                             ;   in Loop: Header=BB2_1932 Depth=2
	v_and_b32_e32 v83, 0xff, v116
	s_mov_b32 s44, exec_lo
	s_delay_alu instid0(VALU_DEP_1) | instskip(NEXT) | instid1(VALU_DEP_1)
	v_bfe_u32 v83, v83, 2, 5
	v_cmpx_eq_u32_e32 0, v83
	s_cbranch_execz .LBB2_2084
; %bb.2083:                             ;   in Loop: Header=BB2_1932 Depth=2
	v_clz_i32_u32_e32 v83, v85
	s_delay_alu instid0(VALU_DEP_1) | instskip(SKIP_1) | instid1(VALU_DEP_2)
	v_min_u32_e32 v83, 32, v83
	v_mov_b32_e32 v117, v39
	v_subrev_nc_u32_e32 v85, 29, v83
	v_sub_nc_u32_e32 v83, 30, v83
	s_delay_alu instid0(VALU_DEP_2) | instskip(NEXT) | instid1(VALU_DEP_1)
	v_lshlrev_b64_e32 v[42:43], v85, v[116:117]
	v_and_b32_e32 v85, 3, v42
.LBB2_2084:                             ;   in Loop: Header=BB2_1932 Depth=2
	s_or_b32 exec_lo, exec_lo, s44
	v_bfe_i32 v87, v116, 0, 16
	s_delay_alu instid0(VALU_DEP_1) | instskip(NEXT) | instid1(VALU_DEP_1)
	v_and_b32_e32 v87, 0x80000000, v87
	v_lshl_add_u32 v83, v83, 23, v87
	s_delay_alu instid0(VALU_DEP_1) | instskip(NEXT) | instid1(VALU_DEP_1)
	v_lshl_or_b32 v83, v85, 21, v83
                                        ; implicit-def: $vgpr85
	v_add_nc_u32_e32 v83, 0x38000000, v83
.LBB2_2085:                             ;   in Loop: Header=BB2_1932 Depth=2
	s_and_not1_saveexec_b32 s43, s43
; %bb.2086:                             ;   in Loop: Header=BB2_1932 Depth=2
	v_cmp_lt_i16_e32 vcc_lo, -1, v116
	v_cndmask_b32_e32 v83, 0xff800000, v62, vcc_lo
	v_cmp_eq_u32_e32 vcc_lo, 0, v85
	s_delay_alu instid0(VALU_DEP_2)
	v_cndmask_b32_e32 v83, 0x7f800001, v83, vcc_lo
; %bb.2087:                             ;   in Loop: Header=BB2_1932 Depth=2
	s_or_b32 exec_lo, exec_lo, s43
.LBB2_2088:                             ;   in Loop: Header=BB2_1932 Depth=2
	s_delay_alu instid0(SALU_CYCLE_1)
	s_or_b32 exec_lo, exec_lo, s42
.LBB2_2089:                             ;   in Loop: Header=BB2_1932 Depth=2
	s_delay_alu instid0(SALU_CYCLE_1) | instskip(NEXT) | instid1(VALU_DEP_1)
	s_or_b32 exec_lo, exec_lo, s15
	v_dual_max_num_f32 v83, v83, v83 :: v_dual_max_num_f32 v38, v38, v38
	s_mov_b32 s15, 0
	s_delay_alu instid0(VALU_DEP_1)
	v_max_num_f32_e32 v83, v38, v83
.LBB2_2090:                             ;   in Loop: Header=BB2_1932 Depth=2
	s_and_b32 vcc_lo, exec_lo, s15
	s_cbranch_vccz .LBB2_2112
; %bb.2091:                             ;   in Loop: Header=BB2_1932 Depth=2
	v_dual_mov_b32 v83, 0 :: v_dual_mov_b32 v38, 0
	s_and_saveexec_b32 s15, s10
	s_cbranch_execz .LBB2_2101
; %bb.2092:                             ;   in Loop: Header=BB2_1932 Depth=2
	v_bfrev_b32_e32 v38, 1
	s_mov_b32 s10, exec_lo
	v_cmpx_ne_u16_e32 0xff80, v118
	s_cbranch_execz .LBB2_2100
; %bb.2093:                             ;   in Loop: Header=BB2_1932 Depth=2
	v_and_b32_e32 v38, 0x7c, v17
	v_and_b32_e32 v85, 3, v17
	s_delay_alu instid0(VALU_DEP_2) | instskip(SKIP_1) | instid1(SALU_CYCLE_1)
	v_cmp_ne_u32_e32 vcc_lo, 0x7c, v38
                                        ; implicit-def: $vgpr38
	s_and_saveexec_b32 s42, vcc_lo
	s_xor_b32 s42, exec_lo, s42
	s_cbranch_execz .LBB2_2097
; %bb.2094:                             ;   in Loop: Header=BB2_1932 Depth=2
	v_bfe_u32 v17, v17, 2, 5
	s_mov_b32 s43, exec_lo
	s_delay_alu instid0(VALU_DEP_1)
	v_cmpx_eq_u32_e32 0, v17
	s_cbranch_execz .LBB2_2096
; %bb.2095:                             ;   in Loop: Header=BB2_1932 Depth=2
	v_clz_i32_u32_e32 v17, v85
	s_delay_alu instid0(VALU_DEP_1) | instskip(SKIP_1) | instid1(VALU_DEP_2)
	v_min_u32_e32 v17, 32, v17
	v_mov_b32_e32 v119, v39
	v_subrev_nc_u32_e32 v38, 29, v17
	v_sub_nc_u32_e32 v17, 30, v17
	s_delay_alu instid0(VALU_DEP_2) | instskip(NEXT) | instid1(VALU_DEP_1)
	v_lshlrev_b64_e32 v[42:43], v38, v[118:119]
	v_and_b32_e32 v85, 3, v42
.LBB2_2096:                             ;   in Loop: Header=BB2_1932 Depth=2
	s_or_b32 exec_lo, exec_lo, s43
	v_bfe_i32 v38, v118, 0, 16
                                        ; implicit-def: $vgpr118
	s_delay_alu instid0(VALU_DEP_1) | instskip(NEXT) | instid1(VALU_DEP_1)
	v_and_b32_e32 v38, 0x80000000, v38
	v_lshl_add_u32 v17, v17, 23, v38
	s_delay_alu instid0(VALU_DEP_1) | instskip(NEXT) | instid1(VALU_DEP_1)
	v_lshl_or_b32 v17, v85, 21, v17
                                        ; implicit-def: $vgpr85
	v_add_nc_u32_e32 v38, 0x38000000, v17
.LBB2_2097:                             ;   in Loop: Header=BB2_1932 Depth=2
	s_and_not1_saveexec_b32 s42, s42
; %bb.2098:                             ;   in Loop: Header=BB2_1932 Depth=2
	v_cmp_lt_i16_e32 vcc_lo, -1, v118
	v_cndmask_b32_e32 v17, 0xff800000, v62, vcc_lo
	v_cmp_eq_u32_e32 vcc_lo, 0, v85
	s_delay_alu instid0(VALU_DEP_2)
	v_cndmask_b32_e32 v38, 0x7f800001, v17, vcc_lo
; %bb.2099:                             ;   in Loop: Header=BB2_1932 Depth=2
	s_or_b32 exec_lo, exec_lo, s42
.LBB2_2100:                             ;   in Loop: Header=BB2_1932 Depth=2
	s_delay_alu instid0(SALU_CYCLE_1)
	s_or_b32 exec_lo, exec_lo, s10
.LBB2_2101:                             ;   in Loop: Header=BB2_1932 Depth=2
	s_delay_alu instid0(SALU_CYCLE_1) | instskip(NEXT) | instid1(SALU_CYCLE_1)
	s_or_b32 exec_lo, exec_lo, s15
	s_mov_b32 s10, exec_lo
	s_wait_loadcnt_dscnt 0x505
	v_cmpx_ne_u16_e32 0, v116
	s_cbranch_execz .LBB2_2111
; %bb.2102:                             ;   in Loop: Header=BB2_1932 Depth=2
	v_bfrev_b32_e32 v83, 1
	s_mov_b32 s15, exec_lo
	v_cmpx_ne_u16_e32 0xff80, v116
	s_cbranch_execz .LBB2_2110
; %bb.2103:                             ;   in Loop: Header=BB2_1932 Depth=2
	v_and_b32_e32 v83, 0x7c, v116
	v_and_b32_e32 v17, 3, v116
	s_delay_alu instid0(VALU_DEP_2) | instskip(SKIP_1) | instid1(SALU_CYCLE_1)
	v_cmp_ne_u32_e32 vcc_lo, 0x7c, v83
                                        ; implicit-def: $vgpr83
	s_and_saveexec_b32 s42, vcc_lo
	s_xor_b32 s42, exec_lo, s42
	s_cbranch_execz .LBB2_2107
; %bb.2104:                             ;   in Loop: Header=BB2_1932 Depth=2
	v_and_b32_e32 v83, 0xff, v116
	s_mov_b32 s43, exec_lo
	s_delay_alu instid0(VALU_DEP_1) | instskip(NEXT) | instid1(VALU_DEP_1)
	v_bfe_u32 v83, v83, 2, 5
	v_cmpx_eq_u32_e32 0, v83
; %bb.2105:                             ;   in Loop: Header=BB2_1932 Depth=2
	v_clz_i32_u32_e32 v17, v17
	s_delay_alu instid0(VALU_DEP_1) | instskip(SKIP_1) | instid1(VALU_DEP_2)
	v_min_u32_e32 v17, 32, v17
	v_mov_b32_e32 v117, v39
	v_subrev_nc_u32_e32 v83, 29, v17
	s_delay_alu instid0(VALU_DEP_1) | instskip(NEXT) | instid1(VALU_DEP_1)
	v_lshlrev_b64_e32 v[118:119], v83, v[116:117]
	v_dual_sub_nc_u32 v83, 30, v17 :: v_dual_bitop2_b32 v17, 3, v118 bitop3:0x40
; %bb.2106:                             ;   in Loop: Header=BB2_1932 Depth=2
	s_or_b32 exec_lo, exec_lo, s43
	v_bfe_i32 v85, v116, 0, 16
                                        ; implicit-def: $vgpr116
	s_delay_alu instid0(VALU_DEP_1) | instskip(NEXT) | instid1(VALU_DEP_1)
	v_and_b32_e32 v85, 0x80000000, v85
	v_lshl_add_u32 v83, v83, 23, v85
	s_delay_alu instid0(VALU_DEP_1) | instskip(NEXT) | instid1(VALU_DEP_1)
	v_lshl_or_b32 v17, v17, 21, v83
	v_add_nc_u32_e32 v83, 0x38000000, v17
                                        ; implicit-def: $vgpr17
.LBB2_2107:                             ;   in Loop: Header=BB2_1932 Depth=2
	s_and_not1_saveexec_b32 s42, s42
; %bb.2108:                             ;   in Loop: Header=BB2_1932 Depth=2
	v_cmp_lt_i16_e32 vcc_lo, -1, v116
	v_cndmask_b32_e32 v83, 0xff800000, v62, vcc_lo
	v_cmp_eq_u32_e32 vcc_lo, 0, v17
	s_delay_alu instid0(VALU_DEP_2)
	v_cndmask_b32_e32 v83, 0x7f800001, v83, vcc_lo
; %bb.2109:                             ;   in Loop: Header=BB2_1932 Depth=2
	s_or_b32 exec_lo, exec_lo, s42
.LBB2_2110:                             ;   in Loop: Header=BB2_1932 Depth=2
	s_delay_alu instid0(SALU_CYCLE_1)
	s_or_b32 exec_lo, exec_lo, s15
.LBB2_2111:                             ;   in Loop: Header=BB2_1932 Depth=2
	s_delay_alu instid0(SALU_CYCLE_1) | instskip(NEXT) | instid1(VALU_DEP_1)
	s_or_b32 exec_lo, exec_lo, s10
	v_dual_max_num_f32 v17, v83, v83 :: v_dual_max_num_f32 v38, v38, v38
	s_delay_alu instid0(VALU_DEP_1)
	v_min_num_f32_e32 v83, v38, v17
.LBB2_2112:                             ;   in Loop: Header=BB2_1932 Depth=2
	s_wait_loadcnt_dscnt 0x505
	s_delay_alu instid0(VALU_DEP_1) | instskip(SKIP_2) | instid1(VALU_DEP_2)
	v_and_b32_e32 v116, 0x7f800000, v83
	v_mov_b32_e32 v117, v39
	v_and_b32_e32 v38, 0x7fffff, v83
	v_cmp_ne_u64_e32 vcc_lo, 0x7f800000, v[116:117]
                                        ; implicit-def: $vgpr117
	s_and_saveexec_b32 s10, vcc_lo
	s_delay_alu instid0(SALU_CYCLE_1)
	s_xor_b32 s15, exec_lo, s10
	s_cbranch_execz .LBB2_2130
; %bb.2113:                             ;   in Loop: Header=BB2_1932 Depth=2
	v_and_b32_e32 v116, 0x7fffffff, v83
	v_dual_mov_b32 v117, v39 :: v_dual_lshrrev_b32 v17, 24, v83
	s_delay_alu instid0(VALU_DEP_1) | instskip(NEXT) | instid1(VALU_DEP_2)
	v_cmp_gt_u64_e32 vcc_lo, 0x47600001, v[116:117]
	v_and_b32_e32 v17, 0x80, v17
                                        ; implicit-def: $vgpr117
	s_and_saveexec_b32 s10, vcc_lo
	s_delay_alu instid0(SALU_CYCLE_1)
	s_xor_b32 s42, exec_lo, s10
	s_cbranch_execz .LBB2_2127
; %bb.2114:                             ;   in Loop: Header=BB2_1932 Depth=2
	v_mov_b32_e32 v117, 0
	s_mov_b32 s43, exec_lo
	v_cmpx_ne_u32_e32 0, v83
	s_cbranch_execz .LBB2_2126
; %bb.2115:                             ;   in Loop: Header=BB2_1932 Depth=2
	v_bfe_u32 v83, v83, 23, 8
	v_or_b32_e32 v97, 0x800000, v38
	s_delay_alu instid0(VALU_DEP_2) | instskip(SKIP_1) | instid1(VALU_DEP_2)
	v_sub_nc_u32_e32 v85, 0x71, v83
	v_cmp_gt_u32_e32 vcc_lo, 0x72, v83
	v_cndmask_b32_e32 v85, 0, v85, vcc_lo
	v_cmp_eq_u32_e32 vcc_lo, 0, v83
	s_delay_alu instid0(VALU_DEP_2) | instskip(NEXT) | instid1(VALU_DEP_1)
	v_cndmask_b32_e64 v85, v85, 0x70, vcc_lo
	v_dual_cndmask_b32 v38, v97, v38 :: v_dual_add_nc_u32 v87, 21, v85
	s_delay_alu instid0(VALU_DEP_1) | instskip(SKIP_1) | instid1(VALU_DEP_1)
	v_lshlrev_b64_e64 v[116:117], v87, -1
	v_add_nc_u32_e32 v87, 20, v85
	v_lshlrev_b64_e64 v[118:119], v87, 1
	s_delay_alu instid0(VALU_DEP_3) | instskip(NEXT) | instid1(VALU_DEP_4)
	v_bfi_b32 v43, v117, 0, 0
	v_bfi_b32 v42, v116, 0, v38
	v_lshrrev_b64 v[116:117], v85, v[38:39]
	s_delay_alu instid0(VALU_DEP_2) | instskip(NEXT) | instid1(VALU_DEP_2)
	v_cmp_eq_u64_e64 s10, v[42:43], v[118:119]
	v_mov_b64_e32 v[118:119], v[116:117]
	s_and_saveexec_b32 s44, s10
; %bb.2116:                             ;   in Loop: Header=BB2_1932 Depth=2
	v_bfe_u32 v38, v116, 21, 1
	s_delay_alu instid0(VALU_DEP_1) | instskip(NEXT) | instid1(VALU_DEP_1)
	v_add_nc_u64_e32 v[118:119], v[116:117], v[38:39]
	v_add_nc_u64_e32 v[118:119], -1, v[118:119]
; %bb.2117:                             ;   in Loop: Header=BB2_1932 Depth=2
	s_or_b32 exec_lo, exec_lo, s44
	v_add_nc_u32_e32 v38, 0xffffff81, v83
	v_lshrrev_b32_e32 v83, 23, v116
	s_mov_b32 s10, exec_lo
	s_delay_alu instid0(VALU_DEP_2) | instskip(NEXT) | instid1(VALU_DEP_1)
	v_cndmask_b32_e64 v38, v38, 0xffffff82, vcc_lo
	v_add3_u32 v85, v85, v38, v83
	v_and_b32_e32 v38, 0x1fffff, v118
                                        ; implicit-def: $vgpr83
	s_delay_alu instid0(VALU_DEP_1) | instskip(NEXT) | instid1(VALU_DEP_1)
	v_dual_add_nc_u32 v87, 14, v85 :: v_dual_add_nc_u32 v38, v38, v116
                                        ; implicit-def: $vgpr116_vgpr117
	v_cmpx_ne_u32_e32 0, v87
	s_xor_b32 s10, exec_lo, s10
; %bb.2118:                             ;   in Loop: Header=BB2_1932 Depth=2
	s_delay_alu instid0(VALU_DEP_2) | instskip(SKIP_2) | instid1(VALU_DEP_2)
	v_cmp_lt_u64_e32 vcc_lo, 0xffffff, v[38:39]
	v_add_nc_u32_e32 v83, 15, v85
	v_cndmask_b32_e64 v85, 0, 1, vcc_lo
	v_cndmask_b32_e32 v83, v87, v83, vcc_lo
	s_delay_alu instid0(VALU_DEP_2)
	v_lshrrev_b64 v[116:117], v85, v[38:39]
; %bb.2119:                             ;   in Loop: Header=BB2_1932 Depth=2
	s_and_not1_saveexec_b32 s10, s10
; %bb.2120:                             ;   in Loop: Header=BB2_1932 Depth=2
	v_mov_b64_e32 v[116:117], v[38:39]
	v_bfe_u32 v83, v38, 23, 1
; %bb.2121:                             ;   in Loop: Header=BB2_1932 Depth=2
	s_or_b32 exec_lo, exec_lo, s10
	s_delay_alu instid0(VALU_DEP_2) | instskip(NEXT) | instid1(VALU_DEP_2)
	v_lshrrev_b64 v[116:117], 21, v[116:117]
	v_cmp_gt_i32_e32 vcc_lo, 32, v83
	v_cmp_ne_u32_e64 s10, 0, v83
	s_delay_alu instid0(VALU_DEP_3) | instskip(NEXT) | instid1(VALU_DEP_1)
	v_dual_cndmask_b32 v117, 0, v117 :: v_dual_cndmask_b32 v116, 3, v116
	v_cmp_ne_u64_e32 vcc_lo, 0, v[116:117]
                                        ; implicit-def: $vgpr117
	s_or_b32 s10, s10, vcc_lo
	s_delay_alu instid0(SALU_CYCLE_1) | instskip(NEXT) | instid1(SALU_CYCLE_1)
	s_and_saveexec_b32 s44, s10
	s_xor_b32 s10, exec_lo, s44
; %bb.2122:                             ;   in Loop: Header=BB2_1932 Depth=2
	v_min_i32_e32 v38, 31, v83
	s_delay_alu instid0(VALU_DEP_1) | instskip(NEXT) | instid1(VALU_DEP_1)
	v_lshl_or_b32 v17, v38, 2, v17
	v_and_or_b32 v117, v116, 3, v17
                                        ; implicit-def: $vgpr17
; %bb.2123:                             ;   in Loop: Header=BB2_1932 Depth=2
	s_and_not1_saveexec_b32 s10, s10
; %bb.2124:                             ;   in Loop: Header=BB2_1932 Depth=2
	v_mov_b32_e32 v117, v17
; %bb.2125:                             ;   in Loop: Header=BB2_1932 Depth=2
	s_or_b32 exec_lo, exec_lo, s10
.LBB2_2126:                             ;   in Loop: Header=BB2_1932 Depth=2
	s_delay_alu instid0(SALU_CYCLE_1)
	s_or_b32 exec_lo, exec_lo, s43
                                        ; implicit-def: $vgpr17
.LBB2_2127:                             ;   in Loop: Header=BB2_1932 Depth=2
	s_and_not1_saveexec_b32 s10, s42
; %bb.2128:                             ;   in Loop: Header=BB2_1932 Depth=2
	v_or_b32_e32 v117, 0x7b, v17
; %bb.2129:                             ;   in Loop: Header=BB2_1932 Depth=2
	s_or_b32 exec_lo, exec_lo, s10
                                        ; implicit-def: $vgpr83
.LBB2_2130:                             ;   in Loop: Header=BB2_1932 Depth=2
	s_and_not1_saveexec_b32 s10, s15
	s_cbranch_execz .LBB2_2136
; %bb.2131:                             ;   in Loop: Header=BB2_1932 Depth=2
	s_mov_b32 s15, exec_lo
                                        ; implicit-def: $vgpr117
	v_cmpx_ne_u64_e32 0, v[38:39]
	s_xor_b32 s15, exec_lo, s15
; %bb.2132:                             ;   in Loop: Header=BB2_1932 Depth=2
	v_lshrrev_b32_e32 v17, 24, v83
                                        ; implicit-def: $vgpr83
	s_delay_alu instid0(VALU_DEP_1)
	v_or_b32_e32 v117, 0x7f, v17
; %bb.2133:                             ;   in Loop: Header=BB2_1932 Depth=2
	s_and_not1_saveexec_b32 s15, s15
; %bb.2134:                             ;   in Loop: Header=BB2_1932 Depth=2
	v_cmp_lt_i32_e32 vcc_lo, -1, v83
	v_cndmask_b32_e64 v117, -4, 0x7c, vcc_lo
; %bb.2135:                             ;   in Loop: Header=BB2_1932 Depth=2
	s_or_b32 exec_lo, exec_lo, s15
.LBB2_2136:                             ;   in Loop: Header=BB2_1932 Depth=2
	s_delay_alu instid0(SALU_CYCLE_1)
	s_or_b32 exec_lo, exec_lo, s10
	v_and_b32_e32 v17, 0xff, v114
	v_cmp_ne_u16_e64 s10, 0, v114
	s_and_not1_b32 vcc_lo, exec_lo, s14
	s_mov_b32 s15, -1
                                        ; implicit-def: $vgpr83
	s_cbranch_vccnz .LBB2_2158
; %bb.2137:                             ;   in Loop: Header=BB2_1932 Depth=2
	v_dual_mov_b32 v83, 0 :: v_dual_mov_b32 v38, 0
	s_and_saveexec_b32 s15, s10
	s_cbranch_execz .LBB2_2147
; %bb.2138:                             ;   in Loop: Header=BB2_1932 Depth=2
	v_bfrev_b32_e32 v38, 1
	s_mov_b32 s42, exec_lo
	v_cmpx_ne_u16_e32 0xff80, v114
	s_cbranch_execz .LBB2_2146
; %bb.2139:                             ;   in Loop: Header=BB2_1932 Depth=2
	v_and_b32_e32 v38, 0x7c, v17
	v_and_b32_e32 v85, 3, v17
	s_delay_alu instid0(VALU_DEP_2) | instskip(SKIP_1) | instid1(SALU_CYCLE_1)
	v_cmp_ne_u32_e32 vcc_lo, 0x7c, v38
                                        ; implicit-def: $vgpr38
	s_and_saveexec_b32 s43, vcc_lo
	s_xor_b32 s43, exec_lo, s43
	s_cbranch_execz .LBB2_2143
; %bb.2140:                             ;   in Loop: Header=BB2_1932 Depth=2
	v_bfe_u32 v38, v17, 2, 5
	s_mov_b32 s44, exec_lo
	s_delay_alu instid0(VALU_DEP_1)
	v_cmpx_eq_u32_e32 0, v38
	s_cbranch_execz .LBB2_2142
; %bb.2141:                             ;   in Loop: Header=BB2_1932 Depth=2
	v_clz_i32_u32_e32 v38, v85
	s_delay_alu instid0(VALU_DEP_1) | instskip(SKIP_1) | instid1(VALU_DEP_2)
	v_min_u32_e32 v38, 32, v38
	v_mov_b32_e32 v115, v39
	v_subrev_nc_u32_e32 v85, 29, v38
	v_sub_nc_u32_e32 v38, 30, v38
	s_delay_alu instid0(VALU_DEP_2) | instskip(NEXT) | instid1(VALU_DEP_1)
	v_lshlrev_b64_e32 v[118:119], v85, v[114:115]
	v_and_b32_e32 v85, 3, v118
.LBB2_2142:                             ;   in Loop: Header=BB2_1932 Depth=2
	s_or_b32 exec_lo, exec_lo, s44
	v_bfe_i32 v87, v114, 0, 16
	s_delay_alu instid0(VALU_DEP_1) | instskip(NEXT) | instid1(VALU_DEP_1)
	v_and_b32_e32 v87, 0x80000000, v87
	v_lshl_add_u32 v38, v38, 23, v87
	s_delay_alu instid0(VALU_DEP_1) | instskip(NEXT) | instid1(VALU_DEP_1)
	v_lshl_or_b32 v38, v85, 21, v38
                                        ; implicit-def: $vgpr85
	v_add_nc_u32_e32 v38, 0x38000000, v38
.LBB2_2143:                             ;   in Loop: Header=BB2_1932 Depth=2
	s_and_not1_saveexec_b32 s43, s43
; %bb.2144:                             ;   in Loop: Header=BB2_1932 Depth=2
	v_cmp_lt_i16_e32 vcc_lo, -1, v114
	v_cndmask_b32_e32 v38, 0xff800000, v62, vcc_lo
	v_cmp_eq_u32_e32 vcc_lo, 0, v85
	s_delay_alu instid0(VALU_DEP_2)
	v_cndmask_b32_e32 v38, 0x7f800001, v38, vcc_lo
; %bb.2145:                             ;   in Loop: Header=BB2_1932 Depth=2
	s_or_b32 exec_lo, exec_lo, s43
.LBB2_2146:                             ;   in Loop: Header=BB2_1932 Depth=2
	s_delay_alu instid0(SALU_CYCLE_1)
	s_or_b32 exec_lo, exec_lo, s42
.LBB2_2147:                             ;   in Loop: Header=BB2_1932 Depth=2
	s_delay_alu instid0(SALU_CYCLE_1) | instskip(NEXT) | instid1(SALU_CYCLE_1)
	s_or_b32 exec_lo, exec_lo, s15
	s_mov_b32 s15, exec_lo
	s_wait_loadcnt_dscnt 0x404
	v_cmpx_ne_u16_e32 0, v112
	s_cbranch_execz .LBB2_2157
; %bb.2148:                             ;   in Loop: Header=BB2_1932 Depth=2
	v_bfrev_b32_e32 v83, 1
	s_mov_b32 s42, exec_lo
	v_cmpx_ne_u16_e32 0xff80, v112
	s_cbranch_execz .LBB2_2156
; %bb.2149:                             ;   in Loop: Header=BB2_1932 Depth=2
	v_and_b32_e32 v83, 0x7c, v112
	v_and_b32_e32 v85, 3, v112
	s_delay_alu instid0(VALU_DEP_2) | instskip(SKIP_1) | instid1(SALU_CYCLE_1)
	v_cmp_ne_u32_e32 vcc_lo, 0x7c, v83
                                        ; implicit-def: $vgpr83
	s_and_saveexec_b32 s43, vcc_lo
	s_xor_b32 s43, exec_lo, s43
	s_cbranch_execz .LBB2_2153
; %bb.2150:                             ;   in Loop: Header=BB2_1932 Depth=2
	v_and_b32_e32 v83, 0xff, v112
	s_mov_b32 s44, exec_lo
	s_delay_alu instid0(VALU_DEP_1) | instskip(NEXT) | instid1(VALU_DEP_1)
	v_bfe_u32 v83, v83, 2, 5
	v_cmpx_eq_u32_e32 0, v83
	s_cbranch_execz .LBB2_2152
; %bb.2151:                             ;   in Loop: Header=BB2_1932 Depth=2
	v_clz_i32_u32_e32 v83, v85
	s_delay_alu instid0(VALU_DEP_1) | instskip(SKIP_1) | instid1(VALU_DEP_2)
	v_min_u32_e32 v83, 32, v83
	v_mov_b32_e32 v113, v39
	v_subrev_nc_u32_e32 v85, 29, v83
	v_sub_nc_u32_e32 v83, 30, v83
	s_delay_alu instid0(VALU_DEP_2) | instskip(NEXT) | instid1(VALU_DEP_1)
	v_lshlrev_b64_e32 v[118:119], v85, v[112:113]
	v_and_b32_e32 v85, 3, v118
.LBB2_2152:                             ;   in Loop: Header=BB2_1932 Depth=2
	s_or_b32 exec_lo, exec_lo, s44
	v_bfe_i32 v87, v112, 0, 16
	s_delay_alu instid0(VALU_DEP_1) | instskip(NEXT) | instid1(VALU_DEP_1)
	v_and_b32_e32 v87, 0x80000000, v87
	v_lshl_add_u32 v83, v83, 23, v87
	s_delay_alu instid0(VALU_DEP_1) | instskip(NEXT) | instid1(VALU_DEP_1)
	v_lshl_or_b32 v83, v85, 21, v83
                                        ; implicit-def: $vgpr85
	v_add_nc_u32_e32 v83, 0x38000000, v83
.LBB2_2153:                             ;   in Loop: Header=BB2_1932 Depth=2
	s_and_not1_saveexec_b32 s43, s43
; %bb.2154:                             ;   in Loop: Header=BB2_1932 Depth=2
	v_cmp_lt_i16_e32 vcc_lo, -1, v112
	v_cndmask_b32_e32 v83, 0xff800000, v62, vcc_lo
	v_cmp_eq_u32_e32 vcc_lo, 0, v85
	s_delay_alu instid0(VALU_DEP_2)
	v_cndmask_b32_e32 v83, 0x7f800001, v83, vcc_lo
; %bb.2155:                             ;   in Loop: Header=BB2_1932 Depth=2
	s_or_b32 exec_lo, exec_lo, s43
.LBB2_2156:                             ;   in Loop: Header=BB2_1932 Depth=2
	s_delay_alu instid0(SALU_CYCLE_1)
	s_or_b32 exec_lo, exec_lo, s42
.LBB2_2157:                             ;   in Loop: Header=BB2_1932 Depth=2
	s_delay_alu instid0(SALU_CYCLE_1) | instskip(NEXT) | instid1(VALU_DEP_1)
	s_or_b32 exec_lo, exec_lo, s15
	v_dual_max_num_f32 v83, v83, v83 :: v_dual_max_num_f32 v38, v38, v38
	s_mov_b32 s15, 0
	s_delay_alu instid0(VALU_DEP_1)
	v_max_num_f32_e32 v83, v38, v83
.LBB2_2158:                             ;   in Loop: Header=BB2_1932 Depth=2
	s_and_b32 vcc_lo, exec_lo, s15
	s_cbranch_vccz .LBB2_2180
; %bb.2159:                             ;   in Loop: Header=BB2_1932 Depth=2
	v_dual_mov_b32 v83, 0 :: v_dual_mov_b32 v38, 0
	s_and_saveexec_b32 s15, s10
	s_cbranch_execz .LBB2_2169
; %bb.2160:                             ;   in Loop: Header=BB2_1932 Depth=2
	v_bfrev_b32_e32 v38, 1
	s_mov_b32 s10, exec_lo
	v_cmpx_ne_u16_e32 0xff80, v114
	s_cbranch_execz .LBB2_2168
; %bb.2161:                             ;   in Loop: Header=BB2_1932 Depth=2
	v_and_b32_e32 v38, 0x7c, v17
	v_and_b32_e32 v85, 3, v17
	s_delay_alu instid0(VALU_DEP_2) | instskip(SKIP_1) | instid1(SALU_CYCLE_1)
	v_cmp_ne_u32_e32 vcc_lo, 0x7c, v38
                                        ; implicit-def: $vgpr38
	s_and_saveexec_b32 s42, vcc_lo
	s_xor_b32 s42, exec_lo, s42
	s_cbranch_execz .LBB2_2165
; %bb.2162:                             ;   in Loop: Header=BB2_1932 Depth=2
	v_bfe_u32 v17, v17, 2, 5
	s_mov_b32 s43, exec_lo
	s_delay_alu instid0(VALU_DEP_1)
	v_cmpx_eq_u32_e32 0, v17
	s_cbranch_execz .LBB2_2164
; %bb.2163:                             ;   in Loop: Header=BB2_1932 Depth=2
	v_clz_i32_u32_e32 v17, v85
	s_delay_alu instid0(VALU_DEP_1) | instskip(SKIP_1) | instid1(VALU_DEP_2)
	v_min_u32_e32 v17, 32, v17
	v_mov_b32_e32 v115, v39
	v_subrev_nc_u32_e32 v38, 29, v17
	v_sub_nc_u32_e32 v17, 30, v17
	s_delay_alu instid0(VALU_DEP_2) | instskip(NEXT) | instid1(VALU_DEP_1)
	v_lshlrev_b64_e32 v[118:119], v38, v[114:115]
	v_and_b32_e32 v85, 3, v118
.LBB2_2164:                             ;   in Loop: Header=BB2_1932 Depth=2
	s_or_b32 exec_lo, exec_lo, s43
	v_bfe_i32 v38, v114, 0, 16
                                        ; implicit-def: $vgpr114
	s_delay_alu instid0(VALU_DEP_1) | instskip(NEXT) | instid1(VALU_DEP_1)
	v_and_b32_e32 v38, 0x80000000, v38
	v_lshl_add_u32 v17, v17, 23, v38
	s_delay_alu instid0(VALU_DEP_1) | instskip(NEXT) | instid1(VALU_DEP_1)
	v_lshl_or_b32 v17, v85, 21, v17
                                        ; implicit-def: $vgpr85
	v_add_nc_u32_e32 v38, 0x38000000, v17
.LBB2_2165:                             ;   in Loop: Header=BB2_1932 Depth=2
	s_and_not1_saveexec_b32 s42, s42
; %bb.2166:                             ;   in Loop: Header=BB2_1932 Depth=2
	v_cmp_lt_i16_e32 vcc_lo, -1, v114
	v_cndmask_b32_e32 v17, 0xff800000, v62, vcc_lo
	v_cmp_eq_u32_e32 vcc_lo, 0, v85
	s_delay_alu instid0(VALU_DEP_2)
	v_cndmask_b32_e32 v38, 0x7f800001, v17, vcc_lo
; %bb.2167:                             ;   in Loop: Header=BB2_1932 Depth=2
	s_or_b32 exec_lo, exec_lo, s42
.LBB2_2168:                             ;   in Loop: Header=BB2_1932 Depth=2
	s_delay_alu instid0(SALU_CYCLE_1)
	s_or_b32 exec_lo, exec_lo, s10
.LBB2_2169:                             ;   in Loop: Header=BB2_1932 Depth=2
	s_delay_alu instid0(SALU_CYCLE_1) | instskip(NEXT) | instid1(SALU_CYCLE_1)
	s_or_b32 exec_lo, exec_lo, s15
	s_mov_b32 s10, exec_lo
	s_wait_loadcnt_dscnt 0x404
	v_cmpx_ne_u16_e32 0, v112
	s_cbranch_execz .LBB2_2179
; %bb.2170:                             ;   in Loop: Header=BB2_1932 Depth=2
	v_bfrev_b32_e32 v83, 1
	s_mov_b32 s15, exec_lo
	v_cmpx_ne_u16_e32 0xff80, v112
	s_cbranch_execz .LBB2_2178
; %bb.2171:                             ;   in Loop: Header=BB2_1932 Depth=2
	v_and_b32_e32 v83, 0x7c, v112
	v_and_b32_e32 v17, 3, v112
	s_delay_alu instid0(VALU_DEP_2) | instskip(SKIP_1) | instid1(SALU_CYCLE_1)
	v_cmp_ne_u32_e32 vcc_lo, 0x7c, v83
                                        ; implicit-def: $vgpr83
	s_and_saveexec_b32 s42, vcc_lo
	s_xor_b32 s42, exec_lo, s42
	s_cbranch_execz .LBB2_2175
; %bb.2172:                             ;   in Loop: Header=BB2_1932 Depth=2
	v_and_b32_e32 v83, 0xff, v112
	s_mov_b32 s43, exec_lo
	s_delay_alu instid0(VALU_DEP_1) | instskip(NEXT) | instid1(VALU_DEP_1)
	v_bfe_u32 v83, v83, 2, 5
	v_cmpx_eq_u32_e32 0, v83
; %bb.2173:                             ;   in Loop: Header=BB2_1932 Depth=2
	v_clz_i32_u32_e32 v17, v17
	s_delay_alu instid0(VALU_DEP_1) | instskip(SKIP_1) | instid1(VALU_DEP_2)
	v_min_u32_e32 v17, 32, v17
	v_mov_b32_e32 v113, v39
	v_subrev_nc_u32_e32 v83, 29, v17
	s_delay_alu instid0(VALU_DEP_1) | instskip(NEXT) | instid1(VALU_DEP_1)
	v_lshlrev_b64_e32 v[114:115], v83, v[112:113]
	v_dual_sub_nc_u32 v83, 30, v17 :: v_dual_bitop2_b32 v17, 3, v114 bitop3:0x40
; %bb.2174:                             ;   in Loop: Header=BB2_1932 Depth=2
	s_or_b32 exec_lo, exec_lo, s43
	v_bfe_i32 v85, v112, 0, 16
                                        ; implicit-def: $vgpr112
	s_delay_alu instid0(VALU_DEP_1) | instskip(NEXT) | instid1(VALU_DEP_1)
	v_and_b32_e32 v85, 0x80000000, v85
	v_lshl_add_u32 v83, v83, 23, v85
	s_delay_alu instid0(VALU_DEP_1) | instskip(NEXT) | instid1(VALU_DEP_1)
	v_lshl_or_b32 v17, v17, 21, v83
	v_add_nc_u32_e32 v83, 0x38000000, v17
                                        ; implicit-def: $vgpr17
.LBB2_2175:                             ;   in Loop: Header=BB2_1932 Depth=2
	s_and_not1_saveexec_b32 s42, s42
; %bb.2176:                             ;   in Loop: Header=BB2_1932 Depth=2
	v_cmp_lt_i16_e32 vcc_lo, -1, v112
	v_cndmask_b32_e32 v83, 0xff800000, v62, vcc_lo
	v_cmp_eq_u32_e32 vcc_lo, 0, v17
	s_delay_alu instid0(VALU_DEP_2)
	v_cndmask_b32_e32 v83, 0x7f800001, v83, vcc_lo
; %bb.2177:                             ;   in Loop: Header=BB2_1932 Depth=2
	s_or_b32 exec_lo, exec_lo, s42
.LBB2_2178:                             ;   in Loop: Header=BB2_1932 Depth=2
	s_delay_alu instid0(SALU_CYCLE_1)
	s_or_b32 exec_lo, exec_lo, s15
.LBB2_2179:                             ;   in Loop: Header=BB2_1932 Depth=2
	s_delay_alu instid0(SALU_CYCLE_1) | instskip(NEXT) | instid1(VALU_DEP_1)
	s_or_b32 exec_lo, exec_lo, s10
	v_dual_max_num_f32 v17, v83, v83 :: v_dual_max_num_f32 v38, v38, v38
	s_delay_alu instid0(VALU_DEP_1)
	v_min_num_f32_e32 v83, v38, v17
.LBB2_2180:                             ;   in Loop: Header=BB2_1932 Depth=2
	s_wait_loadcnt_dscnt 0x404
	s_delay_alu instid0(VALU_DEP_1) | instskip(SKIP_2) | instid1(VALU_DEP_2)
	v_and_b32_e32 v112, 0x7f800000, v83
	v_mov_b32_e32 v113, v39
	v_and_b32_e32 v38, 0x7fffff, v83
	v_cmp_ne_u64_e32 vcc_lo, 0x7f800000, v[112:113]
                                        ; implicit-def: $vgpr113
	s_and_saveexec_b32 s10, vcc_lo
	s_delay_alu instid0(SALU_CYCLE_1)
	s_xor_b32 s15, exec_lo, s10
	s_cbranch_execz .LBB2_2198
; %bb.2181:                             ;   in Loop: Header=BB2_1932 Depth=2
	v_and_b32_e32 v112, 0x7fffffff, v83
	v_dual_mov_b32 v113, v39 :: v_dual_lshrrev_b32 v17, 24, v83
	s_delay_alu instid0(VALU_DEP_1) | instskip(NEXT) | instid1(VALU_DEP_2)
	v_cmp_gt_u64_e32 vcc_lo, 0x47600001, v[112:113]
	v_and_b32_e32 v17, 0x80, v17
                                        ; implicit-def: $vgpr113
	s_and_saveexec_b32 s10, vcc_lo
	s_delay_alu instid0(SALU_CYCLE_1)
	s_xor_b32 s42, exec_lo, s10
	s_cbranch_execz .LBB2_2195
; %bb.2182:                             ;   in Loop: Header=BB2_1932 Depth=2
	v_mov_b32_e32 v113, 0
	s_mov_b32 s43, exec_lo
	v_cmpx_ne_u32_e32 0, v83
	s_cbranch_execz .LBB2_2194
; %bb.2183:                             ;   in Loop: Header=BB2_1932 Depth=2
	v_bfe_u32 v83, v83, 23, 8
	v_or_b32_e32 v97, 0x800000, v38
	s_delay_alu instid0(VALU_DEP_2) | instskip(SKIP_1) | instid1(VALU_DEP_2)
	v_sub_nc_u32_e32 v85, 0x71, v83
	v_cmp_gt_u32_e32 vcc_lo, 0x72, v83
	v_cndmask_b32_e32 v85, 0, v85, vcc_lo
	v_cmp_eq_u32_e32 vcc_lo, 0, v83
	s_delay_alu instid0(VALU_DEP_2) | instskip(NEXT) | instid1(VALU_DEP_1)
	v_cndmask_b32_e64 v85, v85, 0x70, vcc_lo
	v_dual_cndmask_b32 v38, v97, v38 :: v_dual_add_nc_u32 v87, 21, v85
	s_delay_alu instid0(VALU_DEP_1) | instskip(SKIP_1) | instid1(VALU_DEP_1)
	v_lshlrev_b64_e64 v[112:113], v87, -1
	v_add_nc_u32_e32 v87, 20, v85
	v_lshlrev_b64_e64 v[114:115], v87, 1
	s_delay_alu instid0(VALU_DEP_3) | instskip(NEXT) | instid1(VALU_DEP_4)
	v_bfi_b32 v119, v113, 0, 0
	v_bfi_b32 v118, v112, 0, v38
	v_lshrrev_b64 v[112:113], v85, v[38:39]
	s_delay_alu instid0(VALU_DEP_2) | instskip(NEXT) | instid1(VALU_DEP_2)
	v_cmp_eq_u64_e64 s10, v[118:119], v[114:115]
	v_mov_b64_e32 v[114:115], v[112:113]
	s_and_saveexec_b32 s44, s10
; %bb.2184:                             ;   in Loop: Header=BB2_1932 Depth=2
	v_bfe_u32 v38, v112, 21, 1
	s_delay_alu instid0(VALU_DEP_1) | instskip(NEXT) | instid1(VALU_DEP_1)
	v_add_nc_u64_e32 v[114:115], v[112:113], v[38:39]
	v_add_nc_u64_e32 v[114:115], -1, v[114:115]
; %bb.2185:                             ;   in Loop: Header=BB2_1932 Depth=2
	s_or_b32 exec_lo, exec_lo, s44
	v_add_nc_u32_e32 v38, 0xffffff81, v83
	v_lshrrev_b32_e32 v83, 23, v112
	s_mov_b32 s10, exec_lo
	s_delay_alu instid0(VALU_DEP_2) | instskip(NEXT) | instid1(VALU_DEP_1)
	v_cndmask_b32_e64 v38, v38, 0xffffff82, vcc_lo
	v_add3_u32 v85, v85, v38, v83
	v_and_b32_e32 v38, 0x1fffff, v114
                                        ; implicit-def: $vgpr83
	s_delay_alu instid0(VALU_DEP_1) | instskip(NEXT) | instid1(VALU_DEP_1)
	v_dual_add_nc_u32 v87, 14, v85 :: v_dual_add_nc_u32 v38, v38, v112
                                        ; implicit-def: $vgpr112_vgpr113
	v_cmpx_ne_u32_e32 0, v87
	s_xor_b32 s10, exec_lo, s10
; %bb.2186:                             ;   in Loop: Header=BB2_1932 Depth=2
	s_delay_alu instid0(VALU_DEP_2) | instskip(SKIP_2) | instid1(VALU_DEP_2)
	v_cmp_lt_u64_e32 vcc_lo, 0xffffff, v[38:39]
	v_add_nc_u32_e32 v83, 15, v85
	v_cndmask_b32_e64 v85, 0, 1, vcc_lo
	v_cndmask_b32_e32 v83, v87, v83, vcc_lo
	s_delay_alu instid0(VALU_DEP_2)
	v_lshrrev_b64 v[112:113], v85, v[38:39]
; %bb.2187:                             ;   in Loop: Header=BB2_1932 Depth=2
	s_and_not1_saveexec_b32 s10, s10
; %bb.2188:                             ;   in Loop: Header=BB2_1932 Depth=2
	v_mov_b64_e32 v[112:113], v[38:39]
	v_bfe_u32 v83, v38, 23, 1
; %bb.2189:                             ;   in Loop: Header=BB2_1932 Depth=2
	s_or_b32 exec_lo, exec_lo, s10
	s_delay_alu instid0(VALU_DEP_2) | instskip(NEXT) | instid1(VALU_DEP_2)
	v_lshrrev_b64 v[112:113], 21, v[112:113]
	v_cmp_gt_i32_e32 vcc_lo, 32, v83
	v_cmp_ne_u32_e64 s10, 0, v83
	s_delay_alu instid0(VALU_DEP_3) | instskip(NEXT) | instid1(VALU_DEP_1)
	v_dual_cndmask_b32 v113, 0, v113 :: v_dual_cndmask_b32 v112, 3, v112
	v_cmp_ne_u64_e32 vcc_lo, 0, v[112:113]
                                        ; implicit-def: $vgpr113
	s_or_b32 s10, s10, vcc_lo
	s_delay_alu instid0(SALU_CYCLE_1) | instskip(NEXT) | instid1(SALU_CYCLE_1)
	s_and_saveexec_b32 s44, s10
	s_xor_b32 s10, exec_lo, s44
; %bb.2190:                             ;   in Loop: Header=BB2_1932 Depth=2
	v_min_i32_e32 v38, 31, v83
	s_delay_alu instid0(VALU_DEP_1) | instskip(NEXT) | instid1(VALU_DEP_1)
	v_lshl_or_b32 v17, v38, 2, v17
	v_and_or_b32 v113, v112, 3, v17
                                        ; implicit-def: $vgpr17
; %bb.2191:                             ;   in Loop: Header=BB2_1932 Depth=2
	s_and_not1_saveexec_b32 s10, s10
; %bb.2192:                             ;   in Loop: Header=BB2_1932 Depth=2
	v_mov_b32_e32 v113, v17
; %bb.2193:                             ;   in Loop: Header=BB2_1932 Depth=2
	s_or_b32 exec_lo, exec_lo, s10
.LBB2_2194:                             ;   in Loop: Header=BB2_1932 Depth=2
	s_delay_alu instid0(SALU_CYCLE_1)
	s_or_b32 exec_lo, exec_lo, s43
                                        ; implicit-def: $vgpr17
.LBB2_2195:                             ;   in Loop: Header=BB2_1932 Depth=2
	s_and_not1_saveexec_b32 s10, s42
; %bb.2196:                             ;   in Loop: Header=BB2_1932 Depth=2
	v_or_b32_e32 v113, 0x7b, v17
; %bb.2197:                             ;   in Loop: Header=BB2_1932 Depth=2
	s_or_b32 exec_lo, exec_lo, s10
                                        ; implicit-def: $vgpr83
.LBB2_2198:                             ;   in Loop: Header=BB2_1932 Depth=2
	s_and_not1_saveexec_b32 s10, s15
	s_cbranch_execz .LBB2_2204
; %bb.2199:                             ;   in Loop: Header=BB2_1932 Depth=2
	s_mov_b32 s15, exec_lo
                                        ; implicit-def: $vgpr113
	v_cmpx_ne_u64_e32 0, v[38:39]
	s_xor_b32 s15, exec_lo, s15
; %bb.2200:                             ;   in Loop: Header=BB2_1932 Depth=2
	v_lshrrev_b32_e32 v17, 24, v83
                                        ; implicit-def: $vgpr83
	s_delay_alu instid0(VALU_DEP_1)
	v_or_b32_e32 v113, 0x7f, v17
; %bb.2201:                             ;   in Loop: Header=BB2_1932 Depth=2
	s_and_not1_saveexec_b32 s15, s15
; %bb.2202:                             ;   in Loop: Header=BB2_1932 Depth=2
	v_cmp_lt_i32_e32 vcc_lo, -1, v83
	v_cndmask_b32_e64 v113, -4, 0x7c, vcc_lo
; %bb.2203:                             ;   in Loop: Header=BB2_1932 Depth=2
	s_or_b32 exec_lo, exec_lo, s15
.LBB2_2204:                             ;   in Loop: Header=BB2_1932 Depth=2
	s_delay_alu instid0(SALU_CYCLE_1)
	s_or_b32 exec_lo, exec_lo, s10
	v_and_b32_e32 v17, 0xff, v102
	v_cmp_ne_u16_e64 s10, 0, v102
	s_and_not1_b32 vcc_lo, exec_lo, s14
	s_mov_b32 s15, -1
                                        ; implicit-def: $vgpr83
	s_cbranch_vccnz .LBB2_2226
; %bb.2205:                             ;   in Loop: Header=BB2_1932 Depth=2
	v_dual_mov_b32 v83, 0 :: v_dual_mov_b32 v38, 0
	s_and_saveexec_b32 s15, s10
	s_cbranch_execz .LBB2_2215
; %bb.2206:                             ;   in Loop: Header=BB2_1932 Depth=2
	v_bfrev_b32_e32 v38, 1
	s_mov_b32 s42, exec_lo
	v_cmpx_ne_u16_e32 0xff80, v102
	s_cbranch_execz .LBB2_2214
; %bb.2207:                             ;   in Loop: Header=BB2_1932 Depth=2
	v_and_b32_e32 v38, 0x7c, v17
	v_and_b32_e32 v85, 3, v17
	s_delay_alu instid0(VALU_DEP_2) | instskip(SKIP_1) | instid1(SALU_CYCLE_1)
	v_cmp_ne_u32_e32 vcc_lo, 0x7c, v38
                                        ; implicit-def: $vgpr38
	s_and_saveexec_b32 s43, vcc_lo
	s_xor_b32 s43, exec_lo, s43
	s_cbranch_execz .LBB2_2211
; %bb.2208:                             ;   in Loop: Header=BB2_1932 Depth=2
	v_bfe_u32 v38, v17, 2, 5
	s_mov_b32 s44, exec_lo
	s_delay_alu instid0(VALU_DEP_1)
	v_cmpx_eq_u32_e32 0, v38
	s_cbranch_execz .LBB2_2210
; %bb.2209:                             ;   in Loop: Header=BB2_1932 Depth=2
	v_clz_i32_u32_e32 v38, v85
	s_delay_alu instid0(VALU_DEP_1) | instskip(SKIP_1) | instid1(VALU_DEP_2)
	v_min_u32_e32 v38, 32, v38
	v_mov_b32_e32 v103, v39
	v_subrev_nc_u32_e32 v85, 29, v38
	v_sub_nc_u32_e32 v38, 30, v38
	s_delay_alu instid0(VALU_DEP_2) | instskip(NEXT) | instid1(VALU_DEP_1)
	v_lshlrev_b64_e32 v[114:115], v85, v[102:103]
	v_and_b32_e32 v85, 3, v114
.LBB2_2210:                             ;   in Loop: Header=BB2_1932 Depth=2
	s_or_b32 exec_lo, exec_lo, s44
	v_bfe_i32 v87, v102, 0, 16
	s_delay_alu instid0(VALU_DEP_1) | instskip(NEXT) | instid1(VALU_DEP_1)
	v_and_b32_e32 v87, 0x80000000, v87
	v_lshl_add_u32 v38, v38, 23, v87
	s_delay_alu instid0(VALU_DEP_1) | instskip(NEXT) | instid1(VALU_DEP_1)
	v_lshl_or_b32 v38, v85, 21, v38
                                        ; implicit-def: $vgpr85
	v_add_nc_u32_e32 v38, 0x38000000, v38
.LBB2_2211:                             ;   in Loop: Header=BB2_1932 Depth=2
	s_and_not1_saveexec_b32 s43, s43
; %bb.2212:                             ;   in Loop: Header=BB2_1932 Depth=2
	v_cmp_lt_i16_e32 vcc_lo, -1, v102
	v_cndmask_b32_e32 v38, 0xff800000, v62, vcc_lo
	v_cmp_eq_u32_e32 vcc_lo, 0, v85
	s_delay_alu instid0(VALU_DEP_2)
	v_cndmask_b32_e32 v38, 0x7f800001, v38, vcc_lo
; %bb.2213:                             ;   in Loop: Header=BB2_1932 Depth=2
	s_or_b32 exec_lo, exec_lo, s43
.LBB2_2214:                             ;   in Loop: Header=BB2_1932 Depth=2
	s_delay_alu instid0(SALU_CYCLE_1)
	s_or_b32 exec_lo, exec_lo, s42
.LBB2_2215:                             ;   in Loop: Header=BB2_1932 Depth=2
	s_delay_alu instid0(SALU_CYCLE_1) | instskip(NEXT) | instid1(SALU_CYCLE_1)
	s_or_b32 exec_lo, exec_lo, s15
	s_mov_b32 s15, exec_lo
	s_wait_loadcnt_dscnt 0x303
	v_cmpx_ne_u16_e32 0, v100
	s_cbranch_execz .LBB2_2225
; %bb.2216:                             ;   in Loop: Header=BB2_1932 Depth=2
	v_bfrev_b32_e32 v83, 1
	s_mov_b32 s42, exec_lo
	v_cmpx_ne_u16_e32 0xff80, v100
	s_cbranch_execz .LBB2_2224
; %bb.2217:                             ;   in Loop: Header=BB2_1932 Depth=2
	v_and_b32_e32 v83, 0x7c, v100
	v_and_b32_e32 v85, 3, v100
	s_delay_alu instid0(VALU_DEP_2) | instskip(SKIP_1) | instid1(SALU_CYCLE_1)
	v_cmp_ne_u32_e32 vcc_lo, 0x7c, v83
                                        ; implicit-def: $vgpr83
	s_and_saveexec_b32 s43, vcc_lo
	s_xor_b32 s43, exec_lo, s43
	s_cbranch_execz .LBB2_2221
; %bb.2218:                             ;   in Loop: Header=BB2_1932 Depth=2
	v_and_b32_e32 v83, 0xff, v100
	s_mov_b32 s44, exec_lo
	s_delay_alu instid0(VALU_DEP_1) | instskip(NEXT) | instid1(VALU_DEP_1)
	v_bfe_u32 v83, v83, 2, 5
	v_cmpx_eq_u32_e32 0, v83
	s_cbranch_execz .LBB2_2220
; %bb.2219:                             ;   in Loop: Header=BB2_1932 Depth=2
	v_clz_i32_u32_e32 v83, v85
	s_delay_alu instid0(VALU_DEP_1) | instskip(SKIP_1) | instid1(VALU_DEP_2)
	v_min_u32_e32 v83, 32, v83
	v_mov_b32_e32 v101, v39
	v_subrev_nc_u32_e32 v85, 29, v83
	v_sub_nc_u32_e32 v83, 30, v83
	s_delay_alu instid0(VALU_DEP_2) | instskip(NEXT) | instid1(VALU_DEP_1)
	v_lshlrev_b64_e32 v[114:115], v85, v[100:101]
	v_and_b32_e32 v85, 3, v114
.LBB2_2220:                             ;   in Loop: Header=BB2_1932 Depth=2
	s_or_b32 exec_lo, exec_lo, s44
	v_bfe_i32 v87, v100, 0, 16
	s_delay_alu instid0(VALU_DEP_1) | instskip(NEXT) | instid1(VALU_DEP_1)
	v_and_b32_e32 v87, 0x80000000, v87
	v_lshl_add_u32 v83, v83, 23, v87
	s_delay_alu instid0(VALU_DEP_1) | instskip(NEXT) | instid1(VALU_DEP_1)
	v_lshl_or_b32 v83, v85, 21, v83
                                        ; implicit-def: $vgpr85
	v_add_nc_u32_e32 v83, 0x38000000, v83
.LBB2_2221:                             ;   in Loop: Header=BB2_1932 Depth=2
	s_and_not1_saveexec_b32 s43, s43
; %bb.2222:                             ;   in Loop: Header=BB2_1932 Depth=2
	v_cmp_lt_i16_e32 vcc_lo, -1, v100
	v_cndmask_b32_e32 v83, 0xff800000, v62, vcc_lo
	v_cmp_eq_u32_e32 vcc_lo, 0, v85
	s_delay_alu instid0(VALU_DEP_2)
	v_cndmask_b32_e32 v83, 0x7f800001, v83, vcc_lo
; %bb.2223:                             ;   in Loop: Header=BB2_1932 Depth=2
	s_or_b32 exec_lo, exec_lo, s43
.LBB2_2224:                             ;   in Loop: Header=BB2_1932 Depth=2
	s_delay_alu instid0(SALU_CYCLE_1)
	s_or_b32 exec_lo, exec_lo, s42
.LBB2_2225:                             ;   in Loop: Header=BB2_1932 Depth=2
	s_delay_alu instid0(SALU_CYCLE_1) | instskip(NEXT) | instid1(VALU_DEP_1)
	s_or_b32 exec_lo, exec_lo, s15
	v_dual_max_num_f32 v83, v83, v83 :: v_dual_max_num_f32 v38, v38, v38
	s_mov_b32 s15, 0
	s_delay_alu instid0(VALU_DEP_1)
	v_max_num_f32_e32 v83, v38, v83
.LBB2_2226:                             ;   in Loop: Header=BB2_1932 Depth=2
	s_and_b32 vcc_lo, exec_lo, s15
	s_cbranch_vccz .LBB2_2248
; %bb.2227:                             ;   in Loop: Header=BB2_1932 Depth=2
	v_dual_mov_b32 v83, 0 :: v_dual_mov_b32 v38, 0
	s_and_saveexec_b32 s15, s10
	s_cbranch_execz .LBB2_2237
; %bb.2228:                             ;   in Loop: Header=BB2_1932 Depth=2
	v_bfrev_b32_e32 v38, 1
	s_mov_b32 s10, exec_lo
	v_cmpx_ne_u16_e32 0xff80, v102
	s_cbranch_execz .LBB2_2236
; %bb.2229:                             ;   in Loop: Header=BB2_1932 Depth=2
	v_and_b32_e32 v38, 0x7c, v17
	v_and_b32_e32 v85, 3, v17
	s_delay_alu instid0(VALU_DEP_2) | instskip(SKIP_1) | instid1(SALU_CYCLE_1)
	v_cmp_ne_u32_e32 vcc_lo, 0x7c, v38
                                        ; implicit-def: $vgpr38
	s_and_saveexec_b32 s42, vcc_lo
	s_xor_b32 s42, exec_lo, s42
	s_cbranch_execz .LBB2_2233
; %bb.2230:                             ;   in Loop: Header=BB2_1932 Depth=2
	v_bfe_u32 v17, v17, 2, 5
	s_mov_b32 s43, exec_lo
	s_delay_alu instid0(VALU_DEP_1)
	v_cmpx_eq_u32_e32 0, v17
	s_cbranch_execz .LBB2_2232
; %bb.2231:                             ;   in Loop: Header=BB2_1932 Depth=2
	v_clz_i32_u32_e32 v17, v85
	s_delay_alu instid0(VALU_DEP_1) | instskip(SKIP_1) | instid1(VALU_DEP_2)
	v_min_u32_e32 v17, 32, v17
	v_mov_b32_e32 v103, v39
	v_subrev_nc_u32_e32 v38, 29, v17
	v_sub_nc_u32_e32 v17, 30, v17
	s_delay_alu instid0(VALU_DEP_2) | instskip(NEXT) | instid1(VALU_DEP_1)
	v_lshlrev_b64_e32 v[114:115], v38, v[102:103]
	v_and_b32_e32 v85, 3, v114
.LBB2_2232:                             ;   in Loop: Header=BB2_1932 Depth=2
	s_or_b32 exec_lo, exec_lo, s43
	v_bfe_i32 v38, v102, 0, 16
                                        ; implicit-def: $vgpr102
	s_delay_alu instid0(VALU_DEP_1) | instskip(NEXT) | instid1(VALU_DEP_1)
	v_and_b32_e32 v38, 0x80000000, v38
	v_lshl_add_u32 v17, v17, 23, v38
	s_delay_alu instid0(VALU_DEP_1) | instskip(NEXT) | instid1(VALU_DEP_1)
	v_lshl_or_b32 v17, v85, 21, v17
                                        ; implicit-def: $vgpr85
	v_add_nc_u32_e32 v38, 0x38000000, v17
.LBB2_2233:                             ;   in Loop: Header=BB2_1932 Depth=2
	s_and_not1_saveexec_b32 s42, s42
; %bb.2234:                             ;   in Loop: Header=BB2_1932 Depth=2
	v_cmp_lt_i16_e32 vcc_lo, -1, v102
	v_cndmask_b32_e32 v17, 0xff800000, v62, vcc_lo
	v_cmp_eq_u32_e32 vcc_lo, 0, v85
	s_delay_alu instid0(VALU_DEP_2)
	v_cndmask_b32_e32 v38, 0x7f800001, v17, vcc_lo
; %bb.2235:                             ;   in Loop: Header=BB2_1932 Depth=2
	s_or_b32 exec_lo, exec_lo, s42
.LBB2_2236:                             ;   in Loop: Header=BB2_1932 Depth=2
	s_delay_alu instid0(SALU_CYCLE_1)
	s_or_b32 exec_lo, exec_lo, s10
.LBB2_2237:                             ;   in Loop: Header=BB2_1932 Depth=2
	s_delay_alu instid0(SALU_CYCLE_1) | instskip(NEXT) | instid1(SALU_CYCLE_1)
	s_or_b32 exec_lo, exec_lo, s15
	s_mov_b32 s10, exec_lo
	s_wait_loadcnt_dscnt 0x303
	v_cmpx_ne_u16_e32 0, v100
	s_cbranch_execz .LBB2_2247
; %bb.2238:                             ;   in Loop: Header=BB2_1932 Depth=2
	v_bfrev_b32_e32 v83, 1
	s_mov_b32 s15, exec_lo
	v_cmpx_ne_u16_e32 0xff80, v100
	s_cbranch_execz .LBB2_2246
; %bb.2239:                             ;   in Loop: Header=BB2_1932 Depth=2
	v_and_b32_e32 v83, 0x7c, v100
	v_and_b32_e32 v17, 3, v100
	s_delay_alu instid0(VALU_DEP_2) | instskip(SKIP_1) | instid1(SALU_CYCLE_1)
	v_cmp_ne_u32_e32 vcc_lo, 0x7c, v83
                                        ; implicit-def: $vgpr83
	s_and_saveexec_b32 s42, vcc_lo
	s_xor_b32 s42, exec_lo, s42
	s_cbranch_execz .LBB2_2243
; %bb.2240:                             ;   in Loop: Header=BB2_1932 Depth=2
	v_and_b32_e32 v83, 0xff, v100
	s_mov_b32 s43, exec_lo
	s_delay_alu instid0(VALU_DEP_1) | instskip(NEXT) | instid1(VALU_DEP_1)
	v_bfe_u32 v83, v83, 2, 5
	v_cmpx_eq_u32_e32 0, v83
; %bb.2241:                             ;   in Loop: Header=BB2_1932 Depth=2
	v_clz_i32_u32_e32 v17, v17
	s_delay_alu instid0(VALU_DEP_1) | instskip(SKIP_1) | instid1(VALU_DEP_2)
	v_min_u32_e32 v17, 32, v17
	v_mov_b32_e32 v101, v39
	v_subrev_nc_u32_e32 v83, 29, v17
	s_delay_alu instid0(VALU_DEP_1) | instskip(NEXT) | instid1(VALU_DEP_1)
	v_lshlrev_b64_e32 v[102:103], v83, v[100:101]
	v_dual_sub_nc_u32 v83, 30, v17 :: v_dual_bitop2_b32 v17, 3, v102 bitop3:0x40
; %bb.2242:                             ;   in Loop: Header=BB2_1932 Depth=2
	s_or_b32 exec_lo, exec_lo, s43
	v_bfe_i32 v85, v100, 0, 16
                                        ; implicit-def: $vgpr100
	s_delay_alu instid0(VALU_DEP_1) | instskip(NEXT) | instid1(VALU_DEP_1)
	v_and_b32_e32 v85, 0x80000000, v85
	v_lshl_add_u32 v83, v83, 23, v85
	s_delay_alu instid0(VALU_DEP_1) | instskip(NEXT) | instid1(VALU_DEP_1)
	v_lshl_or_b32 v17, v17, 21, v83
	v_add_nc_u32_e32 v83, 0x38000000, v17
                                        ; implicit-def: $vgpr17
.LBB2_2243:                             ;   in Loop: Header=BB2_1932 Depth=2
	s_and_not1_saveexec_b32 s42, s42
; %bb.2244:                             ;   in Loop: Header=BB2_1932 Depth=2
	v_cmp_lt_i16_e32 vcc_lo, -1, v100
	v_cndmask_b32_e32 v83, 0xff800000, v62, vcc_lo
	v_cmp_eq_u32_e32 vcc_lo, 0, v17
	s_delay_alu instid0(VALU_DEP_2)
	v_cndmask_b32_e32 v83, 0x7f800001, v83, vcc_lo
; %bb.2245:                             ;   in Loop: Header=BB2_1932 Depth=2
	s_or_b32 exec_lo, exec_lo, s42
.LBB2_2246:                             ;   in Loop: Header=BB2_1932 Depth=2
	s_delay_alu instid0(SALU_CYCLE_1)
	s_or_b32 exec_lo, exec_lo, s15
.LBB2_2247:                             ;   in Loop: Header=BB2_1932 Depth=2
	s_delay_alu instid0(SALU_CYCLE_1) | instskip(NEXT) | instid1(VALU_DEP_1)
	s_or_b32 exec_lo, exec_lo, s10
	v_dual_max_num_f32 v17, v83, v83 :: v_dual_max_num_f32 v38, v38, v38
	s_delay_alu instid0(VALU_DEP_1)
	v_min_num_f32_e32 v83, v38, v17
.LBB2_2248:                             ;   in Loop: Header=BB2_1932 Depth=2
	s_wait_loadcnt_dscnt 0x303
	s_delay_alu instid0(VALU_DEP_1) | instskip(SKIP_2) | instid1(VALU_DEP_2)
	v_and_b32_e32 v100, 0x7f800000, v83
	v_mov_b32_e32 v101, v39
	v_and_b32_e32 v38, 0x7fffff, v83
	v_cmp_ne_u64_e32 vcc_lo, 0x7f800000, v[100:101]
                                        ; implicit-def: $vgpr101
	s_and_saveexec_b32 s10, vcc_lo
	s_delay_alu instid0(SALU_CYCLE_1)
	s_xor_b32 s15, exec_lo, s10
	s_cbranch_execz .LBB2_2266
; %bb.2249:                             ;   in Loop: Header=BB2_1932 Depth=2
	v_and_b32_e32 v100, 0x7fffffff, v83
	v_dual_mov_b32 v101, v39 :: v_dual_lshrrev_b32 v17, 24, v83
	s_delay_alu instid0(VALU_DEP_1) | instskip(NEXT) | instid1(VALU_DEP_2)
	v_cmp_gt_u64_e32 vcc_lo, 0x47600001, v[100:101]
	v_and_b32_e32 v17, 0x80, v17
                                        ; implicit-def: $vgpr101
	s_and_saveexec_b32 s10, vcc_lo
	s_delay_alu instid0(SALU_CYCLE_1)
	s_xor_b32 s42, exec_lo, s10
	s_cbranch_execz .LBB2_2263
; %bb.2250:                             ;   in Loop: Header=BB2_1932 Depth=2
	v_mov_b32_e32 v101, 0
	s_mov_b32 s43, exec_lo
	v_cmpx_ne_u32_e32 0, v83
	s_cbranch_execz .LBB2_2262
; %bb.2251:                             ;   in Loop: Header=BB2_1932 Depth=2
	v_bfe_u32 v83, v83, 23, 8
	v_or_b32_e32 v97, 0x800000, v38
	s_delay_alu instid0(VALU_DEP_2) | instskip(SKIP_1) | instid1(VALU_DEP_2)
	v_sub_nc_u32_e32 v85, 0x71, v83
	v_cmp_gt_u32_e32 vcc_lo, 0x72, v83
	v_cndmask_b32_e32 v85, 0, v85, vcc_lo
	v_cmp_eq_u32_e32 vcc_lo, 0, v83
	s_delay_alu instid0(VALU_DEP_2) | instskip(NEXT) | instid1(VALU_DEP_1)
	v_cndmask_b32_e64 v85, v85, 0x70, vcc_lo
	v_dual_cndmask_b32 v38, v97, v38 :: v_dual_add_nc_u32 v87, 21, v85
	s_delay_alu instid0(VALU_DEP_1) | instskip(SKIP_1) | instid1(VALU_DEP_1)
	v_lshlrev_b64_e64 v[100:101], v87, -1
	v_add_nc_u32_e32 v87, 20, v85
	v_lshlrev_b64_e64 v[102:103], v87, 1
	s_delay_alu instid0(VALU_DEP_3) | instskip(NEXT) | instid1(VALU_DEP_4)
	v_bfi_b32 v115, v101, 0, 0
	v_bfi_b32 v114, v100, 0, v38
	v_lshrrev_b64 v[100:101], v85, v[38:39]
	s_delay_alu instid0(VALU_DEP_2) | instskip(NEXT) | instid1(VALU_DEP_2)
	v_cmp_eq_u64_e64 s10, v[114:115], v[102:103]
	v_mov_b64_e32 v[102:103], v[100:101]
	s_and_saveexec_b32 s44, s10
; %bb.2252:                             ;   in Loop: Header=BB2_1932 Depth=2
	v_bfe_u32 v38, v100, 21, 1
	s_delay_alu instid0(VALU_DEP_1) | instskip(NEXT) | instid1(VALU_DEP_1)
	v_add_nc_u64_e32 v[102:103], v[100:101], v[38:39]
	v_add_nc_u64_e32 v[102:103], -1, v[102:103]
; %bb.2253:                             ;   in Loop: Header=BB2_1932 Depth=2
	s_or_b32 exec_lo, exec_lo, s44
	v_add_nc_u32_e32 v38, 0xffffff81, v83
	v_lshrrev_b32_e32 v83, 23, v100
	s_mov_b32 s10, exec_lo
	s_delay_alu instid0(VALU_DEP_2) | instskip(NEXT) | instid1(VALU_DEP_1)
	v_cndmask_b32_e64 v38, v38, 0xffffff82, vcc_lo
	v_add3_u32 v85, v85, v38, v83
	v_and_b32_e32 v38, 0x1fffff, v102
                                        ; implicit-def: $vgpr83
	s_delay_alu instid0(VALU_DEP_1) | instskip(NEXT) | instid1(VALU_DEP_1)
	v_dual_add_nc_u32 v87, 14, v85 :: v_dual_add_nc_u32 v38, v38, v100
                                        ; implicit-def: $vgpr100_vgpr101
	v_cmpx_ne_u32_e32 0, v87
	s_xor_b32 s10, exec_lo, s10
; %bb.2254:                             ;   in Loop: Header=BB2_1932 Depth=2
	s_delay_alu instid0(VALU_DEP_2) | instskip(SKIP_2) | instid1(VALU_DEP_2)
	v_cmp_lt_u64_e32 vcc_lo, 0xffffff, v[38:39]
	v_add_nc_u32_e32 v83, 15, v85
	v_cndmask_b32_e64 v85, 0, 1, vcc_lo
	v_cndmask_b32_e32 v83, v87, v83, vcc_lo
	s_delay_alu instid0(VALU_DEP_2)
	v_lshrrev_b64 v[100:101], v85, v[38:39]
; %bb.2255:                             ;   in Loop: Header=BB2_1932 Depth=2
	s_and_not1_saveexec_b32 s10, s10
; %bb.2256:                             ;   in Loop: Header=BB2_1932 Depth=2
	v_mov_b64_e32 v[100:101], v[38:39]
	v_bfe_u32 v83, v38, 23, 1
; %bb.2257:                             ;   in Loop: Header=BB2_1932 Depth=2
	s_or_b32 exec_lo, exec_lo, s10
	s_delay_alu instid0(VALU_DEP_2) | instskip(NEXT) | instid1(VALU_DEP_2)
	v_lshrrev_b64 v[100:101], 21, v[100:101]
	v_cmp_gt_i32_e32 vcc_lo, 32, v83
	v_cmp_ne_u32_e64 s10, 0, v83
	s_delay_alu instid0(VALU_DEP_3) | instskip(NEXT) | instid1(VALU_DEP_1)
	v_dual_cndmask_b32 v101, 0, v101 :: v_dual_cndmask_b32 v100, 3, v100
	v_cmp_ne_u64_e32 vcc_lo, 0, v[100:101]
                                        ; implicit-def: $vgpr101
	s_or_b32 s10, s10, vcc_lo
	s_delay_alu instid0(SALU_CYCLE_1) | instskip(NEXT) | instid1(SALU_CYCLE_1)
	s_and_saveexec_b32 s44, s10
	s_xor_b32 s10, exec_lo, s44
; %bb.2258:                             ;   in Loop: Header=BB2_1932 Depth=2
	v_min_i32_e32 v38, 31, v83
	s_delay_alu instid0(VALU_DEP_1) | instskip(NEXT) | instid1(VALU_DEP_1)
	v_lshl_or_b32 v17, v38, 2, v17
	v_and_or_b32 v101, v100, 3, v17
                                        ; implicit-def: $vgpr17
; %bb.2259:                             ;   in Loop: Header=BB2_1932 Depth=2
	s_and_not1_saveexec_b32 s10, s10
; %bb.2260:                             ;   in Loop: Header=BB2_1932 Depth=2
	v_mov_b32_e32 v101, v17
; %bb.2261:                             ;   in Loop: Header=BB2_1932 Depth=2
	s_or_b32 exec_lo, exec_lo, s10
.LBB2_2262:                             ;   in Loop: Header=BB2_1932 Depth=2
	s_delay_alu instid0(SALU_CYCLE_1)
	s_or_b32 exec_lo, exec_lo, s43
                                        ; implicit-def: $vgpr17
.LBB2_2263:                             ;   in Loop: Header=BB2_1932 Depth=2
	s_and_not1_saveexec_b32 s10, s42
; %bb.2264:                             ;   in Loop: Header=BB2_1932 Depth=2
	v_or_b32_e32 v101, 0x7b, v17
; %bb.2265:                             ;   in Loop: Header=BB2_1932 Depth=2
	s_or_b32 exec_lo, exec_lo, s10
                                        ; implicit-def: $vgpr83
.LBB2_2266:                             ;   in Loop: Header=BB2_1932 Depth=2
	s_and_not1_saveexec_b32 s10, s15
	s_cbranch_execz .LBB2_2272
; %bb.2267:                             ;   in Loop: Header=BB2_1932 Depth=2
	s_mov_b32 s15, exec_lo
                                        ; implicit-def: $vgpr101
	v_cmpx_ne_u64_e32 0, v[38:39]
	s_xor_b32 s15, exec_lo, s15
; %bb.2268:                             ;   in Loop: Header=BB2_1932 Depth=2
	v_lshrrev_b32_e32 v17, 24, v83
                                        ; implicit-def: $vgpr83
	s_delay_alu instid0(VALU_DEP_1)
	v_or_b32_e32 v101, 0x7f, v17
; %bb.2269:                             ;   in Loop: Header=BB2_1932 Depth=2
	s_and_not1_saveexec_b32 s15, s15
; %bb.2270:                             ;   in Loop: Header=BB2_1932 Depth=2
	v_cmp_lt_i32_e32 vcc_lo, -1, v83
	v_cndmask_b32_e64 v101, -4, 0x7c, vcc_lo
; %bb.2271:                             ;   in Loop: Header=BB2_1932 Depth=2
	s_or_b32 exec_lo, exec_lo, s15
.LBB2_2272:                             ;   in Loop: Header=BB2_1932 Depth=2
	s_delay_alu instid0(SALU_CYCLE_1)
	s_or_b32 exec_lo, exec_lo, s10
	v_and_b32_e32 v17, 0xff, v98
	v_cmp_ne_u16_e64 s10, 0, v98
	s_and_not1_b32 vcc_lo, exec_lo, s14
	s_mov_b32 s15, -1
                                        ; implicit-def: $vgpr83
	s_cbranch_vccnz .LBB2_2294
; %bb.2273:                             ;   in Loop: Header=BB2_1932 Depth=2
	v_dual_mov_b32 v83, 0 :: v_dual_mov_b32 v38, 0
	s_and_saveexec_b32 s15, s10
	s_cbranch_execz .LBB2_2283
; %bb.2274:                             ;   in Loop: Header=BB2_1932 Depth=2
	v_bfrev_b32_e32 v38, 1
	s_mov_b32 s42, exec_lo
	v_cmpx_ne_u16_e32 0xff80, v98
	s_cbranch_execz .LBB2_2282
; %bb.2275:                             ;   in Loop: Header=BB2_1932 Depth=2
	v_and_b32_e32 v38, 0x7c, v17
	v_and_b32_e32 v85, 3, v17
	s_delay_alu instid0(VALU_DEP_2) | instskip(SKIP_1) | instid1(SALU_CYCLE_1)
	v_cmp_ne_u32_e32 vcc_lo, 0x7c, v38
                                        ; implicit-def: $vgpr38
	s_and_saveexec_b32 s43, vcc_lo
	s_xor_b32 s43, exec_lo, s43
	s_cbranch_execz .LBB2_2279
; %bb.2276:                             ;   in Loop: Header=BB2_1932 Depth=2
	v_bfe_u32 v38, v17, 2, 5
	s_mov_b32 s44, exec_lo
	s_delay_alu instid0(VALU_DEP_1)
	v_cmpx_eq_u32_e32 0, v38
	s_cbranch_execz .LBB2_2278
; %bb.2277:                             ;   in Loop: Header=BB2_1932 Depth=2
	v_clz_i32_u32_e32 v38, v85
	s_delay_alu instid0(VALU_DEP_1) | instskip(SKIP_1) | instid1(VALU_DEP_2)
	v_min_u32_e32 v38, 32, v38
	v_mov_b32_e32 v99, v39
	v_subrev_nc_u32_e32 v85, 29, v38
	v_sub_nc_u32_e32 v38, 30, v38
	s_delay_alu instid0(VALU_DEP_2) | instskip(NEXT) | instid1(VALU_DEP_1)
	v_lshlrev_b64_e32 v[102:103], v85, v[98:99]
	v_and_b32_e32 v85, 3, v102
.LBB2_2278:                             ;   in Loop: Header=BB2_1932 Depth=2
	s_or_b32 exec_lo, exec_lo, s44
	v_bfe_i32 v87, v98, 0, 16
	s_delay_alu instid0(VALU_DEP_1) | instskip(NEXT) | instid1(VALU_DEP_1)
	v_and_b32_e32 v87, 0x80000000, v87
	v_lshl_add_u32 v38, v38, 23, v87
	s_delay_alu instid0(VALU_DEP_1) | instskip(NEXT) | instid1(VALU_DEP_1)
	v_lshl_or_b32 v38, v85, 21, v38
                                        ; implicit-def: $vgpr85
	v_add_nc_u32_e32 v38, 0x38000000, v38
.LBB2_2279:                             ;   in Loop: Header=BB2_1932 Depth=2
	s_and_not1_saveexec_b32 s43, s43
; %bb.2280:                             ;   in Loop: Header=BB2_1932 Depth=2
	v_cmp_lt_i16_e32 vcc_lo, -1, v98
	v_cndmask_b32_e32 v38, 0xff800000, v62, vcc_lo
	v_cmp_eq_u32_e32 vcc_lo, 0, v85
	s_delay_alu instid0(VALU_DEP_2)
	v_cndmask_b32_e32 v38, 0x7f800001, v38, vcc_lo
; %bb.2281:                             ;   in Loop: Header=BB2_1932 Depth=2
	s_or_b32 exec_lo, exec_lo, s43
.LBB2_2282:                             ;   in Loop: Header=BB2_1932 Depth=2
	s_delay_alu instid0(SALU_CYCLE_1)
	s_or_b32 exec_lo, exec_lo, s42
.LBB2_2283:                             ;   in Loop: Header=BB2_1932 Depth=2
	s_delay_alu instid0(SALU_CYCLE_1) | instskip(NEXT) | instid1(SALU_CYCLE_1)
	s_or_b32 exec_lo, exec_lo, s15
	s_mov_b32 s15, exec_lo
	s_wait_loadcnt_dscnt 0x202
	v_cmpx_ne_u16_e32 0, v96
	s_cbranch_execz .LBB2_2293
; %bb.2284:                             ;   in Loop: Header=BB2_1932 Depth=2
	v_bfrev_b32_e32 v83, 1
	s_mov_b32 s42, exec_lo
	v_cmpx_ne_u16_e32 0xff80, v96
	s_cbranch_execz .LBB2_2292
; %bb.2285:                             ;   in Loop: Header=BB2_1932 Depth=2
	v_and_b32_e32 v83, 0x7c, v96
	v_and_b32_e32 v85, 3, v96
	s_delay_alu instid0(VALU_DEP_2) | instskip(SKIP_1) | instid1(SALU_CYCLE_1)
	v_cmp_ne_u32_e32 vcc_lo, 0x7c, v83
                                        ; implicit-def: $vgpr83
	s_and_saveexec_b32 s43, vcc_lo
	s_xor_b32 s43, exec_lo, s43
	s_cbranch_execz .LBB2_2289
; %bb.2286:                             ;   in Loop: Header=BB2_1932 Depth=2
	v_and_b32_e32 v83, 0xff, v96
	s_mov_b32 s44, exec_lo
	s_delay_alu instid0(VALU_DEP_1) | instskip(NEXT) | instid1(VALU_DEP_1)
	v_bfe_u32 v83, v83, 2, 5
	v_cmpx_eq_u32_e32 0, v83
	s_cbranch_execz .LBB2_2288
; %bb.2287:                             ;   in Loop: Header=BB2_1932 Depth=2
	v_clz_i32_u32_e32 v83, v85
	s_delay_alu instid0(VALU_DEP_1) | instskip(SKIP_1) | instid1(VALU_DEP_2)
	v_min_u32_e32 v83, 32, v83
	v_mov_b32_e32 v97, v39
	v_subrev_nc_u32_e32 v85, 29, v83
	v_sub_nc_u32_e32 v83, 30, v83
	s_delay_alu instid0(VALU_DEP_2) | instskip(NEXT) | instid1(VALU_DEP_1)
	v_lshlrev_b64_e32 v[102:103], v85, v[96:97]
	v_and_b32_e32 v85, 3, v102
.LBB2_2288:                             ;   in Loop: Header=BB2_1932 Depth=2
	s_or_b32 exec_lo, exec_lo, s44
	v_bfe_i32 v87, v96, 0, 16
	s_delay_alu instid0(VALU_DEP_1) | instskip(NEXT) | instid1(VALU_DEP_1)
	v_and_b32_e32 v87, 0x80000000, v87
	v_lshl_add_u32 v83, v83, 23, v87
	s_delay_alu instid0(VALU_DEP_1) | instskip(NEXT) | instid1(VALU_DEP_1)
	v_lshl_or_b32 v83, v85, 21, v83
                                        ; implicit-def: $vgpr85
	v_add_nc_u32_e32 v83, 0x38000000, v83
.LBB2_2289:                             ;   in Loop: Header=BB2_1932 Depth=2
	s_and_not1_saveexec_b32 s43, s43
; %bb.2290:                             ;   in Loop: Header=BB2_1932 Depth=2
	v_cmp_lt_i16_e32 vcc_lo, -1, v96
	v_cndmask_b32_e32 v83, 0xff800000, v62, vcc_lo
	v_cmp_eq_u32_e32 vcc_lo, 0, v85
	s_delay_alu instid0(VALU_DEP_2)
	v_cndmask_b32_e32 v83, 0x7f800001, v83, vcc_lo
; %bb.2291:                             ;   in Loop: Header=BB2_1932 Depth=2
	s_or_b32 exec_lo, exec_lo, s43
.LBB2_2292:                             ;   in Loop: Header=BB2_1932 Depth=2
	s_delay_alu instid0(SALU_CYCLE_1)
	s_or_b32 exec_lo, exec_lo, s42
.LBB2_2293:                             ;   in Loop: Header=BB2_1932 Depth=2
	s_delay_alu instid0(SALU_CYCLE_1) | instskip(NEXT) | instid1(VALU_DEP_1)
	s_or_b32 exec_lo, exec_lo, s15
	v_dual_max_num_f32 v83, v83, v83 :: v_dual_max_num_f32 v38, v38, v38
	s_mov_b32 s15, 0
	s_delay_alu instid0(VALU_DEP_1)
	v_max_num_f32_e32 v83, v38, v83
.LBB2_2294:                             ;   in Loop: Header=BB2_1932 Depth=2
	s_and_b32 vcc_lo, exec_lo, s15
	s_cbranch_vccz .LBB2_2316
; %bb.2295:                             ;   in Loop: Header=BB2_1932 Depth=2
	v_dual_mov_b32 v83, 0 :: v_dual_mov_b32 v38, 0
	s_and_saveexec_b32 s15, s10
	s_cbranch_execz .LBB2_2305
; %bb.2296:                             ;   in Loop: Header=BB2_1932 Depth=2
	v_bfrev_b32_e32 v38, 1
	s_mov_b32 s10, exec_lo
	v_cmpx_ne_u16_e32 0xff80, v98
	s_cbranch_execz .LBB2_2304
; %bb.2297:                             ;   in Loop: Header=BB2_1932 Depth=2
	v_and_b32_e32 v38, 0x7c, v17
	v_and_b32_e32 v85, 3, v17
	s_delay_alu instid0(VALU_DEP_2) | instskip(SKIP_1) | instid1(SALU_CYCLE_1)
	v_cmp_ne_u32_e32 vcc_lo, 0x7c, v38
                                        ; implicit-def: $vgpr38
	s_and_saveexec_b32 s42, vcc_lo
	s_xor_b32 s42, exec_lo, s42
	s_cbranch_execz .LBB2_2301
; %bb.2298:                             ;   in Loop: Header=BB2_1932 Depth=2
	v_bfe_u32 v17, v17, 2, 5
	s_mov_b32 s43, exec_lo
	s_delay_alu instid0(VALU_DEP_1)
	v_cmpx_eq_u32_e32 0, v17
	s_cbranch_execz .LBB2_2300
; %bb.2299:                             ;   in Loop: Header=BB2_1932 Depth=2
	v_clz_i32_u32_e32 v17, v85
	s_delay_alu instid0(VALU_DEP_1) | instskip(SKIP_1) | instid1(VALU_DEP_2)
	v_min_u32_e32 v17, 32, v17
	v_mov_b32_e32 v99, v39
	v_subrev_nc_u32_e32 v38, 29, v17
	v_sub_nc_u32_e32 v17, 30, v17
	s_delay_alu instid0(VALU_DEP_2) | instskip(NEXT) | instid1(VALU_DEP_1)
	v_lshlrev_b64_e32 v[102:103], v38, v[98:99]
	v_and_b32_e32 v85, 3, v102
.LBB2_2300:                             ;   in Loop: Header=BB2_1932 Depth=2
	s_or_b32 exec_lo, exec_lo, s43
	v_bfe_i32 v38, v98, 0, 16
                                        ; implicit-def: $vgpr98
	s_delay_alu instid0(VALU_DEP_1) | instskip(NEXT) | instid1(VALU_DEP_1)
	v_and_b32_e32 v38, 0x80000000, v38
	v_lshl_add_u32 v17, v17, 23, v38
	s_delay_alu instid0(VALU_DEP_1) | instskip(NEXT) | instid1(VALU_DEP_1)
	v_lshl_or_b32 v17, v85, 21, v17
                                        ; implicit-def: $vgpr85
	v_add_nc_u32_e32 v38, 0x38000000, v17
.LBB2_2301:                             ;   in Loop: Header=BB2_1932 Depth=2
	s_and_not1_saveexec_b32 s42, s42
; %bb.2302:                             ;   in Loop: Header=BB2_1932 Depth=2
	v_cmp_lt_i16_e32 vcc_lo, -1, v98
	v_cndmask_b32_e32 v17, 0xff800000, v62, vcc_lo
	v_cmp_eq_u32_e32 vcc_lo, 0, v85
	s_delay_alu instid0(VALU_DEP_2)
	v_cndmask_b32_e32 v38, 0x7f800001, v17, vcc_lo
; %bb.2303:                             ;   in Loop: Header=BB2_1932 Depth=2
	s_or_b32 exec_lo, exec_lo, s42
.LBB2_2304:                             ;   in Loop: Header=BB2_1932 Depth=2
	s_delay_alu instid0(SALU_CYCLE_1)
	s_or_b32 exec_lo, exec_lo, s10
.LBB2_2305:                             ;   in Loop: Header=BB2_1932 Depth=2
	s_delay_alu instid0(SALU_CYCLE_1) | instskip(NEXT) | instid1(SALU_CYCLE_1)
	s_or_b32 exec_lo, exec_lo, s15
	s_mov_b32 s10, exec_lo
	s_wait_loadcnt_dscnt 0x202
	v_cmpx_ne_u16_e32 0, v96
	s_cbranch_execz .LBB2_2315
; %bb.2306:                             ;   in Loop: Header=BB2_1932 Depth=2
	v_bfrev_b32_e32 v83, 1
	s_mov_b32 s15, exec_lo
	v_cmpx_ne_u16_e32 0xff80, v96
	s_cbranch_execz .LBB2_2314
; %bb.2307:                             ;   in Loop: Header=BB2_1932 Depth=2
	v_and_b32_e32 v83, 0x7c, v96
	v_and_b32_e32 v17, 3, v96
	s_delay_alu instid0(VALU_DEP_2) | instskip(SKIP_1) | instid1(SALU_CYCLE_1)
	v_cmp_ne_u32_e32 vcc_lo, 0x7c, v83
                                        ; implicit-def: $vgpr83
	s_and_saveexec_b32 s42, vcc_lo
	s_xor_b32 s42, exec_lo, s42
	s_cbranch_execz .LBB2_2311
; %bb.2308:                             ;   in Loop: Header=BB2_1932 Depth=2
	v_and_b32_e32 v83, 0xff, v96
	s_mov_b32 s43, exec_lo
	s_delay_alu instid0(VALU_DEP_1) | instskip(NEXT) | instid1(VALU_DEP_1)
	v_bfe_u32 v83, v83, 2, 5
	v_cmpx_eq_u32_e32 0, v83
; %bb.2309:                             ;   in Loop: Header=BB2_1932 Depth=2
	v_clz_i32_u32_e32 v17, v17
	s_delay_alu instid0(VALU_DEP_1) | instskip(SKIP_1) | instid1(VALU_DEP_2)
	v_min_u32_e32 v17, 32, v17
	v_mov_b32_e32 v97, v39
	v_subrev_nc_u32_e32 v83, 29, v17
	s_delay_alu instid0(VALU_DEP_1) | instskip(NEXT) | instid1(VALU_DEP_1)
	v_lshlrev_b64_e32 v[98:99], v83, v[96:97]
	v_dual_sub_nc_u32 v83, 30, v17 :: v_dual_bitop2_b32 v17, 3, v98 bitop3:0x40
; %bb.2310:                             ;   in Loop: Header=BB2_1932 Depth=2
	s_or_b32 exec_lo, exec_lo, s43
	v_bfe_i32 v85, v96, 0, 16
                                        ; implicit-def: $vgpr96
	s_delay_alu instid0(VALU_DEP_1) | instskip(NEXT) | instid1(VALU_DEP_1)
	v_and_b32_e32 v85, 0x80000000, v85
	v_lshl_add_u32 v83, v83, 23, v85
	s_delay_alu instid0(VALU_DEP_1) | instskip(NEXT) | instid1(VALU_DEP_1)
	v_lshl_or_b32 v17, v17, 21, v83
	v_add_nc_u32_e32 v83, 0x38000000, v17
                                        ; implicit-def: $vgpr17
.LBB2_2311:                             ;   in Loop: Header=BB2_1932 Depth=2
	s_and_not1_saveexec_b32 s42, s42
; %bb.2312:                             ;   in Loop: Header=BB2_1932 Depth=2
	v_cmp_lt_i16_e32 vcc_lo, -1, v96
	v_cndmask_b32_e32 v83, 0xff800000, v62, vcc_lo
	v_cmp_eq_u32_e32 vcc_lo, 0, v17
	s_delay_alu instid0(VALU_DEP_2)
	v_cndmask_b32_e32 v83, 0x7f800001, v83, vcc_lo
; %bb.2313:                             ;   in Loop: Header=BB2_1932 Depth=2
	s_or_b32 exec_lo, exec_lo, s42
.LBB2_2314:                             ;   in Loop: Header=BB2_1932 Depth=2
	s_delay_alu instid0(SALU_CYCLE_1)
	s_or_b32 exec_lo, exec_lo, s15
.LBB2_2315:                             ;   in Loop: Header=BB2_1932 Depth=2
	s_delay_alu instid0(SALU_CYCLE_1) | instskip(NEXT) | instid1(VALU_DEP_1)
	s_or_b32 exec_lo, exec_lo, s10
	v_dual_max_num_f32 v17, v83, v83 :: v_dual_max_num_f32 v38, v38, v38
	s_delay_alu instid0(VALU_DEP_1)
	v_min_num_f32_e32 v83, v38, v17
.LBB2_2316:                             ;   in Loop: Header=BB2_1932 Depth=2
	s_wait_loadcnt_dscnt 0x202
	s_delay_alu instid0(VALU_DEP_1) | instskip(SKIP_2) | instid1(VALU_DEP_2)
	v_and_b32_e32 v96, 0x7f800000, v83
	v_mov_b32_e32 v97, v39
	v_and_b32_e32 v38, 0x7fffff, v83
	v_cmp_ne_u64_e32 vcc_lo, 0x7f800000, v[96:97]
                                        ; implicit-def: $vgpr97
	s_and_saveexec_b32 s10, vcc_lo
	s_delay_alu instid0(SALU_CYCLE_1)
	s_xor_b32 s15, exec_lo, s10
	s_cbranch_execz .LBB2_2334
; %bb.2317:                             ;   in Loop: Header=BB2_1932 Depth=2
	v_and_b32_e32 v96, 0x7fffffff, v83
	v_dual_mov_b32 v97, v39 :: v_dual_lshrrev_b32 v17, 24, v83
	s_delay_alu instid0(VALU_DEP_1) | instskip(NEXT) | instid1(VALU_DEP_2)
	v_cmp_gt_u64_e32 vcc_lo, 0x47600001, v[96:97]
	v_and_b32_e32 v17, 0x80, v17
                                        ; implicit-def: $vgpr97
	s_and_saveexec_b32 s10, vcc_lo
	s_delay_alu instid0(SALU_CYCLE_1)
	s_xor_b32 s42, exec_lo, s10
	s_cbranch_execz .LBB2_2331
; %bb.2318:                             ;   in Loop: Header=BB2_1932 Depth=2
	v_mov_b32_e32 v97, 0
	s_mov_b32 s43, exec_lo
	v_cmpx_ne_u32_e32 0, v83
	s_cbranch_execz .LBB2_2330
; %bb.2319:                             ;   in Loop: Header=BB2_1932 Depth=2
	v_bfe_u32 v83, v83, 23, 8
	v_or_b32_e32 v98, 0x800000, v38
	s_delay_alu instid0(VALU_DEP_2) | instskip(SKIP_1) | instid1(VALU_DEP_2)
	v_sub_nc_u32_e32 v85, 0x71, v83
	v_cmp_gt_u32_e32 vcc_lo, 0x72, v83
	v_cndmask_b32_e32 v85, 0, v85, vcc_lo
	v_cmp_eq_u32_e32 vcc_lo, 0, v83
	s_delay_alu instid0(VALU_DEP_2) | instskip(NEXT) | instid1(VALU_DEP_1)
	v_cndmask_b32_e64 v85, v85, 0x70, vcc_lo
	v_dual_cndmask_b32 v38, v98, v38 :: v_dual_add_nc_u32 v87, 21, v85
	s_delay_alu instid0(VALU_DEP_1) | instskip(SKIP_1) | instid1(VALU_DEP_1)
	v_lshlrev_b64_e64 v[96:97], v87, -1
	v_add_nc_u32_e32 v87, 20, v85
	v_lshlrev_b64_e64 v[98:99], v87, 1
	s_delay_alu instid0(VALU_DEP_3) | instskip(NEXT) | instid1(VALU_DEP_4)
	v_bfi_b32 v103, v97, 0, 0
	v_bfi_b32 v102, v96, 0, v38
	v_lshrrev_b64 v[96:97], v85, v[38:39]
	s_delay_alu instid0(VALU_DEP_2) | instskip(NEXT) | instid1(VALU_DEP_2)
	v_cmp_eq_u64_e64 s10, v[102:103], v[98:99]
	v_mov_b64_e32 v[98:99], v[96:97]
	s_and_saveexec_b32 s44, s10
; %bb.2320:                             ;   in Loop: Header=BB2_1932 Depth=2
	v_bfe_u32 v38, v96, 21, 1
	s_delay_alu instid0(VALU_DEP_1) | instskip(NEXT) | instid1(VALU_DEP_1)
	v_add_nc_u64_e32 v[98:99], v[96:97], v[38:39]
	v_add_nc_u64_e32 v[98:99], -1, v[98:99]
; %bb.2321:                             ;   in Loop: Header=BB2_1932 Depth=2
	s_or_b32 exec_lo, exec_lo, s44
	v_add_nc_u32_e32 v38, 0xffffff81, v83
	v_lshrrev_b32_e32 v83, 23, v96
	s_mov_b32 s10, exec_lo
	s_delay_alu instid0(VALU_DEP_2) | instskip(NEXT) | instid1(VALU_DEP_1)
	v_cndmask_b32_e64 v38, v38, 0xffffff82, vcc_lo
	v_add3_u32 v85, v85, v38, v83
	v_and_b32_e32 v38, 0x1fffff, v98
                                        ; implicit-def: $vgpr83
	s_delay_alu instid0(VALU_DEP_1) | instskip(NEXT) | instid1(VALU_DEP_1)
	v_dual_add_nc_u32 v87, 14, v85 :: v_dual_add_nc_u32 v38, v38, v96
                                        ; implicit-def: $vgpr96_vgpr97
	v_cmpx_ne_u32_e32 0, v87
	s_xor_b32 s10, exec_lo, s10
; %bb.2322:                             ;   in Loop: Header=BB2_1932 Depth=2
	s_delay_alu instid0(VALU_DEP_2) | instskip(SKIP_2) | instid1(VALU_DEP_2)
	v_cmp_lt_u64_e32 vcc_lo, 0xffffff, v[38:39]
	v_add_nc_u32_e32 v83, 15, v85
	v_cndmask_b32_e64 v85, 0, 1, vcc_lo
	v_cndmask_b32_e32 v83, v87, v83, vcc_lo
	s_delay_alu instid0(VALU_DEP_2)
	v_lshrrev_b64 v[96:97], v85, v[38:39]
; %bb.2323:                             ;   in Loop: Header=BB2_1932 Depth=2
	s_and_not1_saveexec_b32 s10, s10
; %bb.2324:                             ;   in Loop: Header=BB2_1932 Depth=2
	v_mov_b64_e32 v[96:97], v[38:39]
	v_bfe_u32 v83, v38, 23, 1
; %bb.2325:                             ;   in Loop: Header=BB2_1932 Depth=2
	s_or_b32 exec_lo, exec_lo, s10
	s_delay_alu instid0(VALU_DEP_2) | instskip(NEXT) | instid1(VALU_DEP_2)
	v_lshrrev_b64 v[96:97], 21, v[96:97]
	v_cmp_gt_i32_e32 vcc_lo, 32, v83
	v_cmp_ne_u32_e64 s10, 0, v83
	s_delay_alu instid0(VALU_DEP_3) | instskip(NEXT) | instid1(VALU_DEP_1)
	v_dual_cndmask_b32 v97, 0, v97 :: v_dual_cndmask_b32 v96, 3, v96
	v_cmp_ne_u64_e32 vcc_lo, 0, v[96:97]
                                        ; implicit-def: $vgpr97
	s_or_b32 s10, s10, vcc_lo
	s_delay_alu instid0(SALU_CYCLE_1) | instskip(NEXT) | instid1(SALU_CYCLE_1)
	s_and_saveexec_b32 s44, s10
	s_xor_b32 s10, exec_lo, s44
; %bb.2326:                             ;   in Loop: Header=BB2_1932 Depth=2
	v_min_i32_e32 v38, 31, v83
	s_delay_alu instid0(VALU_DEP_1) | instskip(NEXT) | instid1(VALU_DEP_1)
	v_lshl_or_b32 v17, v38, 2, v17
	v_and_or_b32 v97, v96, 3, v17
                                        ; implicit-def: $vgpr17
; %bb.2327:                             ;   in Loop: Header=BB2_1932 Depth=2
	s_and_not1_saveexec_b32 s10, s10
; %bb.2328:                             ;   in Loop: Header=BB2_1932 Depth=2
	v_mov_b32_e32 v97, v17
; %bb.2329:                             ;   in Loop: Header=BB2_1932 Depth=2
	s_or_b32 exec_lo, exec_lo, s10
.LBB2_2330:                             ;   in Loop: Header=BB2_1932 Depth=2
	s_delay_alu instid0(SALU_CYCLE_1)
	s_or_b32 exec_lo, exec_lo, s43
                                        ; implicit-def: $vgpr17
.LBB2_2331:                             ;   in Loop: Header=BB2_1932 Depth=2
	s_and_not1_saveexec_b32 s10, s42
; %bb.2332:                             ;   in Loop: Header=BB2_1932 Depth=2
	v_or_b32_e32 v97, 0x7b, v17
; %bb.2333:                             ;   in Loop: Header=BB2_1932 Depth=2
	s_or_b32 exec_lo, exec_lo, s10
                                        ; implicit-def: $vgpr83
.LBB2_2334:                             ;   in Loop: Header=BB2_1932 Depth=2
	s_and_not1_saveexec_b32 s10, s15
	s_cbranch_execz .LBB2_2340
; %bb.2335:                             ;   in Loop: Header=BB2_1932 Depth=2
	s_mov_b32 s15, exec_lo
                                        ; implicit-def: $vgpr97
	v_cmpx_ne_u64_e32 0, v[38:39]
	s_xor_b32 s15, exec_lo, s15
; %bb.2336:                             ;   in Loop: Header=BB2_1932 Depth=2
	v_lshrrev_b32_e32 v17, 24, v83
                                        ; implicit-def: $vgpr83
	s_delay_alu instid0(VALU_DEP_1)
	v_or_b32_e32 v97, 0x7f, v17
; %bb.2337:                             ;   in Loop: Header=BB2_1932 Depth=2
	s_and_not1_saveexec_b32 s15, s15
; %bb.2338:                             ;   in Loop: Header=BB2_1932 Depth=2
	v_cmp_lt_i32_e32 vcc_lo, -1, v83
	v_cndmask_b32_e64 v97, -4, 0x7c, vcc_lo
; %bb.2339:                             ;   in Loop: Header=BB2_1932 Depth=2
	s_or_b32 exec_lo, exec_lo, s15
.LBB2_2340:                             ;   in Loop: Header=BB2_1932 Depth=2
	s_delay_alu instid0(SALU_CYCLE_1)
	s_or_b32 exec_lo, exec_lo, s10
	v_and_b32_e32 v17, 0xff, v86
	v_cmp_ne_u16_e64 s10, 0, v86
	s_and_not1_b32 vcc_lo, exec_lo, s14
	s_mov_b32 s15, -1
                                        ; implicit-def: $vgpr83
	s_cbranch_vccnz .LBB2_2362
; %bb.2341:                             ;   in Loop: Header=BB2_1932 Depth=2
	v_dual_mov_b32 v83, 0 :: v_dual_mov_b32 v38, 0
	s_and_saveexec_b32 s15, s10
	s_cbranch_execz .LBB2_2351
; %bb.2342:                             ;   in Loop: Header=BB2_1932 Depth=2
	v_bfrev_b32_e32 v38, 1
	s_mov_b32 s42, exec_lo
	v_cmpx_ne_u16_e32 0xff80, v86
	s_cbranch_execz .LBB2_2350
; %bb.2343:                             ;   in Loop: Header=BB2_1932 Depth=2
	v_and_b32_e32 v38, 0x7c, v17
	v_and_b32_e32 v85, 3, v17
	s_delay_alu instid0(VALU_DEP_2) | instskip(SKIP_1) | instid1(SALU_CYCLE_1)
	v_cmp_ne_u32_e32 vcc_lo, 0x7c, v38
                                        ; implicit-def: $vgpr38
	s_and_saveexec_b32 s43, vcc_lo
	s_xor_b32 s43, exec_lo, s43
	s_cbranch_execz .LBB2_2347
; %bb.2344:                             ;   in Loop: Header=BB2_1932 Depth=2
	v_bfe_u32 v38, v17, 2, 5
	s_mov_b32 s44, exec_lo
	s_delay_alu instid0(VALU_DEP_1)
	v_cmpx_eq_u32_e32 0, v38
	s_cbranch_execz .LBB2_2346
; %bb.2345:                             ;   in Loop: Header=BB2_1932 Depth=2
	v_clz_i32_u32_e32 v38, v85
	s_delay_alu instid0(VALU_DEP_1) | instskip(SKIP_1) | instid1(VALU_DEP_2)
	v_min_u32_e32 v38, 32, v38
	v_mov_b32_e32 v87, v39
	v_subrev_nc_u32_e32 v85, 29, v38
	v_sub_nc_u32_e32 v38, 30, v38
	s_delay_alu instid0(VALU_DEP_2) | instskip(NEXT) | instid1(VALU_DEP_1)
	v_lshlrev_b64_e32 v[98:99], v85, v[86:87]
	v_and_b32_e32 v85, 3, v98
.LBB2_2346:                             ;   in Loop: Header=BB2_1932 Depth=2
	s_or_b32 exec_lo, exec_lo, s44
	v_bfe_i32 v87, v86, 0, 16
	s_delay_alu instid0(VALU_DEP_1) | instskip(NEXT) | instid1(VALU_DEP_1)
	v_and_b32_e32 v87, 0x80000000, v87
	v_lshl_add_u32 v38, v38, 23, v87
	s_delay_alu instid0(VALU_DEP_1) | instskip(NEXT) | instid1(VALU_DEP_1)
	v_lshl_or_b32 v38, v85, 21, v38
                                        ; implicit-def: $vgpr85
	v_add_nc_u32_e32 v38, 0x38000000, v38
.LBB2_2347:                             ;   in Loop: Header=BB2_1932 Depth=2
	s_and_not1_saveexec_b32 s43, s43
; %bb.2348:                             ;   in Loop: Header=BB2_1932 Depth=2
	v_cmp_lt_i16_e32 vcc_lo, -1, v86
	v_cndmask_b32_e32 v38, 0xff800000, v62, vcc_lo
	v_cmp_eq_u32_e32 vcc_lo, 0, v85
	s_delay_alu instid0(VALU_DEP_2)
	v_cndmask_b32_e32 v38, 0x7f800001, v38, vcc_lo
; %bb.2349:                             ;   in Loop: Header=BB2_1932 Depth=2
	s_or_b32 exec_lo, exec_lo, s43
.LBB2_2350:                             ;   in Loop: Header=BB2_1932 Depth=2
	s_delay_alu instid0(SALU_CYCLE_1)
	s_or_b32 exec_lo, exec_lo, s42
.LBB2_2351:                             ;   in Loop: Header=BB2_1932 Depth=2
	s_delay_alu instid0(SALU_CYCLE_1) | instskip(NEXT) | instid1(SALU_CYCLE_1)
	s_or_b32 exec_lo, exec_lo, s15
	s_mov_b32 s15, exec_lo
	s_wait_loadcnt_dscnt 0x101
	v_cmpx_ne_u16_e32 0, v84
	s_cbranch_execz .LBB2_2361
; %bb.2352:                             ;   in Loop: Header=BB2_1932 Depth=2
	v_bfrev_b32_e32 v83, 1
	s_mov_b32 s42, exec_lo
	v_cmpx_ne_u16_e32 0xff80, v84
	s_cbranch_execz .LBB2_2360
; %bb.2353:                             ;   in Loop: Header=BB2_1932 Depth=2
	v_and_b32_e32 v83, 0x7c, v84
	v_and_b32_e32 v85, 3, v84
	s_delay_alu instid0(VALU_DEP_2) | instskip(SKIP_1) | instid1(SALU_CYCLE_1)
	v_cmp_ne_u32_e32 vcc_lo, 0x7c, v83
                                        ; implicit-def: $vgpr83
	s_and_saveexec_b32 s43, vcc_lo
	s_xor_b32 s43, exec_lo, s43
	s_cbranch_execz .LBB2_2357
; %bb.2354:                             ;   in Loop: Header=BB2_1932 Depth=2
	v_and_b32_e32 v83, 0xff, v84
	s_mov_b32 s44, exec_lo
	s_delay_alu instid0(VALU_DEP_1) | instskip(NEXT) | instid1(VALU_DEP_1)
	v_bfe_u32 v83, v83, 2, 5
	v_cmpx_eq_u32_e32 0, v83
	s_cbranch_execz .LBB2_2356
; %bb.2355:                             ;   in Loop: Header=BB2_1932 Depth=2
	v_clz_i32_u32_e32 v83, v85
	s_delay_alu instid0(VALU_DEP_1) | instskip(SKIP_1) | instid1(VALU_DEP_2)
	v_min_u32_e32 v83, 32, v83
	v_mov_b32_e32 v85, v39
	v_subrev_nc_u32_e32 v87, 29, v83
	v_sub_nc_u32_e32 v83, 30, v83
	s_delay_alu instid0(VALU_DEP_2) | instskip(NEXT) | instid1(VALU_DEP_1)
	v_lshlrev_b64_e32 v[98:99], v87, v[84:85]
	v_and_b32_e32 v85, 3, v98
.LBB2_2356:                             ;   in Loop: Header=BB2_1932 Depth=2
	s_or_b32 exec_lo, exec_lo, s44
	v_bfe_i32 v87, v84, 0, 16
	s_delay_alu instid0(VALU_DEP_1) | instskip(NEXT) | instid1(VALU_DEP_1)
	v_and_b32_e32 v87, 0x80000000, v87
	v_lshl_add_u32 v83, v83, 23, v87
	s_delay_alu instid0(VALU_DEP_1) | instskip(NEXT) | instid1(VALU_DEP_1)
	v_lshl_or_b32 v83, v85, 21, v83
                                        ; implicit-def: $vgpr85
	v_add_nc_u32_e32 v83, 0x38000000, v83
.LBB2_2357:                             ;   in Loop: Header=BB2_1932 Depth=2
	s_and_not1_saveexec_b32 s43, s43
; %bb.2358:                             ;   in Loop: Header=BB2_1932 Depth=2
	v_cmp_lt_i16_e32 vcc_lo, -1, v84
	v_cndmask_b32_e32 v83, 0xff800000, v62, vcc_lo
	v_cmp_eq_u32_e32 vcc_lo, 0, v85
	s_delay_alu instid0(VALU_DEP_2)
	v_cndmask_b32_e32 v83, 0x7f800001, v83, vcc_lo
; %bb.2359:                             ;   in Loop: Header=BB2_1932 Depth=2
	s_or_b32 exec_lo, exec_lo, s43
.LBB2_2360:                             ;   in Loop: Header=BB2_1932 Depth=2
	s_delay_alu instid0(SALU_CYCLE_1)
	s_or_b32 exec_lo, exec_lo, s42
.LBB2_2361:                             ;   in Loop: Header=BB2_1932 Depth=2
	s_delay_alu instid0(SALU_CYCLE_1) | instskip(NEXT) | instid1(VALU_DEP_1)
	s_or_b32 exec_lo, exec_lo, s15
	v_dual_max_num_f32 v83, v83, v83 :: v_dual_max_num_f32 v38, v38, v38
	s_mov_b32 s15, 0
	s_delay_alu instid0(VALU_DEP_1)
	v_max_num_f32_e32 v83, v38, v83
.LBB2_2362:                             ;   in Loop: Header=BB2_1932 Depth=2
	s_and_b32 vcc_lo, exec_lo, s15
	s_cbranch_vccz .LBB2_2384
; %bb.2363:                             ;   in Loop: Header=BB2_1932 Depth=2
	v_dual_mov_b32 v83, 0 :: v_dual_mov_b32 v38, 0
	s_and_saveexec_b32 s15, s10
	s_cbranch_execz .LBB2_2373
; %bb.2364:                             ;   in Loop: Header=BB2_1932 Depth=2
	v_bfrev_b32_e32 v38, 1
	s_mov_b32 s10, exec_lo
	v_cmpx_ne_u16_e32 0xff80, v86
	s_cbranch_execz .LBB2_2372
; %bb.2365:                             ;   in Loop: Header=BB2_1932 Depth=2
	v_and_b32_e32 v38, 0x7c, v17
	v_and_b32_e32 v85, 3, v17
	s_delay_alu instid0(VALU_DEP_2) | instskip(SKIP_1) | instid1(SALU_CYCLE_1)
	v_cmp_ne_u32_e32 vcc_lo, 0x7c, v38
                                        ; implicit-def: $vgpr38
	s_and_saveexec_b32 s42, vcc_lo
	s_xor_b32 s42, exec_lo, s42
	s_cbranch_execz .LBB2_2369
; %bb.2366:                             ;   in Loop: Header=BB2_1932 Depth=2
	v_bfe_u32 v17, v17, 2, 5
	s_mov_b32 s43, exec_lo
	s_delay_alu instid0(VALU_DEP_1)
	v_cmpx_eq_u32_e32 0, v17
	s_cbranch_execz .LBB2_2368
; %bb.2367:                             ;   in Loop: Header=BB2_1932 Depth=2
	v_clz_i32_u32_e32 v17, v85
	s_delay_alu instid0(VALU_DEP_1) | instskip(SKIP_1) | instid1(VALU_DEP_2)
	v_min_u32_e32 v17, 32, v17
	v_mov_b32_e32 v87, v39
	v_subrev_nc_u32_e32 v38, 29, v17
	v_sub_nc_u32_e32 v17, 30, v17
	s_delay_alu instid0(VALU_DEP_2) | instskip(NEXT) | instid1(VALU_DEP_1)
	v_lshlrev_b64_e32 v[98:99], v38, v[86:87]
	v_and_b32_e32 v85, 3, v98
.LBB2_2368:                             ;   in Loop: Header=BB2_1932 Depth=2
	s_or_b32 exec_lo, exec_lo, s43
	v_bfe_i32 v38, v86, 0, 16
                                        ; implicit-def: $vgpr86
	s_delay_alu instid0(VALU_DEP_1) | instskip(NEXT) | instid1(VALU_DEP_1)
	v_and_b32_e32 v38, 0x80000000, v38
	v_lshl_add_u32 v17, v17, 23, v38
	s_delay_alu instid0(VALU_DEP_1) | instskip(NEXT) | instid1(VALU_DEP_1)
	v_lshl_or_b32 v17, v85, 21, v17
                                        ; implicit-def: $vgpr85
	v_add_nc_u32_e32 v38, 0x38000000, v17
.LBB2_2369:                             ;   in Loop: Header=BB2_1932 Depth=2
	s_and_not1_saveexec_b32 s42, s42
; %bb.2370:                             ;   in Loop: Header=BB2_1932 Depth=2
	v_cmp_lt_i16_e32 vcc_lo, -1, v86
	v_cndmask_b32_e32 v17, 0xff800000, v62, vcc_lo
	v_cmp_eq_u32_e32 vcc_lo, 0, v85
	s_delay_alu instid0(VALU_DEP_2)
	v_cndmask_b32_e32 v38, 0x7f800001, v17, vcc_lo
; %bb.2371:                             ;   in Loop: Header=BB2_1932 Depth=2
	s_or_b32 exec_lo, exec_lo, s42
.LBB2_2372:                             ;   in Loop: Header=BB2_1932 Depth=2
	s_delay_alu instid0(SALU_CYCLE_1)
	s_or_b32 exec_lo, exec_lo, s10
.LBB2_2373:                             ;   in Loop: Header=BB2_1932 Depth=2
	s_delay_alu instid0(SALU_CYCLE_1) | instskip(NEXT) | instid1(SALU_CYCLE_1)
	s_or_b32 exec_lo, exec_lo, s15
	s_mov_b32 s10, exec_lo
	s_wait_loadcnt_dscnt 0x101
	v_cmpx_ne_u16_e32 0, v84
	s_cbranch_execz .LBB2_2383
; %bb.2374:                             ;   in Loop: Header=BB2_1932 Depth=2
	v_bfrev_b32_e32 v83, 1
	s_mov_b32 s15, exec_lo
	v_cmpx_ne_u16_e32 0xff80, v84
	s_cbranch_execz .LBB2_2382
; %bb.2375:                             ;   in Loop: Header=BB2_1932 Depth=2
	v_and_b32_e32 v83, 0x7c, v84
	v_and_b32_e32 v17, 3, v84
	s_delay_alu instid0(VALU_DEP_2) | instskip(SKIP_1) | instid1(SALU_CYCLE_1)
	v_cmp_ne_u32_e32 vcc_lo, 0x7c, v83
                                        ; implicit-def: $vgpr83
	s_and_saveexec_b32 s42, vcc_lo
	s_xor_b32 s42, exec_lo, s42
	s_cbranch_execz .LBB2_2379
; %bb.2376:                             ;   in Loop: Header=BB2_1932 Depth=2
	v_and_b32_e32 v83, 0xff, v84
	s_mov_b32 s43, exec_lo
	s_delay_alu instid0(VALU_DEP_1) | instskip(NEXT) | instid1(VALU_DEP_1)
	v_bfe_u32 v83, v83, 2, 5
	v_cmpx_eq_u32_e32 0, v83
; %bb.2377:                             ;   in Loop: Header=BB2_1932 Depth=2
	v_clz_i32_u32_e32 v17, v17
	s_delay_alu instid0(VALU_DEP_1) | instskip(SKIP_1) | instid1(VALU_DEP_2)
	v_min_u32_e32 v17, 32, v17
	v_mov_b32_e32 v85, v39
	v_subrev_nc_u32_e32 v83, 29, v17
	s_delay_alu instid0(VALU_DEP_1) | instskip(NEXT) | instid1(VALU_DEP_1)
	v_lshlrev_b64_e32 v[86:87], v83, v[84:85]
	v_dual_sub_nc_u32 v83, 30, v17 :: v_dual_bitop2_b32 v17, 3, v86 bitop3:0x40
; %bb.2378:                             ;   in Loop: Header=BB2_1932 Depth=2
	s_or_b32 exec_lo, exec_lo, s43
	v_bfe_i32 v84, v84, 0, 16
	s_delay_alu instid0(VALU_DEP_1) | instskip(NEXT) | instid1(VALU_DEP_1)
	v_and_b32_e32 v84, 0x80000000, v84
	v_lshl_add_u32 v83, v83, 23, v84
                                        ; implicit-def: $vgpr84
	s_delay_alu instid0(VALU_DEP_1) | instskip(NEXT) | instid1(VALU_DEP_1)
	v_lshl_or_b32 v17, v17, 21, v83
	v_add_nc_u32_e32 v83, 0x38000000, v17
                                        ; implicit-def: $vgpr17
.LBB2_2379:                             ;   in Loop: Header=BB2_1932 Depth=2
	s_and_not1_saveexec_b32 s42, s42
; %bb.2380:                             ;   in Loop: Header=BB2_1932 Depth=2
	v_cmp_lt_i16_e32 vcc_lo, -1, v84
	v_cndmask_b32_e32 v83, 0xff800000, v62, vcc_lo
	v_cmp_eq_u32_e32 vcc_lo, 0, v17
	s_delay_alu instid0(VALU_DEP_2)
	v_cndmask_b32_e32 v83, 0x7f800001, v83, vcc_lo
; %bb.2381:                             ;   in Loop: Header=BB2_1932 Depth=2
	s_or_b32 exec_lo, exec_lo, s42
.LBB2_2382:                             ;   in Loop: Header=BB2_1932 Depth=2
	s_delay_alu instid0(SALU_CYCLE_1)
	s_or_b32 exec_lo, exec_lo, s15
.LBB2_2383:                             ;   in Loop: Header=BB2_1932 Depth=2
	s_delay_alu instid0(SALU_CYCLE_1) | instskip(NEXT) | instid1(VALU_DEP_1)
	s_or_b32 exec_lo, exec_lo, s10
	v_dual_max_num_f32 v17, v83, v83 :: v_dual_max_num_f32 v38, v38, v38
	s_delay_alu instid0(VALU_DEP_1)
	v_min_num_f32_e32 v83, v38, v17
.LBB2_2384:                             ;   in Loop: Header=BB2_1932 Depth=2
	s_wait_loadcnt_dscnt 0x101
	s_delay_alu instid0(VALU_DEP_1) | instskip(SKIP_2) | instid1(VALU_DEP_2)
	v_and_b32_e32 v84, 0x7f800000, v83
	v_mov_b32_e32 v85, v39
	v_and_b32_e32 v38, 0x7fffff, v83
	v_cmp_ne_u64_e32 vcc_lo, 0x7f800000, v[84:85]
                                        ; implicit-def: $vgpr85
	s_and_saveexec_b32 s10, vcc_lo
	s_delay_alu instid0(SALU_CYCLE_1)
	s_xor_b32 s15, exec_lo, s10
	s_cbranch_execz .LBB2_2402
; %bb.2385:                             ;   in Loop: Header=BB2_1932 Depth=2
	v_and_b32_e32 v84, 0x7fffffff, v83
	v_dual_mov_b32 v85, v39 :: v_dual_lshrrev_b32 v17, 24, v83
	s_delay_alu instid0(VALU_DEP_1) | instskip(NEXT) | instid1(VALU_DEP_2)
	v_cmp_gt_u64_e32 vcc_lo, 0x47600001, v[84:85]
	v_and_b32_e32 v17, 0x80, v17
                                        ; implicit-def: $vgpr85
	s_and_saveexec_b32 s10, vcc_lo
	s_delay_alu instid0(SALU_CYCLE_1)
	s_xor_b32 s42, exec_lo, s10
	s_cbranch_execz .LBB2_2399
; %bb.2386:                             ;   in Loop: Header=BB2_1932 Depth=2
	v_mov_b32_e32 v85, 0
	s_mov_b32 s43, exec_lo
	v_cmpx_ne_u32_e32 0, v83
	s_cbranch_execz .LBB2_2398
; %bb.2387:                             ;   in Loop: Header=BB2_1932 Depth=2
	v_bfe_u32 v83, v83, 23, 8
	v_or_b32_e32 v86, 0x800000, v38
	s_delay_alu instid0(VALU_DEP_2) | instskip(SKIP_1) | instid1(VALU_DEP_2)
	v_sub_nc_u32_e32 v84, 0x71, v83
	v_cmp_gt_u32_e32 vcc_lo, 0x72, v83
	v_cndmask_b32_e32 v84, 0, v84, vcc_lo
	v_cmp_eq_u32_e32 vcc_lo, 0, v83
	v_cndmask_b32_e32 v38, v86, v38, vcc_lo
	s_delay_alu instid0(VALU_DEP_3) | instskip(NEXT) | instid1(VALU_DEP_1)
	v_cndmask_b32_e64 v96, v84, 0x70, vcc_lo
	v_dual_add_nc_u32 v84, 21, v96 :: v_dual_add_nc_u32 v87, 20, v96
	s_delay_alu instid0(VALU_DEP_1) | instskip(NEXT) | instid1(VALU_DEP_2)
	v_lshlrev_b64_e64 v[84:85], v84, -1
	v_lshlrev_b64_e64 v[86:87], v87, 1
	s_delay_alu instid0(VALU_DEP_2) | instskip(NEXT) | instid1(VALU_DEP_3)
	v_bfi_b32 v99, v85, 0, 0
	v_bfi_b32 v98, v84, 0, v38
	v_lshrrev_b64 v[84:85], v96, v[38:39]
	s_delay_alu instid0(VALU_DEP_2) | instskip(NEXT) | instid1(VALU_DEP_2)
	v_cmp_eq_u64_e64 s10, v[98:99], v[86:87]
	v_mov_b64_e32 v[86:87], v[84:85]
	s_and_saveexec_b32 s44, s10
; %bb.2388:                             ;   in Loop: Header=BB2_1932 Depth=2
	v_bfe_u32 v38, v84, 21, 1
	s_delay_alu instid0(VALU_DEP_1) | instskip(NEXT) | instid1(VALU_DEP_1)
	v_add_nc_u64_e32 v[86:87], v[84:85], v[38:39]
	v_add_nc_u64_e32 v[86:87], -1, v[86:87]
; %bb.2389:                             ;   in Loop: Header=BB2_1932 Depth=2
	s_or_b32 exec_lo, exec_lo, s44
	v_add_nc_u32_e32 v38, 0xffffff81, v83
	v_lshrrev_b32_e32 v83, 23, v84
	s_mov_b32 s10, exec_lo
	s_delay_alu instid0(VALU_DEP_2) | instskip(NEXT) | instid1(VALU_DEP_1)
	v_cndmask_b32_e64 v38, v38, 0xffffff82, vcc_lo
	v_add3_u32 v87, v96, v38, v83
	v_and_b32_e32 v38, 0x1fffff, v86
                                        ; implicit-def: $vgpr83
	s_delay_alu instid0(VALU_DEP_1) | instskip(NEXT) | instid1(VALU_DEP_1)
	v_dual_add_nc_u32 v86, 14, v87 :: v_dual_add_nc_u32 v38, v38, v84
                                        ; implicit-def: $vgpr84_vgpr85
	v_cmpx_ne_u32_e32 0, v86
	s_xor_b32 s10, exec_lo, s10
; %bb.2390:                             ;   in Loop: Header=BB2_1932 Depth=2
	s_delay_alu instid0(VALU_DEP_2) | instskip(SKIP_2) | instid1(VALU_DEP_2)
	v_cmp_lt_u64_e32 vcc_lo, 0xffffff, v[38:39]
	v_add_nc_u32_e32 v83, 15, v87
	v_cndmask_b32_e64 v84, 0, 1, vcc_lo
	v_cndmask_b32_e32 v83, v86, v83, vcc_lo
	s_delay_alu instid0(VALU_DEP_2)
	v_lshrrev_b64 v[84:85], v84, v[38:39]
; %bb.2391:                             ;   in Loop: Header=BB2_1932 Depth=2
	s_and_not1_saveexec_b32 s10, s10
; %bb.2392:                             ;   in Loop: Header=BB2_1932 Depth=2
	v_mov_b64_e32 v[84:85], v[38:39]
	v_bfe_u32 v83, v38, 23, 1
; %bb.2393:                             ;   in Loop: Header=BB2_1932 Depth=2
	s_or_b32 exec_lo, exec_lo, s10
	s_delay_alu instid0(VALU_DEP_2) | instskip(NEXT) | instid1(VALU_DEP_2)
	v_lshrrev_b64 v[84:85], 21, v[84:85]
	v_cmp_gt_i32_e32 vcc_lo, 32, v83
	v_cmp_ne_u32_e64 s10, 0, v83
	s_delay_alu instid0(VALU_DEP_3) | instskip(NEXT) | instid1(VALU_DEP_1)
	v_dual_cndmask_b32 v85, 0, v85 :: v_dual_cndmask_b32 v84, 3, v84
	v_cmp_ne_u64_e32 vcc_lo, 0, v[84:85]
                                        ; implicit-def: $vgpr85
	s_or_b32 s10, s10, vcc_lo
	s_delay_alu instid0(SALU_CYCLE_1) | instskip(NEXT) | instid1(SALU_CYCLE_1)
	s_and_saveexec_b32 s44, s10
	s_xor_b32 s10, exec_lo, s44
; %bb.2394:                             ;   in Loop: Header=BB2_1932 Depth=2
	v_min_i32_e32 v38, 31, v83
	s_delay_alu instid0(VALU_DEP_1) | instskip(NEXT) | instid1(VALU_DEP_1)
	v_lshl_or_b32 v17, v38, 2, v17
	v_and_or_b32 v85, v84, 3, v17
                                        ; implicit-def: $vgpr17
; %bb.2395:                             ;   in Loop: Header=BB2_1932 Depth=2
	s_and_not1_saveexec_b32 s10, s10
; %bb.2396:                             ;   in Loop: Header=BB2_1932 Depth=2
	v_mov_b32_e32 v85, v17
; %bb.2397:                             ;   in Loop: Header=BB2_1932 Depth=2
	s_or_b32 exec_lo, exec_lo, s10
.LBB2_2398:                             ;   in Loop: Header=BB2_1932 Depth=2
	s_delay_alu instid0(SALU_CYCLE_1)
	s_or_b32 exec_lo, exec_lo, s43
                                        ; implicit-def: $vgpr17
.LBB2_2399:                             ;   in Loop: Header=BB2_1932 Depth=2
	s_and_not1_saveexec_b32 s10, s42
; %bb.2400:                             ;   in Loop: Header=BB2_1932 Depth=2
	v_or_b32_e32 v85, 0x7b, v17
; %bb.2401:                             ;   in Loop: Header=BB2_1932 Depth=2
	s_or_b32 exec_lo, exec_lo, s10
                                        ; implicit-def: $vgpr83
.LBB2_2402:                             ;   in Loop: Header=BB2_1932 Depth=2
	s_and_not1_saveexec_b32 s10, s15
	s_cbranch_execz .LBB2_2408
; %bb.2403:                             ;   in Loop: Header=BB2_1932 Depth=2
	s_mov_b32 s15, exec_lo
                                        ; implicit-def: $vgpr85
	v_cmpx_ne_u64_e32 0, v[38:39]
	s_xor_b32 s15, exec_lo, s15
; %bb.2404:                             ;   in Loop: Header=BB2_1932 Depth=2
	v_lshrrev_b32_e32 v17, 24, v83
                                        ; implicit-def: $vgpr83
	s_delay_alu instid0(VALU_DEP_1)
	v_or_b32_e32 v85, 0x7f, v17
; %bb.2405:                             ;   in Loop: Header=BB2_1932 Depth=2
	s_and_not1_saveexec_b32 s15, s15
; %bb.2406:                             ;   in Loop: Header=BB2_1932 Depth=2
	v_cmp_lt_i32_e32 vcc_lo, -1, v83
	v_cndmask_b32_e64 v85, -4, 0x7c, vcc_lo
; %bb.2407:                             ;   in Loop: Header=BB2_1932 Depth=2
	s_or_b32 exec_lo, exec_lo, s15
.LBB2_2408:                             ;   in Loop: Header=BB2_1932 Depth=2
	s_delay_alu instid0(SALU_CYCLE_1)
	s_or_b32 exec_lo, exec_lo, s10
	v_and_b32_e32 v38, 0xff, v82
	v_cmp_ne_u16_e64 s10, 0, v82
	s_and_not1_b32 vcc_lo, exec_lo, s14
	s_mov_b32 s15, -1
                                        ; implicit-def: $vgpr83
	s_cbranch_vccnz .LBB2_2430
; %bb.2409:                             ;   in Loop: Header=BB2_1932 Depth=2
	v_dual_mov_b32 v17, 0 :: v_dual_mov_b32 v83, 0
	s_and_saveexec_b32 s15, s10
	s_cbranch_execz .LBB2_2419
; %bb.2410:                             ;   in Loop: Header=BB2_1932 Depth=2
	v_bfrev_b32_e32 v83, 1
	s_mov_b32 s42, exec_lo
	v_cmpx_ne_u16_e32 0xff80, v82
	s_cbranch_execz .LBB2_2418
; %bb.2411:                             ;   in Loop: Header=BB2_1932 Depth=2
	v_and_b32_e32 v83, 0x7c, v38
	v_and_b32_e32 v84, 3, v38
	s_delay_alu instid0(VALU_DEP_2) | instskip(SKIP_1) | instid1(SALU_CYCLE_1)
	v_cmp_ne_u32_e32 vcc_lo, 0x7c, v83
                                        ; implicit-def: $vgpr83
	s_and_saveexec_b32 s43, vcc_lo
	s_xor_b32 s43, exec_lo, s43
	s_cbranch_execz .LBB2_2415
; %bb.2412:                             ;   in Loop: Header=BB2_1932 Depth=2
	v_bfe_u32 v83, v38, 2, 5
	s_mov_b32 s44, exec_lo
	s_delay_alu instid0(VALU_DEP_1)
	v_cmpx_eq_u32_e32 0, v83
; %bb.2413:                             ;   in Loop: Header=BB2_1932 Depth=2
	v_clz_i32_u32_e32 v83, v84
	s_delay_alu instid0(VALU_DEP_1) | instskip(SKIP_1) | instid1(VALU_DEP_2)
	v_min_u32_e32 v84, 32, v83
	v_mov_b32_e32 v83, v39
	v_subrev_nc_u32_e32 v86, 29, v84
	s_delay_alu instid0(VALU_DEP_1) | instskip(NEXT) | instid1(VALU_DEP_1)
	v_lshlrev_b64_e32 v[86:87], v86, v[82:83]
	v_dual_sub_nc_u32 v83, 30, v84 :: v_dual_bitop2_b32 v84, 3, v86 bitop3:0x40
; %bb.2414:                             ;   in Loop: Header=BB2_1932 Depth=2
	s_or_b32 exec_lo, exec_lo, s44
	v_bfe_i32 v86, v82, 0, 16
	s_delay_alu instid0(VALU_DEP_1) | instskip(NEXT) | instid1(VALU_DEP_1)
	v_and_b32_e32 v86, 0x80000000, v86
	v_lshl_add_u32 v83, v83, 23, v86
	s_delay_alu instid0(VALU_DEP_1) | instskip(NEXT) | instid1(VALU_DEP_1)
	v_lshl_or_b32 v83, v84, 21, v83
                                        ; implicit-def: $vgpr84
	v_add_nc_u32_e32 v83, 0x38000000, v83
.LBB2_2415:                             ;   in Loop: Header=BB2_1932 Depth=2
	s_and_not1_saveexec_b32 s43, s43
; %bb.2416:                             ;   in Loop: Header=BB2_1932 Depth=2
	v_cmp_lt_i16_e32 vcc_lo, -1, v82
	v_cndmask_b32_e32 v83, 0xff800000, v62, vcc_lo
	v_cmp_eq_u32_e32 vcc_lo, 0, v84
	s_delay_alu instid0(VALU_DEP_2)
	v_cndmask_b32_e32 v83, 0x7f800001, v83, vcc_lo
; %bb.2417:                             ;   in Loop: Header=BB2_1932 Depth=2
	s_or_b32 exec_lo, exec_lo, s43
.LBB2_2418:                             ;   in Loop: Header=BB2_1932 Depth=2
	s_delay_alu instid0(SALU_CYCLE_1)
	s_or_b32 exec_lo, exec_lo, s42
.LBB2_2419:                             ;   in Loop: Header=BB2_1932 Depth=2
	s_delay_alu instid0(SALU_CYCLE_1) | instskip(NEXT) | instid1(SALU_CYCLE_1)
	s_or_b32 exec_lo, exec_lo, s15
	s_mov_b32 s15, exec_lo
	s_wait_loadcnt_dscnt 0x0
	v_cmpx_ne_u16_e32 0, v16
	s_cbranch_execz .LBB2_2429
; %bb.2420:                             ;   in Loop: Header=BB2_1932 Depth=2
	v_bfrev_b32_e32 v17, 1
	s_mov_b32 s42, exec_lo
	v_cmpx_ne_u16_e32 0xff80, v16
	s_cbranch_execz .LBB2_2428
; %bb.2421:                             ;   in Loop: Header=BB2_1932 Depth=2
	v_and_b32_e32 v17, 0x7c, v16
	v_and_b32_e32 v84, 3, v16
	s_delay_alu instid0(VALU_DEP_2) | instskip(SKIP_1) | instid1(SALU_CYCLE_1)
	v_cmp_ne_u32_e32 vcc_lo, 0x7c, v17
                                        ; implicit-def: $vgpr17
	s_and_saveexec_b32 s43, vcc_lo
	s_xor_b32 s43, exec_lo, s43
	s_cbranch_execz .LBB2_2425
; %bb.2422:                             ;   in Loop: Header=BB2_1932 Depth=2
	v_and_b32_e32 v17, 0xff, v16
	s_mov_b32 s44, exec_lo
	s_delay_alu instid0(VALU_DEP_1) | instskip(NEXT) | instid1(VALU_DEP_1)
	v_bfe_u32 v17, v17, 2, 5
	v_cmpx_eq_u32_e32 0, v17
; %bb.2423:                             ;   in Loop: Header=BB2_1932 Depth=2
	v_clz_i32_u32_e32 v17, v84
	s_delay_alu instid0(VALU_DEP_1) | instskip(SKIP_1) | instid1(VALU_DEP_2)
	v_min_u32_e32 v84, 32, v17
	v_mov_b32_e32 v17, v39
	v_subrev_nc_u32_e32 v86, 29, v84
	s_delay_alu instid0(VALU_DEP_1) | instskip(NEXT) | instid1(VALU_DEP_1)
	v_lshlrev_b64_e32 v[86:87], v86, v[16:17]
	v_dual_sub_nc_u32 v17, 30, v84 :: v_dual_bitop2_b32 v84, 3, v86 bitop3:0x40
; %bb.2424:                             ;   in Loop: Header=BB2_1932 Depth=2
	s_or_b32 exec_lo, exec_lo, s44
	v_bfe_i32 v86, v16, 0, 16
	s_delay_alu instid0(VALU_DEP_1) | instskip(NEXT) | instid1(VALU_DEP_1)
	v_and_b32_e32 v86, 0x80000000, v86
	v_lshl_add_u32 v17, v17, 23, v86
	s_delay_alu instid0(VALU_DEP_1) | instskip(NEXT) | instid1(VALU_DEP_1)
	v_lshl_or_b32 v17, v84, 21, v17
                                        ; implicit-def: $vgpr84
	v_add_nc_u32_e32 v17, 0x38000000, v17
.LBB2_2425:                             ;   in Loop: Header=BB2_1932 Depth=2
	s_and_not1_saveexec_b32 s43, s43
; %bb.2426:                             ;   in Loop: Header=BB2_1932 Depth=2
	v_cmp_lt_i16_e32 vcc_lo, -1, v16
	v_cndmask_b32_e32 v17, 0xff800000, v62, vcc_lo
	v_cmp_eq_u32_e32 vcc_lo, 0, v84
	s_delay_alu instid0(VALU_DEP_2)
	v_cndmask_b32_e32 v17, 0x7f800001, v17, vcc_lo
; %bb.2427:                             ;   in Loop: Header=BB2_1932 Depth=2
	s_or_b32 exec_lo, exec_lo, s43
.LBB2_2428:                             ;   in Loop: Header=BB2_1932 Depth=2
	s_delay_alu instid0(SALU_CYCLE_1)
	s_or_b32 exec_lo, exec_lo, s42
.LBB2_2429:                             ;   in Loop: Header=BB2_1932 Depth=2
	s_delay_alu instid0(SALU_CYCLE_1) | instskip(NEXT) | instid1(VALU_DEP_1)
	s_or_b32 exec_lo, exec_lo, s15
	v_dual_max_num_f32 v17, v17, v17 :: v_dual_max_num_f32 v83, v83, v83
	s_mov_b32 s15, 0
	s_delay_alu instid0(VALU_DEP_1)
	v_max_num_f32_e32 v83, v83, v17
.LBB2_2430:                             ;   in Loop: Header=BB2_1932 Depth=2
	s_and_b32 vcc_lo, exec_lo, s15
	s_cbranch_vccz .LBB2_2452
; %bb.2431:                             ;   in Loop: Header=BB2_1932 Depth=2
	v_dual_mov_b32 v17, 0 :: v_dual_mov_b32 v83, 0
	s_and_saveexec_b32 s15, s10
	s_cbranch_execz .LBB2_2441
; %bb.2432:                             ;   in Loop: Header=BB2_1932 Depth=2
	v_bfrev_b32_e32 v83, 1
	s_mov_b32 s10, exec_lo
	v_cmpx_ne_u16_e32 0xff80, v82
	s_cbranch_execz .LBB2_2440
; %bb.2433:                             ;   in Loop: Header=BB2_1932 Depth=2
	v_and_b32_e32 v83, 0x7c, v38
	v_and_b32_e32 v84, 3, v38
	s_delay_alu instid0(VALU_DEP_2) | instskip(SKIP_1) | instid1(SALU_CYCLE_1)
	v_cmp_ne_u32_e32 vcc_lo, 0x7c, v83
                                        ; implicit-def: $vgpr83
	s_and_saveexec_b32 s42, vcc_lo
	s_xor_b32 s42, exec_lo, s42
	s_cbranch_execz .LBB2_2437
; %bb.2434:                             ;   in Loop: Header=BB2_1932 Depth=2
	v_bfe_u32 v38, v38, 2, 5
	s_mov_b32 s43, exec_lo
	s_delay_alu instid0(VALU_DEP_1)
	v_cmpx_eq_u32_e32 0, v38
	s_cbranch_execz .LBB2_2436
; %bb.2435:                             ;   in Loop: Header=BB2_1932 Depth=2
	v_clz_i32_u32_e32 v38, v84
	s_delay_alu instid0(VALU_DEP_1) | instskip(SKIP_1) | instid1(VALU_DEP_2)
	v_min_u32_e32 v38, 32, v38
	v_mov_b32_e32 v83, v39
	v_subrev_nc_u32_e32 v84, 29, v38
	v_sub_nc_u32_e32 v38, 30, v38
	s_delay_alu instid0(VALU_DEP_2) | instskip(NEXT) | instid1(VALU_DEP_1)
	v_lshlrev_b64_e32 v[86:87], v84, v[82:83]
	v_and_b32_e32 v84, 3, v86
.LBB2_2436:                             ;   in Loop: Header=BB2_1932 Depth=2
	s_or_b32 exec_lo, exec_lo, s43
	v_bfe_i32 v82, v82, 0, 16
	s_delay_alu instid0(VALU_DEP_1) | instskip(NEXT) | instid1(VALU_DEP_1)
	v_and_b32_e32 v82, 0x80000000, v82
	v_lshl_add_u32 v38, v38, 23, v82
                                        ; implicit-def: $vgpr82
	s_delay_alu instid0(VALU_DEP_1) | instskip(NEXT) | instid1(VALU_DEP_1)
	v_lshl_or_b32 v38, v84, 21, v38
                                        ; implicit-def: $vgpr84
	v_add_nc_u32_e32 v83, 0x38000000, v38
.LBB2_2437:                             ;   in Loop: Header=BB2_1932 Depth=2
	s_and_not1_saveexec_b32 s42, s42
; %bb.2438:                             ;   in Loop: Header=BB2_1932 Depth=2
	v_cmp_lt_i16_e32 vcc_lo, -1, v82
	v_cndmask_b32_e32 v38, 0xff800000, v62, vcc_lo
	v_cmp_eq_u32_e32 vcc_lo, 0, v84
	s_delay_alu instid0(VALU_DEP_2)
	v_cndmask_b32_e32 v83, 0x7f800001, v38, vcc_lo
; %bb.2439:                             ;   in Loop: Header=BB2_1932 Depth=2
	s_or_b32 exec_lo, exec_lo, s42
.LBB2_2440:                             ;   in Loop: Header=BB2_1932 Depth=2
	s_delay_alu instid0(SALU_CYCLE_1)
	s_or_b32 exec_lo, exec_lo, s10
.LBB2_2441:                             ;   in Loop: Header=BB2_1932 Depth=2
	s_delay_alu instid0(SALU_CYCLE_1) | instskip(NEXT) | instid1(SALU_CYCLE_1)
	s_or_b32 exec_lo, exec_lo, s15
	s_mov_b32 s10, exec_lo
	s_wait_loadcnt_dscnt 0x0
	v_cmpx_ne_u16_e32 0, v16
	s_cbranch_execz .LBB2_2451
; %bb.2442:                             ;   in Loop: Header=BB2_1932 Depth=2
	v_bfrev_b32_e32 v17, 1
	s_mov_b32 s15, exec_lo
	v_cmpx_ne_u16_e32 0xff80, v16
	s_cbranch_execz .LBB2_2450
; %bb.2443:                             ;   in Loop: Header=BB2_1932 Depth=2
	v_and_b32_e32 v17, 0x7c, v16
	v_and_b32_e32 v38, 3, v16
	s_delay_alu instid0(VALU_DEP_2) | instskip(SKIP_1) | instid1(SALU_CYCLE_1)
	v_cmp_ne_u32_e32 vcc_lo, 0x7c, v17
                                        ; implicit-def: $vgpr17
	s_and_saveexec_b32 s42, vcc_lo
	s_xor_b32 s42, exec_lo, s42
	s_cbranch_execz .LBB2_2447
; %bb.2444:                             ;   in Loop: Header=BB2_1932 Depth=2
	v_and_b32_e32 v17, 0xff, v16
	s_mov_b32 s43, exec_lo
	s_delay_alu instid0(VALU_DEP_1) | instskip(NEXT) | instid1(VALU_DEP_1)
	v_bfe_u32 v17, v17, 2, 5
	v_cmpx_eq_u32_e32 0, v17
	s_cbranch_execz .LBB2_2446
; %bb.2445:                             ;   in Loop: Header=BB2_1932 Depth=2
	v_clz_i32_u32_e32 v17, v38
	s_delay_alu instid0(VALU_DEP_1) | instskip(SKIP_1) | instid1(VALU_DEP_2)
	v_min_u32_e32 v38, 32, v17
	v_mov_b32_e32 v17, v39
	v_subrev_nc_u32_e32 v82, 29, v38
	s_delay_alu instid0(VALU_DEP_1) | instskip(SKIP_1) | instid1(VALU_DEP_2)
	v_lshlrev_b64_e32 v[86:87], v82, v[16:17]
	v_sub_nc_u32_e32 v17, 30, v38
	v_and_b32_e32 v38, 3, v86
.LBB2_2446:                             ;   in Loop: Header=BB2_1932 Depth=2
	s_or_b32 exec_lo, exec_lo, s43
	v_bfe_i32 v16, v16, 0, 16
	s_delay_alu instid0(VALU_DEP_1) | instskip(NEXT) | instid1(VALU_DEP_1)
	v_and_b32_e32 v16, 0x80000000, v16
	v_lshl_add_u32 v16, v17, 23, v16
	s_delay_alu instid0(VALU_DEP_1) | instskip(NEXT) | instid1(VALU_DEP_1)
	v_lshl_or_b32 v16, v38, 21, v16
                                        ; implicit-def: $vgpr38
	v_add_nc_u32_e32 v17, 0x38000000, v16
                                        ; implicit-def: $vgpr16
.LBB2_2447:                             ;   in Loop: Header=BB2_1932 Depth=2
	s_and_not1_saveexec_b32 s42, s42
; %bb.2448:                             ;   in Loop: Header=BB2_1932 Depth=2
	v_cmp_lt_i16_e32 vcc_lo, -1, v16
	v_cndmask_b32_e32 v16, 0xff800000, v62, vcc_lo
	v_cmp_eq_u32_e32 vcc_lo, 0, v38
	s_delay_alu instid0(VALU_DEP_2)
	v_cndmask_b32_e32 v17, 0x7f800001, v16, vcc_lo
; %bb.2449:                             ;   in Loop: Header=BB2_1932 Depth=2
	s_or_b32 exec_lo, exec_lo, s42
.LBB2_2450:                             ;   in Loop: Header=BB2_1932 Depth=2
	s_delay_alu instid0(SALU_CYCLE_1)
	s_or_b32 exec_lo, exec_lo, s15
.LBB2_2451:                             ;   in Loop: Header=BB2_1932 Depth=2
	s_delay_alu instid0(SALU_CYCLE_1) | instskip(NEXT) | instid1(VALU_DEP_1)
	s_or_b32 exec_lo, exec_lo, s10
	v_dual_max_num_f32 v16, v17, v17 :: v_dual_max_num_f32 v17, v83, v83
	s_delay_alu instid0(VALU_DEP_1)
	v_min_num_f32_e32 v83, v17, v16
.LBB2_2452:                             ;   in Loop: Header=BB2_1932 Depth=2
	s_wait_loadcnt_dscnt 0x0
	s_delay_alu instid0(VALU_DEP_1) | instskip(SKIP_2) | instid1(VALU_DEP_2)
	v_and_b32_e32 v16, 0x7f800000, v83
	v_mov_b32_e32 v17, v39
	v_and_b32_e32 v38, 0x7fffff, v83
	v_cmp_ne_u64_e32 vcc_lo, 0x7f800000, v[16:17]
                                        ; implicit-def: $vgpr17
	s_and_saveexec_b32 s10, vcc_lo
	s_delay_alu instid0(SALU_CYCLE_1)
	s_xor_b32 s15, exec_lo, s10
	s_cbranch_execz .LBB2_2470
; %bb.2453:                             ;   in Loop: Header=BB2_1932 Depth=2
	v_and_b32_e32 v16, 0x7fffffff, v83
	v_dual_mov_b32 v17, v39 :: v_dual_lshrrev_b32 v82, 24, v83
	s_delay_alu instid0(VALU_DEP_1) | instskip(NEXT) | instid1(VALU_DEP_2)
	v_cmp_gt_u64_e32 vcc_lo, 0x47600001, v[16:17]
	v_and_b32_e32 v84, 0x80, v82
                                        ; implicit-def: $vgpr17
	s_and_saveexec_b32 s10, vcc_lo
	s_delay_alu instid0(SALU_CYCLE_1)
	s_xor_b32 s42, exec_lo, s10
	s_cbranch_execz .LBB2_2467
; %bb.2454:                             ;   in Loop: Header=BB2_1932 Depth=2
	v_mov_b32_e32 v17, 0
	s_mov_b32 s43, exec_lo
	v_cmpx_ne_u32_e32 0, v83
	s_cbranch_execz .LBB2_2466
; %bb.2455:                             ;   in Loop: Header=BB2_1932 Depth=2
	v_bfe_u32 v86, v83, 23, 8
	v_or_b32_e32 v82, 0x800000, v38
	s_delay_alu instid0(VALU_DEP_2) | instskip(SKIP_1) | instid1(VALU_DEP_2)
	v_sub_nc_u32_e32 v16, 0x71, v86
	v_cmp_gt_u32_e32 vcc_lo, 0x72, v86
	v_cndmask_b32_e32 v16, 0, v16, vcc_lo
	v_cmp_eq_u32_e32 vcc_lo, 0, v86
	s_delay_alu instid0(VALU_DEP_2) | instskip(NEXT) | instid1(VALU_DEP_1)
	v_cndmask_b32_e64 v87, v16, 0x70, vcc_lo
	v_dual_cndmask_b32 v38, v82, v38, vcc_lo :: v_dual_add_nc_u32 v16, 21, v87
	v_add_nc_u32_e32 v83, 20, v87
	s_delay_alu instid0(VALU_DEP_2) | instskip(NEXT) | instid1(VALU_DEP_2)
	v_lshlrev_b64_e64 v[16:17], v16, -1
	v_lshlrev_b64_e64 v[82:83], v83, 1
	s_delay_alu instid0(VALU_DEP_2) | instskip(NEXT) | instid1(VALU_DEP_3)
	v_bfi_b32 v99, v17, 0, 0
	v_bfi_b32 v98, v16, 0, v38
	v_lshrrev_b64 v[16:17], v87, v[38:39]
	s_delay_alu instid0(VALU_DEP_2) | instskip(NEXT) | instid1(VALU_DEP_2)
	v_cmp_eq_u64_e64 s10, v[98:99], v[82:83]
	v_mov_b64_e32 v[82:83], v[16:17]
	s_and_saveexec_b32 s44, s10
; %bb.2456:                             ;   in Loop: Header=BB2_1932 Depth=2
	v_bfe_u32 v38, v16, 21, 1
	s_delay_alu instid0(VALU_DEP_1) | instskip(NEXT) | instid1(VALU_DEP_1)
	v_add_nc_u64_e32 v[82:83], v[16:17], v[38:39]
	v_add_nc_u64_e32 v[82:83], -1, v[82:83]
; %bb.2457:                             ;   in Loop: Header=BB2_1932 Depth=2
	s_or_b32 exec_lo, exec_lo, s44
	v_add_nc_u32_e32 v17, 0xffffff81, v86
	v_lshrrev_b32_e32 v38, 23, v16
	s_mov_b32 s10, exec_lo
	s_delay_alu instid0(VALU_DEP_2) | instskip(NEXT) | instid1(VALU_DEP_1)
	v_cndmask_b32_e64 v17, v17, 0xffffff82, vcc_lo
	v_add3_u32 v83, v87, v17, v38
	v_and_b32_e32 v17, 0x1fffff, v82
                                        ; implicit-def: $vgpr82
	s_delay_alu instid0(VALU_DEP_1) | instskip(NEXT) | instid1(VALU_DEP_1)
	v_dual_add_nc_u32 v86, 14, v83 :: v_dual_add_nc_u32 v38, v17, v16
                                        ; implicit-def: $vgpr16_vgpr17
	v_cmpx_ne_u32_e32 0, v86
	s_xor_b32 s10, exec_lo, s10
; %bb.2458:                             ;   in Loop: Header=BB2_1932 Depth=2
	s_delay_alu instid0(VALU_DEP_2) | instskip(SKIP_1) | instid1(VALU_DEP_1)
	v_cmp_lt_u64_e32 vcc_lo, 0xffffff, v[38:39]
	v_add_nc_u32_e32 v16, 15, v83
	v_cndmask_b32_e32 v82, v86, v16, vcc_lo
	v_cndmask_b32_e64 v16, 0, 1, vcc_lo
	s_delay_alu instid0(VALU_DEP_1)
	v_lshrrev_b64 v[16:17], v16, v[38:39]
; %bb.2459:                             ;   in Loop: Header=BB2_1932 Depth=2
	s_and_not1_saveexec_b32 s10, s10
; %bb.2460:                             ;   in Loop: Header=BB2_1932 Depth=2
	v_mov_b64_e32 v[16:17], v[38:39]
	v_bfe_u32 v82, v38, 23, 1
; %bb.2461:                             ;   in Loop: Header=BB2_1932 Depth=2
	s_or_b32 exec_lo, exec_lo, s10
	s_delay_alu instid0(VALU_DEP_2) | instskip(NEXT) | instid1(VALU_DEP_2)
	v_lshrrev_b64 v[16:17], 21, v[16:17]
	v_cmp_gt_i32_e32 vcc_lo, 32, v82
	v_cmp_ne_u32_e64 s10, 0, v82
	s_delay_alu instid0(VALU_DEP_3) | instskip(NEXT) | instid1(VALU_DEP_1)
	v_dual_cndmask_b32 v17, 0, v17 :: v_dual_cndmask_b32 v16, 3, v16
	v_cmp_ne_u64_e32 vcc_lo, 0, v[16:17]
                                        ; implicit-def: $vgpr17
	s_or_b32 s10, s10, vcc_lo
	s_delay_alu instid0(SALU_CYCLE_1) | instskip(NEXT) | instid1(SALU_CYCLE_1)
	s_and_saveexec_b32 s44, s10
	s_xor_b32 s10, exec_lo, s44
; %bb.2462:                             ;   in Loop: Header=BB2_1932 Depth=2
	v_min_i32_e32 v17, 31, v82
	s_delay_alu instid0(VALU_DEP_1) | instskip(NEXT) | instid1(VALU_DEP_1)
	v_lshl_or_b32 v17, v17, 2, v84
                                        ; implicit-def: $vgpr84
	v_and_or_b32 v17, v16, 3, v17
; %bb.2463:                             ;   in Loop: Header=BB2_1932 Depth=2
	s_and_not1_saveexec_b32 s10, s10
; %bb.2464:                             ;   in Loop: Header=BB2_1932 Depth=2
	v_mov_b32_e32 v17, v84
; %bb.2465:                             ;   in Loop: Header=BB2_1932 Depth=2
	s_or_b32 exec_lo, exec_lo, s10
.LBB2_2466:                             ;   in Loop: Header=BB2_1932 Depth=2
	s_delay_alu instid0(SALU_CYCLE_1)
	s_or_b32 exec_lo, exec_lo, s43
                                        ; implicit-def: $vgpr84
.LBB2_2467:                             ;   in Loop: Header=BB2_1932 Depth=2
	s_and_not1_saveexec_b32 s10, s42
; %bb.2468:                             ;   in Loop: Header=BB2_1932 Depth=2
	v_or_b32_e32 v17, 0x7b, v84
; %bb.2469:                             ;   in Loop: Header=BB2_1932 Depth=2
	s_or_b32 exec_lo, exec_lo, s10
                                        ; implicit-def: $vgpr83
.LBB2_2470:                             ;   in Loop: Header=BB2_1932 Depth=2
	s_and_not1_saveexec_b32 s10, s15
	s_cbranch_execz .LBB2_1931
; %bb.2471:                             ;   in Loop: Header=BB2_1932 Depth=2
	s_mov_b32 s15, exec_lo
                                        ; implicit-def: $vgpr17
	v_cmpx_ne_u64_e32 0, v[38:39]
	s_xor_b32 s15, exec_lo, s15
; %bb.2472:                             ;   in Loop: Header=BB2_1932 Depth=2
	v_lshrrev_b32_e32 v16, 24, v83
                                        ; implicit-def: $vgpr83
	s_delay_alu instid0(VALU_DEP_1)
	v_or_b32_e32 v17, 0x7f, v16
; %bb.2473:                             ;   in Loop: Header=BB2_1932 Depth=2
	s_and_not1_saveexec_b32 s15, s15
	s_cbranch_execz .LBB2_1930
; %bb.2474:                             ;   in Loop: Header=BB2_1932 Depth=2
	v_cmp_lt_i32_e32 vcc_lo, -1, v83
	v_cndmask_b32_e64 v17, -4, 0x7c, vcc_lo
	s_branch .LBB2_1930
.LBB2_2475:                             ;   in Loop: Header=BB2_49 Depth=1
	s_or_b32 exec_lo, exec_lo, s12
.LBB2_2476:                             ;   in Loop: Header=BB2_49 Depth=1
	s_delay_alu instid0(SALU_CYCLE_1) | instskip(SKIP_1) | instid1(VALU_DEP_1)
	s_or_b32 exec_lo, exec_lo, s11
	v_and_b32_e32 v10, 0x3fffff00, v72
	v_cmp_ne_u32_e32 vcc_lo, v72, v10
	s_and_b32 exec_lo, exec_lo, vcc_lo
	s_cbranch_execz .LBB2_2548
; %bb.2477:                             ;   in Loop: Header=BB2_49 Depth=1
	v_dual_lshlrev_b32 v11, 5, v73 :: v_dual_lshlrev_b32 v12, 5, v74
	s_delay_alu instid0(VALU_DEP_1) | instskip(NEXT) | instid1(VALU_DEP_1)
	v_sub_nc_u32_e32 v11, v30, v11
	v_sub_nc_u32_e32 v11, v11, v12
	v_and_b32_e32 v12, 0xff, v72
	s_delay_alu instid0(VALU_DEP_1) | instskip(NEXT) | instid1(VALU_DEP_1)
	v_sub_nc_u32_e32 v30, v12, v11
	v_cmp_lt_i32_e32 vcc_lo, 0, v30
	s_and_b32 exec_lo, exec_lo, vcc_lo
	s_cbranch_execz .LBB2_2548
; %bb.2478:                             ;   in Loop: Header=BB2_49 Depth=1
	s_trap 2
	ds_load_b128 v[12:15], v0
	ds_load_b64 v[16:17], v0
	v_add3_u32 v82, v10, v81, v11
	s_bitcmp1_b32 s41, 0
	s_mov_b32 s14, 0
	s_cselect_b32 s15, -1, 0
	s_delay_alu instid0(VALU_DEP_1) | instskip(SKIP_1) | instid1(VALU_DEP_1)
	v_ashrrev_i32_e32 v83, 31, v82
	s_wait_dscnt 0x1
	v_add_nc_u64_e32 v[10:11], v[12:13], v[82:83]
	v_add_nc_u64_e32 v[12:13], v[14:15], v[82:83]
	s_wait_dscnt 0x0
	v_add_nc_u64_e32 v[14:15], v[16:17], v[82:83]
	s_branch .LBB2_2481
.LBB2_2479:                             ;   in Loop: Header=BB2_2481 Depth=2
	s_or_b32 exec_lo, exec_lo, s11
.LBB2_2480:                             ;   in Loop: Header=BB2_2481 Depth=2
	s_delay_alu instid0(SALU_CYCLE_1)
	s_or_b32 exec_lo, exec_lo, s10
	v_sub_nc_u32_e32 v30, v30, v64
	flat_store_b8 v[14:15], v17 th:TH_STORE_NT
	v_add_nc_u64_e32 v[10:11], v[10:11], v[64:65]
	v_add_nc_u64_e32 v[12:13], v[12:13], v[64:65]
	s_wait_xcnt 0x0
	v_add_nc_u64_e32 v[14:15], v[14:15], v[64:65]
	v_cmp_gt_i32_e32 vcc_lo, 1, v30
	s_or_b32 s14, vcc_lo, s14
	s_delay_alu instid0(SALU_CYCLE_1)
	s_and_not1_b32 exec_lo, exec_lo, s14
	s_cbranch_execz .LBB2_2548
.LBB2_2481:                             ;   Parent Loop BB2_49 Depth=1
                                        ; =>  This Inner Loop Header: Depth=2
	flat_load_u8 v17, v[10:11] th:TH_LOAD_NT
	flat_load_u8 v81, v[12:13] th:TH_LOAD_NT
	s_mov_b32 s41, -1
                                        ; implicit-def: $vgpr85
	s_wait_loadcnt_dscnt 0x101
	v_bfe_i32 v16, v17, 0, 8
	s_wait_loadcnt_dscnt 0x0
	v_bfe_i32 v82, v81, 0, 8
	v_lshlrev_b32_e32 v83, 24, v81
	v_cmp_ne_u16_e64 s11, 0, v81
	v_and_b32_e32 v38, 0xffff, v81
	v_cmp_ne_u16_e64 s10, 0x80, v81
	v_cmp_lt_i16_e32 vcc_lo, -1, v82
	v_and_b32_e32 v84, 0xffff, v17
	v_cmp_ne_u16_e64 s12, 0, v17
	v_and_or_b32 v81, v83, s28, 0x38000000
	v_cndmask_b32_e32 v83, 0xff800000, v62, vcc_lo
	s_and_b32 vcc_lo, exec_lo, s15
	s_cbranch_vccz .LBB2_2503
; %bb.2482:                             ;   in Loop: Header=BB2_2481 Depth=2
	v_dual_mov_b32 v85, 0 :: v_dual_mov_b32 v17, 0
	s_wait_xcnt 0x0
	s_and_saveexec_b32 s41, s12
	s_cbranch_execz .LBB2_2492
; %bb.2483:                             ;   in Loop: Header=BB2_2481 Depth=2
	v_bfrev_b32_e32 v17, 1
	s_mov_b32 s42, exec_lo
	v_cmpx_ne_u16_e32 0xff80, v16
	s_cbranch_execz .LBB2_2491
; %bb.2484:                             ;   in Loop: Header=BB2_2481 Depth=2
	v_and_b32_e32 v17, 0x7c, v84
	v_and_b32_e32 v86, 3, v84
	s_delay_alu instid0(VALU_DEP_2) | instskip(SKIP_1) | instid1(SALU_CYCLE_1)
	v_cmp_ne_u32_e32 vcc_lo, 0x7c, v17
                                        ; implicit-def: $vgpr17
	s_and_saveexec_b32 s43, vcc_lo
	s_xor_b32 s43, exec_lo, s43
	s_cbranch_execz .LBB2_2488
; %bb.2485:                             ;   in Loop: Header=BB2_2481 Depth=2
	v_bfe_u32 v17, v84, 2, 5
	s_mov_b32 s44, exec_lo
	s_delay_alu instid0(VALU_DEP_1)
	v_cmpx_eq_u32_e32 0, v17
; %bb.2486:                             ;   in Loop: Header=BB2_2481 Depth=2
	v_clz_i32_u32_e32 v17, v86
	s_delay_alu instid0(VALU_DEP_1) | instskip(SKIP_1) | instid1(VALU_DEP_2)
	v_min_u32_e32 v96, 32, v17
	v_mov_b32_e32 v17, v39
	v_subrev_nc_u32_e32 v86, 29, v96
	s_delay_alu instid0(VALU_DEP_1) | instskip(NEXT) | instid1(VALU_DEP_1)
	v_lshlrev_b64_e32 v[86:87], v86, v[16:17]
	v_dual_sub_nc_u32 v17, 30, v96 :: v_dual_bitop2_b32 v86, 3, v86 bitop3:0x40
; %bb.2487:                             ;   in Loop: Header=BB2_2481 Depth=2
	s_or_b32 exec_lo, exec_lo, s44
	v_bfe_i32 v87, v16, 0, 16
	s_delay_alu instid0(VALU_DEP_1) | instskip(NEXT) | instid1(VALU_DEP_1)
	v_and_b32_e32 v87, 0x80000000, v87
	v_lshl_add_u32 v17, v17, 23, v87
	s_delay_alu instid0(VALU_DEP_1) | instskip(NEXT) | instid1(VALU_DEP_1)
	v_lshl_or_b32 v17, v86, 21, v17
                                        ; implicit-def: $vgpr86
	v_add_nc_u32_e32 v17, 0x38000000, v17
.LBB2_2488:                             ;   in Loop: Header=BB2_2481 Depth=2
	s_and_not1_saveexec_b32 s43, s43
; %bb.2489:                             ;   in Loop: Header=BB2_2481 Depth=2
	v_cmp_lt_i16_e32 vcc_lo, -1, v16
	v_cndmask_b32_e32 v17, 0xff800000, v62, vcc_lo
	v_cmp_eq_u32_e32 vcc_lo, 0, v86
	s_delay_alu instid0(VALU_DEP_2)
	v_cndmask_b32_e32 v17, 0x7f800001, v17, vcc_lo
; %bb.2490:                             ;   in Loop: Header=BB2_2481 Depth=2
	s_or_b32 exec_lo, exec_lo, s43
.LBB2_2491:                             ;   in Loop: Header=BB2_2481 Depth=2
	s_delay_alu instid0(SALU_CYCLE_1)
	s_or_b32 exec_lo, exec_lo, s42
.LBB2_2492:                             ;   in Loop: Header=BB2_2481 Depth=2
	s_delay_alu instid0(SALU_CYCLE_1)
	s_or_b32 exec_lo, exec_lo, s41
	s_and_saveexec_b32 s41, s11
	s_cbranch_execz .LBB2_2502
; %bb.2493:                             ;   in Loop: Header=BB2_2481 Depth=2
	v_bfrev_b32_e32 v85, 1
	s_and_saveexec_b32 s42, s10
	s_cbranch_execz .LBB2_2501
; %bb.2494:                             ;   in Loop: Header=BB2_2481 Depth=2
	v_and_b32_e32 v85, 0x7c, v82
	v_and_b32_e32 v86, 3, v82
	s_delay_alu instid0(VALU_DEP_2) | instskip(SKIP_1) | instid1(SALU_CYCLE_1)
	v_cmp_ne_u32_e32 vcc_lo, 0x7c, v85
                                        ; implicit-def: $vgpr85
	s_and_saveexec_b32 s43, vcc_lo
	s_xor_b32 s43, exec_lo, s43
	s_cbranch_execz .LBB2_2498
; %bb.2495:                             ;   in Loop: Header=BB2_2481 Depth=2
	v_and_b32_e32 v85, 0xff, v82
	s_mov_b32 s44, exec_lo
	s_delay_alu instid0(VALU_DEP_1) | instskip(NEXT) | instid1(VALU_DEP_1)
	v_bfe_u32 v85, v85, 2, 5
	v_cmpx_eq_u32_e32 0, v85
; %bb.2496:                             ;   in Loop: Header=BB2_2481 Depth=2
	v_clz_i32_u32_e32 v85, v86
	s_delay_alu instid0(VALU_DEP_1) | instskip(NEXT) | instid1(VALU_DEP_1)
	v_min_u32_e32 v85, 32, v85
	v_subrev_nc_u32_e32 v86, 29, v85
	s_delay_alu instid0(VALU_DEP_1) | instskip(NEXT) | instid1(VALU_DEP_1)
	v_lshlrev_b64_e32 v[86:87], v86, v[38:39]
	v_dual_sub_nc_u32 v85, 30, v85 :: v_dual_bitop2_b32 v86, 3, v86 bitop3:0x40
; %bb.2497:                             ;   in Loop: Header=BB2_2481 Depth=2
	s_or_b32 exec_lo, exec_lo, s44
	s_delay_alu instid0(VALU_DEP_1) | instskip(NEXT) | instid1(VALU_DEP_1)
	v_lshl_add_u32 v85, v85, 23, v81
	v_lshl_or_b32 v85, v86, 21, v85
                                        ; implicit-def: $vgpr86
.LBB2_2498:                             ;   in Loop: Header=BB2_2481 Depth=2
	s_and_not1_saveexec_b32 s43, s43
; %bb.2499:                             ;   in Loop: Header=BB2_2481 Depth=2
	v_cmp_eq_u32_e32 vcc_lo, 0, v86
	v_cndmask_b32_e32 v85, 0x7f800001, v83, vcc_lo
; %bb.2500:                             ;   in Loop: Header=BB2_2481 Depth=2
	s_or_b32 exec_lo, exec_lo, s43
.LBB2_2501:                             ;   in Loop: Header=BB2_2481 Depth=2
	s_delay_alu instid0(SALU_CYCLE_1)
	s_or_b32 exec_lo, exec_lo, s42
.LBB2_2502:                             ;   in Loop: Header=BB2_2481 Depth=2
	s_delay_alu instid0(SALU_CYCLE_1) | instskip(NEXT) | instid1(VALU_DEP_1)
	s_or_b32 exec_lo, exec_lo, s41
	v_max_num_f32_e32 v85, v85, v85
	v_max_num_f32_e32 v17, v17, v17
	s_mov_b32 s41, 0
	s_delay_alu instid0(VALU_DEP_1)
	v_max_num_f32_e32 v85, v17, v85
.LBB2_2503:                             ;   in Loop: Header=BB2_2481 Depth=2
	s_and_b32 vcc_lo, exec_lo, s41
	s_cbranch_vccz .LBB2_2525
; %bb.2504:                             ;   in Loop: Header=BB2_2481 Depth=2
	v_dual_mov_b32 v85, 0 :: v_dual_mov_b32 v17, 0
	s_wait_xcnt 0x0
	s_and_saveexec_b32 s41, s12
	s_cbranch_execz .LBB2_2514
; %bb.2505:                             ;   in Loop: Header=BB2_2481 Depth=2
	v_bfrev_b32_e32 v17, 1
	s_mov_b32 s12, exec_lo
	v_cmpx_ne_u16_e32 0xff80, v16
	s_cbranch_execz .LBB2_2513
; %bb.2506:                             ;   in Loop: Header=BB2_2481 Depth=2
	v_and_b32_e32 v17, 0x7c, v84
	v_and_b32_e32 v86, 3, v84
	s_delay_alu instid0(VALU_DEP_2) | instskip(SKIP_1) | instid1(SALU_CYCLE_1)
	v_cmp_ne_u32_e32 vcc_lo, 0x7c, v17
                                        ; implicit-def: $vgpr17
	s_and_saveexec_b32 s42, vcc_lo
	s_xor_b32 s42, exec_lo, s42
	s_cbranch_execz .LBB2_2510
; %bb.2507:                             ;   in Loop: Header=BB2_2481 Depth=2
	v_bfe_u32 v17, v84, 2, 5
	s_mov_b32 s43, exec_lo
	s_delay_alu instid0(VALU_DEP_1)
	v_cmpx_eq_u32_e32 0, v17
; %bb.2508:                             ;   in Loop: Header=BB2_2481 Depth=2
	v_clz_i32_u32_e32 v17, v86
	s_delay_alu instid0(VALU_DEP_1) | instskip(SKIP_1) | instid1(VALU_DEP_2)
	v_min_u32_e32 v84, 32, v17
	v_mov_b32_e32 v17, v39
	v_subrev_nc_u32_e32 v86, 29, v84
	s_delay_alu instid0(VALU_DEP_1) | instskip(NEXT) | instid1(VALU_DEP_1)
	v_lshlrev_b64_e32 v[86:87], v86, v[16:17]
	v_dual_sub_nc_u32 v17, 30, v84 :: v_dual_bitop2_b32 v86, 3, v86 bitop3:0x40
; %bb.2509:                             ;   in Loop: Header=BB2_2481 Depth=2
	s_or_b32 exec_lo, exec_lo, s43
	v_bfe_i32 v16, v16, 0, 16
	s_delay_alu instid0(VALU_DEP_1) | instskip(NEXT) | instid1(VALU_DEP_1)
	v_and_b32_e32 v16, 0x80000000, v16
	v_lshl_add_u32 v16, v17, 23, v16
	s_delay_alu instid0(VALU_DEP_1) | instskip(NEXT) | instid1(VALU_DEP_1)
	v_lshl_or_b32 v16, v86, 21, v16
                                        ; implicit-def: $vgpr86
	v_add_nc_u32_e32 v17, 0x38000000, v16
                                        ; implicit-def: $vgpr16
.LBB2_2510:                             ;   in Loop: Header=BB2_2481 Depth=2
	s_and_not1_saveexec_b32 s42, s42
; %bb.2511:                             ;   in Loop: Header=BB2_2481 Depth=2
	v_cmp_lt_i16_e32 vcc_lo, -1, v16
	v_cndmask_b32_e32 v16, 0xff800000, v62, vcc_lo
	v_cmp_eq_u32_e32 vcc_lo, 0, v86
	s_delay_alu instid0(VALU_DEP_2)
	v_cndmask_b32_e32 v17, 0x7f800001, v16, vcc_lo
; %bb.2512:                             ;   in Loop: Header=BB2_2481 Depth=2
	s_or_b32 exec_lo, exec_lo, s42
.LBB2_2513:                             ;   in Loop: Header=BB2_2481 Depth=2
	s_delay_alu instid0(SALU_CYCLE_1)
	s_or_b32 exec_lo, exec_lo, s12
.LBB2_2514:                             ;   in Loop: Header=BB2_2481 Depth=2
	s_delay_alu instid0(SALU_CYCLE_1)
	s_or_b32 exec_lo, exec_lo, s41
	s_and_saveexec_b32 s12, s11
	s_cbranch_execz .LBB2_2524
; %bb.2515:                             ;   in Loop: Header=BB2_2481 Depth=2
	v_bfrev_b32_e32 v85, 1
	s_and_saveexec_b32 s11, s10
	s_cbranch_execz .LBB2_2523
; %bb.2516:                             ;   in Loop: Header=BB2_2481 Depth=2
	v_and_b32_e32 v84, 0x7c, v82
	v_and_b32_e32 v16, 3, v82
	s_mov_b32 s10, exec_lo
                                        ; implicit-def: $vgpr85
	s_delay_alu instid0(VALU_DEP_2)
	v_cmpx_ne_u32_e32 0x7c, v84
	s_xor_b32 s10, exec_lo, s10
	s_cbranch_execz .LBB2_2520
; %bb.2517:                             ;   in Loop: Header=BB2_2481 Depth=2
	v_and_b32_e32 v82, 0xff, v82
	s_mov_b32 s41, exec_lo
	s_delay_alu instid0(VALU_DEP_1) | instskip(NEXT) | instid1(VALU_DEP_1)
	v_bfe_u32 v82, v82, 2, 5
	v_cmpx_eq_u32_e32 0, v82
; %bb.2518:                             ;   in Loop: Header=BB2_2481 Depth=2
	v_clz_i32_u32_e32 v16, v16
	s_delay_alu instid0(VALU_DEP_1) | instskip(NEXT) | instid1(VALU_DEP_1)
	v_min_u32_e32 v16, 32, v16
	v_subrev_nc_u32_e32 v82, 29, v16
	s_delay_alu instid0(VALU_DEP_1) | instskip(SKIP_1) | instid1(VALU_DEP_2)
	v_lshlrev_b64_e32 v[84:85], v82, v[38:39]
	v_sub_nc_u32_e32 v82, 30, v16
	v_and_b32_e32 v16, 3, v84
; %bb.2519:                             ;   in Loop: Header=BB2_2481 Depth=2
	s_or_b32 exec_lo, exec_lo, s41
	s_delay_alu instid0(VALU_DEP_2) | instskip(NEXT) | instid1(VALU_DEP_1)
	v_lshl_add_u32 v38, v82, 23, v81
                                        ; implicit-def: $vgpr83
	v_lshl_or_b32 v85, v16, 21, v38
                                        ; implicit-def: $vgpr16
.LBB2_2520:                             ;   in Loop: Header=BB2_2481 Depth=2
	s_and_not1_saveexec_b32 s10, s10
; %bb.2521:                             ;   in Loop: Header=BB2_2481 Depth=2
	v_cmp_eq_u32_e32 vcc_lo, 0, v16
	v_cndmask_b32_e32 v85, 0x7f800001, v83, vcc_lo
; %bb.2522:                             ;   in Loop: Header=BB2_2481 Depth=2
	s_or_b32 exec_lo, exec_lo, s10
.LBB2_2523:                             ;   in Loop: Header=BB2_2481 Depth=2
	s_delay_alu instid0(SALU_CYCLE_1)
	s_or_b32 exec_lo, exec_lo, s11
.LBB2_2524:                             ;   in Loop: Header=BB2_2481 Depth=2
	s_delay_alu instid0(SALU_CYCLE_1) | instskip(NEXT) | instid1(VALU_DEP_1)
	s_or_b32 exec_lo, exec_lo, s12
	v_max_num_f32_e32 v16, v85, v85
	v_max_num_f32_e32 v17, v17, v17
	s_delay_alu instid0(VALU_DEP_1)
	v_min_num_f32_e32 v85, v17, v16
.LBB2_2525:                             ;   in Loop: Header=BB2_2481 Depth=2
	s_delay_alu instid0(VALU_DEP_1) | instskip(SKIP_2) | instid1(VALU_DEP_2)
	v_and_b32_e32 v16, 0x7f800000, v85
	v_mov_b32_e32 v17, v39
	v_and_b32_e32 v38, 0x7fffff, v85
	v_cmp_ne_u64_e32 vcc_lo, 0x7f800000, v[16:17]
                                        ; implicit-def: $vgpr17
	s_wait_xcnt 0x0
	s_and_saveexec_b32 s10, vcc_lo
	s_delay_alu instid0(SALU_CYCLE_1)
	s_xor_b32 s11, exec_lo, s10
	s_cbranch_execz .LBB2_2543
; %bb.2526:                             ;   in Loop: Header=BB2_2481 Depth=2
	v_and_b32_e32 v16, 0x7fffffff, v85
	v_dual_mov_b32 v17, v39 :: v_dual_lshrrev_b32 v81, 24, v85
	s_delay_alu instid0(VALU_DEP_1) | instskip(NEXT) | instid1(VALU_DEP_2)
	v_cmp_gt_u64_e32 vcc_lo, 0x47600001, v[16:17]
	v_and_b32_e32 v81, 0x80, v81
                                        ; implicit-def: $vgpr17
	s_and_saveexec_b32 s10, vcc_lo
	s_delay_alu instid0(SALU_CYCLE_1)
	s_xor_b32 s12, exec_lo, s10
	s_cbranch_execz .LBB2_2540
; %bb.2527:                             ;   in Loop: Header=BB2_2481 Depth=2
	v_mov_b32_e32 v17, 0
	s_mov_b32 s41, exec_lo
	v_cmpx_ne_u32_e32 0, v85
	s_cbranch_execz .LBB2_2539
; %bb.2528:                             ;   in Loop: Header=BB2_2481 Depth=2
	v_bfe_u32 v84, v85, 23, 8
	v_or_b32_e32 v82, 0x800000, v38
	s_delay_alu instid0(VALU_DEP_2) | instskip(SKIP_1) | instid1(VALU_DEP_2)
	v_sub_nc_u32_e32 v16, 0x71, v84
	v_cmp_gt_u32_e32 vcc_lo, 0x72, v84
	v_cndmask_b32_e32 v16, 0, v16, vcc_lo
	v_cmp_eq_u32_e32 vcc_lo, 0, v84
	s_delay_alu instid0(VALU_DEP_2) | instskip(NEXT) | instid1(VALU_DEP_1)
	v_cndmask_b32_e64 v85, v16, 0x70, vcc_lo
	v_dual_cndmask_b32 v38, v82, v38, vcc_lo :: v_dual_add_nc_u32 v16, 21, v85
	v_add_nc_u32_e32 v83, 20, v85
	s_delay_alu instid0(VALU_DEP_2) | instskip(NEXT) | instid1(VALU_DEP_2)
	v_lshlrev_b64_e64 v[16:17], v16, -1
	v_lshlrev_b64_e64 v[82:83], v83, 1
	s_delay_alu instid0(VALU_DEP_2) | instskip(NEXT) | instid1(VALU_DEP_3)
	v_bfi_b32 v87, v17, 0, 0
	v_bfi_b32 v86, v16, 0, v38
	v_lshrrev_b64 v[16:17], v85, v[38:39]
	s_delay_alu instid0(VALU_DEP_2) | instskip(NEXT) | instid1(VALU_DEP_2)
	v_cmp_eq_u64_e64 s10, v[86:87], v[82:83]
	v_mov_b64_e32 v[82:83], v[16:17]
	s_and_saveexec_b32 s42, s10
; %bb.2529:                             ;   in Loop: Header=BB2_2481 Depth=2
	v_bfe_u32 v38, v16, 21, 1
	s_delay_alu instid0(VALU_DEP_1) | instskip(NEXT) | instid1(VALU_DEP_1)
	v_add_nc_u64_e32 v[82:83], v[16:17], v[38:39]
	v_add_nc_u64_e32 v[82:83], -1, v[82:83]
; %bb.2530:                             ;   in Loop: Header=BB2_2481 Depth=2
	s_or_b32 exec_lo, exec_lo, s42
	v_add_nc_u32_e32 v17, 0xffffff81, v84
	v_lshrrev_b32_e32 v38, 23, v16
	s_mov_b32 s10, exec_lo
	s_delay_alu instid0(VALU_DEP_2) | instskip(NEXT) | instid1(VALU_DEP_1)
	v_cndmask_b32_e64 v17, v17, 0xffffff82, vcc_lo
	v_add3_u32 v83, v85, v17, v38
	v_and_b32_e32 v17, 0x1fffff, v82
                                        ; implicit-def: $vgpr82
	s_delay_alu instid0(VALU_DEP_1) | instskip(NEXT) | instid1(VALU_DEP_1)
	v_dual_add_nc_u32 v84, 14, v83 :: v_dual_add_nc_u32 v38, v17, v16
                                        ; implicit-def: $vgpr16_vgpr17
	v_cmpx_ne_u32_e32 0, v84
	s_xor_b32 s10, exec_lo, s10
; %bb.2531:                             ;   in Loop: Header=BB2_2481 Depth=2
	s_delay_alu instid0(VALU_DEP_2) | instskip(SKIP_1) | instid1(VALU_DEP_1)
	v_cmp_lt_u64_e32 vcc_lo, 0xffffff, v[38:39]
	v_add_nc_u32_e32 v16, 15, v83
	v_cndmask_b32_e32 v82, v84, v16, vcc_lo
	v_cndmask_b32_e64 v16, 0, 1, vcc_lo
	s_delay_alu instid0(VALU_DEP_1)
	v_lshrrev_b64 v[16:17], v16, v[38:39]
; %bb.2532:                             ;   in Loop: Header=BB2_2481 Depth=2
	s_and_not1_saveexec_b32 s10, s10
; %bb.2533:                             ;   in Loop: Header=BB2_2481 Depth=2
	v_mov_b64_e32 v[16:17], v[38:39]
	v_bfe_u32 v82, v38, 23, 1
; %bb.2534:                             ;   in Loop: Header=BB2_2481 Depth=2
	s_or_b32 exec_lo, exec_lo, s10
	s_delay_alu instid0(VALU_DEP_2) | instskip(NEXT) | instid1(VALU_DEP_2)
	v_lshrrev_b64 v[16:17], 21, v[16:17]
	v_cmp_gt_i32_e32 vcc_lo, 32, v82
	v_cmp_ne_u32_e64 s10, 0, v82
	s_delay_alu instid0(VALU_DEP_3) | instskip(NEXT) | instid1(VALU_DEP_1)
	v_dual_cndmask_b32 v17, 0, v17 :: v_dual_cndmask_b32 v16, 3, v16
	v_cmp_ne_u64_e32 vcc_lo, 0, v[16:17]
                                        ; implicit-def: $vgpr17
	s_or_b32 s10, s10, vcc_lo
	s_delay_alu instid0(SALU_CYCLE_1) | instskip(NEXT) | instid1(SALU_CYCLE_1)
	s_and_saveexec_b32 s42, s10
	s_xor_b32 s10, exec_lo, s42
; %bb.2535:                             ;   in Loop: Header=BB2_2481 Depth=2
	v_min_i32_e32 v17, 31, v82
	s_delay_alu instid0(VALU_DEP_1) | instskip(NEXT) | instid1(VALU_DEP_1)
	v_lshl_or_b32 v17, v17, 2, v81
                                        ; implicit-def: $vgpr81
	v_and_or_b32 v17, v16, 3, v17
; %bb.2536:                             ;   in Loop: Header=BB2_2481 Depth=2
	s_and_not1_saveexec_b32 s10, s10
; %bb.2537:                             ;   in Loop: Header=BB2_2481 Depth=2
	v_mov_b32_e32 v17, v81
; %bb.2538:                             ;   in Loop: Header=BB2_2481 Depth=2
	s_or_b32 exec_lo, exec_lo, s10
.LBB2_2539:                             ;   in Loop: Header=BB2_2481 Depth=2
	s_delay_alu instid0(SALU_CYCLE_1)
	s_or_b32 exec_lo, exec_lo, s41
                                        ; implicit-def: $vgpr81
.LBB2_2540:                             ;   in Loop: Header=BB2_2481 Depth=2
	s_and_not1_saveexec_b32 s10, s12
; %bb.2541:                             ;   in Loop: Header=BB2_2481 Depth=2
	v_or_b32_e32 v17, 0x7b, v81
; %bb.2542:                             ;   in Loop: Header=BB2_2481 Depth=2
	s_or_b32 exec_lo, exec_lo, s10
                                        ; implicit-def: $vgpr85
.LBB2_2543:                             ;   in Loop: Header=BB2_2481 Depth=2
	s_and_not1_saveexec_b32 s10, s11
	s_cbranch_execz .LBB2_2480
; %bb.2544:                             ;   in Loop: Header=BB2_2481 Depth=2
	s_mov_b32 s11, exec_lo
                                        ; implicit-def: $vgpr17
	v_cmpx_ne_u64_e32 0, v[38:39]
	s_xor_b32 s11, exec_lo, s11
; %bb.2545:                             ;   in Loop: Header=BB2_2481 Depth=2
	v_lshrrev_b32_e32 v16, 24, v85
                                        ; implicit-def: $vgpr85
	s_delay_alu instid0(VALU_DEP_1)
	v_or_b32_e32 v17, 0x7f, v16
; %bb.2546:                             ;   in Loop: Header=BB2_2481 Depth=2
	s_and_not1_saveexec_b32 s11, s11
	s_cbranch_execz .LBB2_2479
; %bb.2547:                             ;   in Loop: Header=BB2_2481 Depth=2
	v_cmp_lt_i32_e32 vcc_lo, -1, v85
	v_cndmask_b32_e64 v17, -4, 0x7c, vcc_lo
	s_branch .LBB2_2479
.LBB2_2548:                             ;   in Loop: Header=BB2_49 Depth=1
	s_or_b32 exec_lo, exec_lo, s13
	v_cmp_ne_u32_e64 s10, 0, v71
	s_and_saveexec_b32 s11, s2
	s_cbranch_execz .LBB2_2567
.LBB2_2549:                             ;   in Loop: Header=BB2_49 Depth=1
	s_and_saveexec_b32 s12, s3
	s_delay_alu instid0(SALU_CYCLE_1)
	s_xor_b32 s12, exec_lo, s12
	s_cbranch_execz .LBB2_2564
; %bb.2550:                             ;   in Loop: Header=BB2_49 Depth=1
	s_and_saveexec_b32 s13, s4
	s_cbranch_execz .LBB2_2563
; %bb.2551:                             ;   in Loop: Header=BB2_49 Depth=1
	s_mov_b32 s15, exec_lo
	s_mov_b32 s14, exec_lo
	v_mbcnt_lo_u32_b32 v10, s15, 0
	global_wb scope:SCOPE_DEV
	s_wait_storecnt 0x0
	s_wait_loadcnt_dscnt 0x0
	global_inv scope:SCOPE_DEV
	v_cmpx_eq_u32_e32 0, v10
	s_cbranch_execz .LBB2_2553
; %bb.2552:                             ;   in Loop: Header=BB2_49 Depth=1
	s_bcnt1_i32_b32 s15, s15
	s_delay_alu instid0(SALU_CYCLE_1)
	v_mov_b32_e32 v38, s15
	s_wait_loadcnt 0x0
	ds_add_u64 v0, v[38:39]
	s_trap 2
.LBB2_2553:                             ;   in Loop: Header=BB2_49 Depth=1
	s_or_b32 exec_lo, exec_lo, s14
	s_trap 2
	ds_load_b64 v[10:11], v0
	s_wait_dscnt 0x0
	v_add_nc_u64_e32 v[28:29], v[28:29], v[48:49]
	s_mov_b32 s14, exec_lo
	s_delay_alu instid0(VALU_DEP_1)
	v_cmpx_lt_u64_e64 v[10:11], v[28:29]
	s_cbranch_execz .LBB2_2562
; %bb.2554:                             ;   in Loop: Header=BB2_49 Depth=1
	s_mov_b32 s15, 0
	s_mov_b32 s43, 0
                                        ; implicit-def: $sgpr41
                                        ; implicit-def: $sgpr42
	s_branch .LBB2_2556
.LBB2_2555:                             ;   in Loop: Header=BB2_2556 Depth=2
	s_or_b32 exec_lo, exec_lo, s45
	s_delay_alu instid0(SALU_CYCLE_1) | instskip(NEXT) | instid1(SALU_CYCLE_1)
	s_and_b32 s44, exec_lo, s46
	s_or_b32 s15, s44, s15
	s_and_not1_b32 s41, s41, exec_lo
	s_and_b32 s44, s42, exec_lo
	s_delay_alu instid0(SALU_CYCLE_1)
	s_or_b32 s41, s41, s44
	s_and_not1_b32 exec_lo, exec_lo, s15
	s_cbranch_execz .LBB2_2560
.LBB2_2556:                             ;   Parent Loop BB2_49 Depth=1
                                        ; =>  This Inner Loop Header: Depth=2
	s_add_co_i32 s43, s43, 1
	s_delay_alu instid0(SALU_CYCLE_1) | instskip(SKIP_1) | instid1(SALU_CYCLE_1)
	s_cmp_lg_u32 s43, 0x2710
	s_cselect_b32 s44, -1, 0
	s_and_b32 vcc_lo, exec_lo, s44
	s_cbranch_vccz .LBB2_2558
; %bb.2557:                             ;   in Loop: Header=BB2_2556 Depth=2
	s_mov_b32 s46, -1
	s_or_b32 s42, s42, exec_lo
	s_and_saveexec_b32 s45, s44
	s_cbranch_execz .LBB2_2555
	s_branch .LBB2_2559
.LBB2_2558:                             ;   in Loop: Header=BB2_2556 Depth=2
	s_trap 2
	ds_load_b64 v[10:11], v0
	s_and_not1_b32 s44, s44, exec_lo
	s_mov_b32 s43, 0
	s_wait_loadcnt_dscnt 0x0
	flat_load_b32 v10, v[10:11] scope:SCOPE_SYS
	s_wait_loadcnt_dscnt 0x0
	global_inv scope:SCOPE_SYS
	v_cmp_eq_u32_e32 vcc_lo, 0, v10
	s_and_b32 s45, vcc_lo, exec_lo
	s_delay_alu instid0(SALU_CYCLE_1)
	s_or_b32 s44, s44, s45
	s_mov_b32 s46, -1
	s_or_b32 s42, s42, exec_lo
	s_and_saveexec_b32 s45, s44
	s_cbranch_execz .LBB2_2555
.LBB2_2559:                             ;   in Loop: Header=BB2_2556 Depth=2
	s_sleep 1
	s_trap 2
	ds_load_b64 v[10:11], v0
	s_wait_dscnt 0x0
	s_and_not1_b32 s42, s42, exec_lo
	v_cmp_ge_u64_e32 vcc_lo, v[10:11], v[28:29]
	s_or_not1_b32 s46, vcc_lo, exec_lo
	s_branch .LBB2_2555
.LBB2_2560:                             ;   in Loop: Header=BB2_49 Depth=1
	s_or_b32 exec_lo, exec_lo, s15
	s_and_saveexec_b32 s15, s41
	s_delay_alu instid0(SALU_CYCLE_1)
	s_xor_b32 s15, exec_lo, s15
	s_cbranch_execz .LBB2_2562
; %bb.2561:                             ;   in Loop: Header=BB2_49 Depth=1
	ds_store_b32 v0, v60
	s_trap 2
.LBB2_2562:                             ;   in Loop: Header=BB2_49 Depth=1
	s_or_b32 exec_lo, exec_lo, s14
	;;#ASMSTART
	s_wakeup
	;;#ASMEND
.LBB2_2563:                             ;   in Loop: Header=BB2_49 Depth=1
	s_or_b32 exec_lo, exec_lo, s13
.LBB2_2564:                             ;   in Loop: Header=BB2_49 Depth=1
	s_and_not1_saveexec_b32 s12, s12
	s_cbranch_execz .LBB2_2566
; %bb.2565:                             ;   in Loop: Header=BB2_49 Depth=1
	global_wb scope:SCOPE_DEV
	s_wait_storecnt 0x0
	s_wait_loadcnt_dscnt 0x0
	global_inv scope:SCOPE_DEV
	s_barrier_signal -1
	s_barrier_wait -1
.LBB2_2566:                             ;   in Loop: Header=BB2_49 Depth=1
	s_or_b32 exec_lo, exec_lo, s12
.LBB2_2567:                             ;   in Loop: Header=BB2_49 Depth=1
	s_delay_alu instid0(SALU_CYCLE_1) | instskip(SKIP_1) | instid1(VALU_DEP_1)
	s_or_b32 exec_lo, exec_lo, s11
	v_and_b32_e32 v10, 16, v56
	v_cmp_ne_u32_e32 vcc_lo, 0, v10
	s_and_b32 s11, vcc_lo, s10
	s_delay_alu instid0(SALU_CYCLE_1)
	s_and_saveexec_b32 s10, s11
	s_cbranch_execz .LBB2_2569
; %bb.2568:                             ;   in Loop: Header=BB2_49 Depth=1
	global_wb scope:SCOPE_SYS
	s_wait_storecnt 0x0
	s_wait_loadcnt_dscnt 0x0
	global_inv scope:SCOPE_SYS
.LBB2_2569:                             ;   in Loop: Header=BB2_49 Depth=1
	s_or_b32 exec_lo, exec_lo, s10
	v_cmp_ne_u32_e32 vcc_lo, 0, v10
	s_xor_b32 s10, s7, -1
	s_delay_alu instid0(SALU_CYCLE_1) | instskip(NEXT) | instid1(SALU_CYCLE_1)
	s_and_b32 s11, vcc_lo, s10
	s_and_saveexec_b32 s10, s11
	s_cbranch_execz .LBB2_2571
; %bb.2570:                             ;   in Loop: Header=BB2_49 Depth=1
	global_wb scope:SCOPE_SYS
	s_wait_storecnt 0x0
	s_wait_loadcnt_dscnt 0x0
	flat_store_b32 v[36:37], v60 scope:SCOPE_SYS
.LBB2_2571:                             ;   in Loop: Header=BB2_49 Depth=1
	s_wait_xcnt 0x0
	s_or_b32 exec_lo, exec_lo, s10
	v_and_b32_e32 v10, 48, v56
	s_mov_b32 s10, exec_lo
	s_delay_alu instid0(VALU_DEP_1)
	v_cmpx_ne_u32_e32 0, v10
	s_cbranch_execz .LBB2_2573
; %bb.2572:                             ;   in Loop: Header=BB2_49 Depth=1
	v_add_nc_u64_e32 v[8:9], 1, v[8:9]
	global_wb scope:SCOPE_SYS
	s_wait_storecnt 0x0
	s_wait_loadcnt_dscnt 0x0
	flat_store_b64 v[22:23], v[8:9] scope:SCOPE_SYS
.LBB2_2573:                             ;   in Loop: Header=BB2_49 Depth=1
	s_wait_xcnt 0x0
	s_or_b32 exec_lo, exec_lo, s10
	v_mov_b32_e32 v10, v80
.LBB2_2574:                             ;   in Loop: Header=BB2_49 Depth=1
	s_or_b32 exec_lo, exec_lo, s40
	s_and_saveexec_b32 s11, s29
	s_cbranch_execz .LBB2_48
; %bb.2575:                             ;   in Loop: Header=BB2_49 Depth=1
	s_delay_alu instid0(VALU_DEP_1) | instskip(SKIP_1) | instid1(VALU_DEP_1)
	v_dual_sub_nc_u32 v10, v70, v10 :: v_dual_bitop2_b32 v11, 12, v56 bitop3:0x40
	s_mov_b32 s12, exec_lo
	v_min_i32_e32 v10, v80, v10
	s_delay_alu instid0(VALU_DEP_2)
	v_cmpx_ne_u32_e32 0, v11
	s_cbranch_execz .LBB2_2601
; %bb.2576:                             ;   in Loop: Header=BB2_49 Depth=1
	v_and_b32_e32 v38, 8, v56
	s_wait_dscnt 0x0
	v_add_nc_u64_e32 v[12:13], 1, v[8:9]
	s_mov_b32 s13, exec_lo
	s_wait_loadcnt 0x0
	v_add_nc_u64_e32 v[14:15], v[32:33], v[38:39]
	s_delay_alu instid0(VALU_DEP_1)
	v_cmpx_lt_u64_e64 v[14:15], v[12:13]
	s_cbranch_execz .LBB2_2588
; %bb.2577:                             ;   in Loop: Header=BB2_49 Depth=1
	v_and_b32_e32 v9, 64, v56
	s_mov_b32 s14, 0
	s_mov_b32 s41, 0
                                        ; implicit-def: $sgpr15
                                        ; implicit-def: $sgpr29
                                        ; implicit-def: $sgpr40
	s_delay_alu instid0(VALU_DEP_1)
	v_cmp_eq_u32_e32 vcc_lo, 0, v9
	s_branch .LBB2_2581
.LBB2_2578:                             ;   in Loop: Header=BB2_2581 Depth=2
	s_wait_loadcnt_dscnt 0x0
	v_add_nc_u64_e32 v[14:15], v[32:33], v[38:39]
	s_or_b32 s44, s44, exec_lo
	s_delay_alu instid0(VALU_DEP_1)
	v_cmp_ge_u64_e64 s10, v[14:15], v[12:13]
	s_or_not1_b32 s43, s10, exec_lo
.LBB2_2579:                             ;   in Loop: Header=BB2_2581 Depth=2
	s_or_b32 exec_lo, exec_lo, s46
	s_delay_alu instid0(SALU_CYCLE_1)
	s_and_not1_b32 s10, s40, exec_lo
	s_and_b32 s40, s44, exec_lo
	s_and_not1_b32 s29, s29, exec_lo
	s_and_b32 s43, s43, exec_lo
	s_or_b32 s40, s10, s40
	s_or_b32 s29, s29, s43
.LBB2_2580:                             ;   in Loop: Header=BB2_2581 Depth=2
	s_or_b32 exec_lo, exec_lo, s42
	s_delay_alu instid0(SALU_CYCLE_1) | instskip(NEXT) | instid1(SALU_CYCLE_1)
	s_and_b32 s10, exec_lo, s29
	s_or_b32 s14, s10, s14
	s_and_not1_b32 s10, s15, exec_lo
	s_and_b32 s15, s40, exec_lo
	s_delay_alu instid0(SALU_CYCLE_1)
	s_or_b32 s15, s10, s15
	s_and_not1_b32 exec_lo, exec_lo, s14
	s_cbranch_execz .LBB2_2585
.LBB2_2581:                             ;   Parent Loop BB2_49 Depth=1
                                        ; =>  This Inner Loop Header: Depth=2
	s_sleep 1
	s_wait_loadcnt_dscnt 0x0
	flat_load_b64 v[32:33], v[22:23] scope:SCOPE_SYS
	s_or_b32 s40, s40, exec_lo
	s_or_b32 s29, s29, exec_lo
                                        ; implicit-def: $vgpr9
	s_wait_xcnt 0x0
	s_and_saveexec_b32 s42, vcc_lo
	s_cbranch_execz .LBB2_2580
; %bb.2582:                             ;   in Loop: Header=BB2_2581 Depth=2
	s_cmp_lt_i32 s41, 0x270f
	s_mov_b32 s43, -1
	s_cselect_b32 s45, -1, 0
	s_cmp_gt_i32 s41, 0x270e
	s_cbranch_scc0 .LBB2_2584
; %bb.2583:                             ;   in Loop: Header=BB2_2581 Depth=2
	s_trap 2
	ds_load_b64 v[14:15], v0
	s_and_not1_b32 s41, s45, exec_lo
	s_mov_b32 s44, 0
	s_wait_storecnt 0x0
	s_wait_loadcnt_dscnt 0x0
	flat_load_b32 v9, v[14:15] scope:SCOPE_SYS
	s_wait_loadcnt_dscnt 0x0
	global_inv scope:SCOPE_SYS
	v_cmp_eq_u32_e64 s10, 0, v9
	s_and_b32 s10, s10, exec_lo
	s_delay_alu instid0(SALU_CYCLE_1)
	s_or_b32 s45, s41, s10
	s_mov_b32 s41, 0
	s_and_saveexec_b32 s46, s45
	s_cbranch_execz .LBB2_2579
	s_branch .LBB2_2578
.LBB2_2584:                             ;   in Loop: Header=BB2_2581 Depth=2
	s_add_co_i32 s41, s41, 1
	s_mov_b32 s44, -1
                                        ; implicit-def: $vgpr9
	s_and_saveexec_b32 s46, s45
	s_cbranch_execz .LBB2_2579
	s_branch .LBB2_2578
.LBB2_2585:                             ;   in Loop: Header=BB2_49 Depth=1
	s_or_b32 exec_lo, exec_lo, s14
	s_xor_b32 s10, s15, -1
	s_delay_alu instid0(SALU_CYCLE_1) | instskip(NEXT) | instid1(SALU_CYCLE_1)
	s_and_saveexec_b32 s14, s10
	s_xor_b32 s10, exec_lo, s14
	s_cbranch_execz .LBB2_2587
; %bb.2586:                             ;   in Loop: Header=BB2_49 Depth=1
	v_or_b32_e32 v56, 64, v56
	s_wait_storecnt 0x0
	s_wait_loadcnt_dscnt 0x0
	ds_store_b32 v0, v9
	s_trap 2
.LBB2_2587:                             ;   in Loop: Header=BB2_49 Depth=1
	s_or_b32 exec_lo, exec_lo, s10
.LBB2_2588:                             ;   in Loop: Header=BB2_49 Depth=1
	s_delay_alu instid0(SALU_CYCLE_1) | instskip(SKIP_2) | instid1(VALU_DEP_1)
	s_or_b32 exec_lo, exec_lo, s13
	v_and_b32_e32 v9, 0x108, v56
	;;#ASMSTART
	s_wakeup
	;;#ASMEND
	v_cmp_ne_u32_e32 vcc_lo, 0x108, v9
	v_and_b32_e32 v8, 7, v8
	s_and_saveexec_b32 s10, vcc_lo
	s_delay_alu instid0(SALU_CYCLE_1)
	s_xor_b32 s10, exec_lo, s10
; %bb.2589:                             ;   in Loop: Header=BB2_49 Depth=1
	v_mov_b32_e32 v9, v39
; %bb.2590:                             ;   in Loop: Header=BB2_49 Depth=1
	s_and_not1_saveexec_b32 s10, s10
	s_cbranch_execz .LBB2_2592
; %bb.2591:                             ;   in Loop: Header=BB2_49 Depth=1
	v_mad_nc_u64_u32 v[14:15], v8, 24, v[6:7]
	v_dual_ashrrev_i32 v11, 31, v10 :: v_dual_mov_b32 v9, v39
	flat_store_b64 v[14:15], v[10:11] offset:8
.LBB2_2592:                             ;   in Loop: Header=BB2_49 Depth=1
	s_wait_xcnt 0x0
	s_or_b32 exec_lo, exec_lo, s10
	v_and_b32_e32 v11, 0x100, v56
	s_mov_b32 s10, -1
	s_mov_b32 s13, exec_lo
                                        ; implicit-def: $vgpr14_vgpr15
	s_delay_alu instid0(VALU_DEP_1)
	v_cmpx_ne_u32_e32 0, v11
	s_cbranch_execz .LBB2_2596
; %bb.2593:                             ;   in Loop: Header=BB2_49 Depth=1
	v_mad_nc_u64_u32 v[16:17], v8, 24, v[6:7]
	s_mov_b32 s14, exec_lo
                                        ; implicit-def: $vgpr14_vgpr15
	s_delay_alu instid0(VALU_DEP_1)
	v_mad_u32 v17, v9, 24, v17
	flat_load_b32 v11, v[16:17]
	s_wait_loadcnt_dscnt 0x0
	v_cmp_ne_u32_e32 vcc_lo, 1, v11
	s_wait_xcnt 0x0
	v_cmpx_eq_u32_e32 1, v11
	s_cbranch_execz .LBB2_2595
; %bb.2594:                             ;   in Loop: Header=BB2_49 Depth=1
	flat_load_b32 v14, v[16:17] offset:4 scope:SCOPE_SYS
	s_wait_loadcnt_dscnt 0x0
	v_ashrrev_i32_e32 v15, 31, v14
.LBB2_2595:                             ;   in Loop: Header=BB2_49 Depth=1
	s_wait_xcnt 0x0
	s_or_b32 exec_lo, exec_lo, s14
	s_delay_alu instid0(SALU_CYCLE_1)
	s_or_not1_b32 s10, vcc_lo, exec_lo
.LBB2_2596:                             ;   in Loop: Header=BB2_49 Depth=1
	s_or_b32 exec_lo, exec_lo, s13
	s_and_saveexec_b32 s13, s10
; %bb.2597:                             ;   in Loop: Header=BB2_49 Depth=1
	v_mul_u64_e32 v[14:15], v[8:9], v[24:25]
; %bb.2598:                             ;   in Loop: Header=BB2_49 Depth=1
	s_or_b32 exec_lo, exec_lo, s13
	v_cmp_eq_u32_e32 vcc_lo, 0, v38
	s_delay_alu instid0(VALU_DEP_2) | instskip(SKIP_3) | instid1(VALU_DEP_1)
	v_add_nc_u64_e32 v[8:9], v[26:27], v[14:15]
	v_and_b32_e32 v16, 0x2000, v56
	s_mov_b32 s10, exec_lo
	v_cndmask_b32_e32 v11, 0xc8, v61, vcc_lo
	v_add_nc_u32_e32 v11, v0, v11
	ds_store_b64 v11, v[8:9] offset:584
	v_cmpx_ne_u32_e32 0, v16
	s_cbranch_execz .LBB2_2600
; %bb.2599:                             ;   in Loop: Header=BB2_49 Depth=1
	ds_load_b64 v[8:9], v0 offset:872
	s_wait_dscnt 0x0
	v_add_nc_u64_e32 v[8:9], 1, v[8:9]
	ds_store_b64 v0, v[8:9] offset:872
.LBB2_2600:                             ;   in Loop: Header=BB2_49 Depth=1
	s_or_b32 exec_lo, exec_lo, s10
	v_mov_b64_e32 v[8:9], v[12:13]
.LBB2_2601:                             ;   in Loop: Header=BB2_49 Depth=1
	s_or_b32 exec_lo, exec_lo, s12
	s_and_saveexec_b32 s10, s2
	s_cbranch_execz .LBB2_2620
; %bb.2602:                             ;   in Loop: Header=BB2_49 Depth=1
	s_and_saveexec_b32 s12, s3
	s_delay_alu instid0(SALU_CYCLE_1)
	s_xor_b32 s12, exec_lo, s12
	s_cbranch_execz .LBB2_2617
; %bb.2603:                             ;   in Loop: Header=BB2_49 Depth=1
	s_and_saveexec_b32 s13, s4
	s_cbranch_execz .LBB2_2616
; %bb.2604:                             ;   in Loop: Header=BB2_49 Depth=1
	s_mov_b32 s15, exec_lo
	s_mov_b32 s14, exec_lo
	v_mbcnt_lo_u32_b32 v11, s15, 0
	global_wb scope:SCOPE_DEV
	s_wait_storecnt 0x0
	s_wait_loadcnt_dscnt 0x0
	global_inv scope:SCOPE_DEV
	v_cmpx_eq_u32_e32 0, v11
	s_cbranch_execz .LBB2_2606
; %bb.2605:                             ;   in Loop: Header=BB2_49 Depth=1
	s_bcnt1_i32_b32 s15, s15
	s_delay_alu instid0(SALU_CYCLE_1)
	v_mov_b32_e32 v38, s15
	s_wait_loadcnt 0x0
	ds_add_u64 v0, v[38:39]
	s_trap 2
.LBB2_2606:                             ;   in Loop: Header=BB2_49 Depth=1
	s_or_b32 exec_lo, exec_lo, s14
	s_trap 2
	ds_load_b64 v[12:13], v0
	s_wait_dscnt 0x0
	v_add_nc_u64_e32 v[28:29], v[28:29], v[48:49]
	s_mov_b32 s14, exec_lo
	s_delay_alu instid0(VALU_DEP_1)
	v_cmpx_lt_u64_e64 v[12:13], v[28:29]
	s_cbranch_execz .LBB2_2615
; %bb.2607:                             ;   in Loop: Header=BB2_49 Depth=1
	s_mov_b32 s15, 0
	s_mov_b32 s41, 0
                                        ; implicit-def: $sgpr29
                                        ; implicit-def: $sgpr40
	s_branch .LBB2_2609
.LBB2_2608:                             ;   in Loop: Header=BB2_2609 Depth=2
	s_or_b32 exec_lo, exec_lo, s43
	s_delay_alu instid0(SALU_CYCLE_1) | instskip(NEXT) | instid1(SALU_CYCLE_1)
	s_and_b32 s42, exec_lo, s44
	s_or_b32 s15, s42, s15
	s_and_not1_b32 s29, s29, exec_lo
	s_and_b32 s42, s40, exec_lo
	s_delay_alu instid0(SALU_CYCLE_1)
	s_or_b32 s29, s29, s42
	s_and_not1_b32 exec_lo, exec_lo, s15
	s_cbranch_execz .LBB2_2613
.LBB2_2609:                             ;   Parent Loop BB2_49 Depth=1
                                        ; =>  This Inner Loop Header: Depth=2
	s_add_co_i32 s41, s41, 1
	s_delay_alu instid0(SALU_CYCLE_1) | instskip(SKIP_1) | instid1(SALU_CYCLE_1)
	s_cmp_lg_u32 s41, 0x2710
	s_cselect_b32 s42, -1, 0
	s_and_b32 vcc_lo, exec_lo, s42
	s_cbranch_vccz .LBB2_2611
; %bb.2610:                             ;   in Loop: Header=BB2_2609 Depth=2
	s_mov_b32 s44, -1
	s_or_b32 s40, s40, exec_lo
	s_and_saveexec_b32 s43, s42
	s_cbranch_execz .LBB2_2608
	s_branch .LBB2_2612
.LBB2_2611:                             ;   in Loop: Header=BB2_2609 Depth=2
	s_trap 2
	ds_load_b64 v[12:13], v0
	s_and_not1_b32 s42, s42, exec_lo
	s_mov_b32 s41, 0
	s_wait_loadcnt_dscnt 0x0
	flat_load_b32 v11, v[12:13] scope:SCOPE_SYS
	s_wait_loadcnt_dscnt 0x0
	global_inv scope:SCOPE_SYS
	v_cmp_eq_u32_e32 vcc_lo, 0, v11
	s_and_b32 s43, vcc_lo, exec_lo
	s_delay_alu instid0(SALU_CYCLE_1)
	s_or_b32 s42, s42, s43
	s_mov_b32 s44, -1
	s_or_b32 s40, s40, exec_lo
	s_and_saveexec_b32 s43, s42
	s_cbranch_execz .LBB2_2608
.LBB2_2612:                             ;   in Loop: Header=BB2_2609 Depth=2
	s_sleep 1
	s_trap 2
	ds_load_b64 v[12:13], v0
	s_wait_dscnt 0x0
	s_and_not1_b32 s40, s40, exec_lo
	v_cmp_ge_u64_e32 vcc_lo, v[12:13], v[28:29]
	s_or_not1_b32 s44, vcc_lo, exec_lo
	s_branch .LBB2_2608
.LBB2_2613:                             ;   in Loop: Header=BB2_49 Depth=1
	s_or_b32 exec_lo, exec_lo, s15
	s_and_saveexec_b32 s15, s29
	s_delay_alu instid0(SALU_CYCLE_1)
	s_xor_b32 s15, exec_lo, s15
	s_cbranch_execz .LBB2_2615
; %bb.2614:                             ;   in Loop: Header=BB2_49 Depth=1
	ds_store_b32 v0, v60
	s_trap 2
.LBB2_2615:                             ;   in Loop: Header=BB2_49 Depth=1
	s_or_b32 exec_lo, exec_lo, s14
	;;#ASMSTART
	s_wakeup
	;;#ASMEND
.LBB2_2616:                             ;   in Loop: Header=BB2_49 Depth=1
	s_or_b32 exec_lo, exec_lo, s13
.LBB2_2617:                             ;   in Loop: Header=BB2_49 Depth=1
	s_and_not1_saveexec_b32 s12, s12
	s_cbranch_execz .LBB2_2619
; %bb.2618:                             ;   in Loop: Header=BB2_49 Depth=1
	global_wb scope:SCOPE_DEV
	s_wait_storecnt 0x0
	s_wait_loadcnt_dscnt 0x0
	global_inv scope:SCOPE_DEV
	s_barrier_signal -1
	s_barrier_wait -1
.LBB2_2619:                             ;   in Loop: Header=BB2_49 Depth=1
	s_or_b32 exec_lo, exec_lo, s12
.LBB2_2620:                             ;   in Loop: Header=BB2_49 Depth=1
	s_delay_alu instid0(SALU_CYCLE_1)
	s_or_b32 exec_lo, exec_lo, s10
	s_trap 2
	ds_load_b32 v11, v0
	v_cmp_lt_i32_e32 vcc_lo, 0, v10
	s_wait_dscnt 0x0
	v_readfirstlane_b32 s10, v11
	v_and_b32_e32 v11, 16, v56
	s_cmp_eq_u32 s10, 0
	s_delay_alu instid0(VALU_DEP_1) | instskip(SKIP_1) | instid1(SALU_CYCLE_1)
	v_cmp_ne_u32_e64 s10, 0, v11
	s_cselect_b32 s12, -1, 0
	s_and_b32 s12, vcc_lo, s12
	s_delay_alu instid0(SALU_CYCLE_1) | instskip(NEXT) | instid1(SALU_CYCLE_1)
	s_and_b32 s12, s10, s12
	s_and_saveexec_b32 s10, s12
	s_cbranch_execz .LBB2_2622
; %bb.2621:                             ;   in Loop: Header=BB2_49 Depth=1
	global_wb scope:SCOPE_SYS
	s_wait_loadcnt 0x0
	s_wait_storecnt 0x0
	global_inv scope:SCOPE_SYS
.LBB2_2622:                             ;   in Loop: Header=BB2_49 Depth=1
	s_or_b32 exec_lo, exec_lo, s10
	v_cmp_ne_u32_e32 vcc_lo, 0, v11
	s_xor_b32 s10, s7, -1
	s_delay_alu instid0(SALU_CYCLE_1) | instskip(NEXT) | instid1(SALU_CYCLE_1)
	s_and_b32 s12, vcc_lo, s10
	s_and_saveexec_b32 s10, s12
	s_cbranch_execz .LBB2_2624
; %bb.2623:                             ;   in Loop: Header=BB2_49 Depth=1
	global_wb scope:SCOPE_SYS
	s_wait_loadcnt 0x0
	s_wait_storecnt 0x0
	flat_store_b32 v[36:37], v60 scope:SCOPE_SYS
.LBB2_2624:                             ;   in Loop: Header=BB2_49 Depth=1
	s_wait_xcnt 0x0
	s_or_b32 exec_lo, exec_lo, s10
	v_and_b32_e32 v10, 48, v56
	s_mov_b32 s10, exec_lo
	s_delay_alu instid0(VALU_DEP_1)
	v_cmpx_ne_u32_e32 0, v10
	s_cbranch_execz .LBB2_47
; %bb.2625:                             ;   in Loop: Header=BB2_49 Depth=1
	v_add_nc_u64_e32 v[8:9], 1, v[8:9]
	global_wb scope:SCOPE_SYS
	s_wait_storecnt 0x0
	s_wait_loadcnt_dscnt 0x0
	flat_store_b64 v[22:23], v[8:9] scope:SCOPE_SYS
	s_branch .LBB2_47
.LBB2_2626:
	s_or_b32 exec_lo, exec_lo, s26
.LBB2_2627:
	s_delay_alu instid0(SALU_CYCLE_1)
	s_or_b32 exec_lo, exec_lo, s24
                                        ; implicit-def: $vgpr18_vgpr19
                                        ; implicit-def: $vgpr4_vgpr5
                                        ; implicit-def: $vgpr24
                                        ; implicit-def: $vgpr32_vgpr33
                                        ; implicit-def: $vgpr26_vgpr27
                                        ; implicit-def: $vgpr22_vgpr23
                                        ; implicit-def: $vgpr0
                                        ; implicit-def: $vgpr15
                                        ; implicit-def: $vgpr34_vgpr35
.LBB2_2628:
	s_and_not1_saveexec_b32 s15, s23
	s_cbranch_execz .LBB2_5200
; %bb.2629:
	v_mov_b64_e32 v[28:29], 0
	s_mov_b32 s23, exec_lo
	v_cmpx_ne_u64_e32 0, v[4:5]
	s_cbranch_execz .LBB2_5199
; %bb.2630:
	s_ashr_i32 s2, s21, 31
	s_wait_dscnt 0x1
	v_dual_ashrrev_i32 v25, 31, v24 :: v_dual_bitop2_b32 v10, 31, v31 bitop3:0x40
	v_dual_mov_b32 v37, 0 :: v_dual_bitop2_b32 v42, 31, v0 bitop3:0x40
	v_lshrrev_b32_e32 v38, 5, v1
	s_lshr_b32 s2, s2, 24
	v_cmp_eq_u32_e32 vcc_lo, 32, v1
	s_add_co_i32 s2, s21, s2
	v_mov_b64_e32 v[64:65], 0
	v_mov_b64_e32 v[28:29], 0
	v_cmp_ge_u32_e64 s1, v0, v1
	s_ashr_i32 s24, s2, 8
	v_cmp_ne_u32_e64 s2, 32, v1
	v_cmp_ne_u32_e64 s3, v1, v57
	v_cmp_eq_u32_e64 s4, 0, v10
	v_mov_b32_e32 v39, v37
	v_cmp_le_u32_e64 s5, v42, v15
	v_cmp_eq_u32_e64 s6, 0, v42
	v_dual_lshrrev_b32 v43, 5, v0 :: v_dual_lshlrev_b32 v48, 4, v0
	v_dual_mov_b32 v49, v37 :: v_dual_lshlrev_b32 v50, 9, v38
	v_dual_mov_b32 v51, v37 :: v_dual_lshlrev_b32 v52, 8, v38
	v_dual_mov_b32 v53, v37 :: v_dual_mov_b32 v55, v37
	v_and_b32_e32 v54, 0x1fe0, v1
	v_dual_mov_b32 v44, 1 :: v_dual_mov_b32 v45, 0x7f800000
	v_mov_b32_e32 v46, 0x7c
	s_mov_b64 s[16:17], 0x100000000000000
	s_mov_b64 s[18:19], 0xffffffffffffff
	s_mov_b32 s25, 0
	s_xor_b32 s26, vcc_lo, -1
	s_brev_b32 s27, 1
	s_trap 2
	s_branch .LBB2_2633
.LBB2_2631:                             ;   in Loop: Header=BB2_2633 Depth=1
	s_wait_xcnt 0x0
	s_or_b32 exec_lo, exec_lo, s7
.LBB2_2632:                             ;   in Loop: Header=BB2_2633 Depth=1
	s_delay_alu instid0(SALU_CYCLE_1) | instskip(SKIP_1) | instid1(VALU_DEP_1)
	s_or_b32 exec_lo, exec_lo, s10
	v_add_nc_u64_e32 v[64:65], v[64:65], v[34:35]
	v_cmp_ge_u64_e32 vcc_lo, v[64:65], v[4:5]
	s_or_b32 s25, vcc_lo, s25
	s_delay_alu instid0(SALU_CYCLE_1)
	s_and_not1_b32 exec_lo, exec_lo, s25
	s_cbranch_execz .LBB2_5198
.LBB2_2633:                             ; =>This Loop Header: Depth=1
                                        ;     Child Loop BB2_2642 Depth 2
                                        ;     Child Loop BB2_2666 Depth 2
	;; [unrolled: 1-line block ×10, first 2 shown]
	v_sub_nc_u64_e32 v[10:11], v[4:5], v[64:65]
	v_mov_b32_e32 v14, v37
	s_delay_alu instid0(VALU_DEP_2) | instskip(NEXT) | instid1(VALU_DEP_1)
	v_min_u64 v[66:67], v[34:35], v[10:11]
	v_add_nc_u32_e32 v10, 15, v66
	s_delay_alu instid0(VALU_DEP_2) | instskip(NEXT) | instid1(VALU_DEP_2)
	v_cmp_eq_u64_e32 vcc_lo, 0, v[66:67]
	v_and_b32_e32 v10, 0x7ffffff0, v10
	s_or_b32 s28, s1, vcc_lo
	s_delay_alu instid0(SALU_CYCLE_1) | instskip(NEXT) | instid1(VALU_DEP_1)
	s_xor_b32 s7, s28, -1
	v_max_i32_e32 v67, s24, v10
	s_and_saveexec_b32 s29, s7
	s_cbranch_execz .LBB2_5152
; %bb.2634:                             ;   in Loop: Header=BB2_2633 Depth=1
	s_and_saveexec_b32 s7, s0
	s_cbranch_execz .LBB2_2636
; %bb.2635:                             ;   in Loop: Header=BB2_2633 Depth=1
	s_trap 2
	ds_load_b64 v[14:15], v0
	ds_load_2addr_b64 v[10:13], v0 offset1:1
	v_add_nc_u64_e32 v[16:17], v[64:65], v[18:19]
	s_wait_dscnt 0x1
	s_delay_alu instid0(VALU_DEP_1) | instskip(SKIP_4) | instid1(VALU_DEP_4)
	v_add_nc_u64_e32 v[68:69], v[14:15], v[16:17]
	v_cmp_ne_u64_e32 vcc_lo, 0, v[14:15]
	s_wait_dscnt 0x0
	v_add_nc_u64_e32 v[10:11], v[10:11], v[16:17]
	v_add_nc_u64_e32 v[12:13], v[12:13], v[16:17]
	v_dual_cndmask_b32 v15, 0, v69 :: v_dual_cndmask_b32 v14, 0, v68
	ds_store_b64 v0, v[10:11]
	ds_store_b64 v0, v[12:13]
	;; [unrolled: 1-line block ×3, first 2 shown]
.LBB2_2636:                             ;   in Loop: Header=BB2_2633 Depth=1
	s_or_b32 exec_lo, exec_lo, s7
	v_and_b32_e32 v10, 4, v56
	s_mov_b32 s10, exec_lo
	s_delay_alu instid0(VALU_DEP_1)
	v_cmpx_ne_u32_e32 0, v10
	s_cbranch_execz .LBB2_2658
; %bb.2637:                             ;   in Loop: Header=BB2_2633 Depth=1
	s_wait_dscnt 0x0
	v_add_nc_u64_e32 v[10:11], 1, v[8:9]
	s_mov_b32 s11, exec_lo
	s_wait_loadcnt 0x0
	s_delay_alu instid0(VALU_DEP_1)
	v_cmpx_lt_u64_e64 v[32:33], v[10:11]
	s_cbranch_execz .LBB2_2649
; %bb.2638:                             ;   in Loop: Header=BB2_2633 Depth=1
	v_and_b32_e32 v9, 64, v56
	s_mov_b32 s12, 0
	s_mov_b32 s41, 0
                                        ; implicit-def: $sgpr13
                                        ; implicit-def: $sgpr14
                                        ; implicit-def: $sgpr40
	s_delay_alu instid0(VALU_DEP_1)
	v_cmp_eq_u32_e32 vcc_lo, 0, v9
	s_branch .LBB2_2642
.LBB2_2639:                             ;   in Loop: Header=BB2_2642 Depth=2
	s_wait_loadcnt_dscnt 0x0
	v_cmp_ge_u64_e64 s7, v[32:33], v[10:11]
	s_or_b32 s44, s44, exec_lo
	s_or_not1_b32 s43, s7, exec_lo
.LBB2_2640:                             ;   in Loop: Header=BB2_2642 Depth=2
	s_or_b32 exec_lo, exec_lo, s46
	s_delay_alu instid0(SALU_CYCLE_1)
	s_and_not1_b32 s7, s40, exec_lo
	s_and_b32 s40, s44, exec_lo
	s_and_not1_b32 s14, s14, exec_lo
	s_and_b32 s43, s43, exec_lo
	s_or_b32 s40, s7, s40
	s_or_b32 s14, s14, s43
.LBB2_2641:                             ;   in Loop: Header=BB2_2642 Depth=2
	s_or_b32 exec_lo, exec_lo, s42
	s_delay_alu instid0(SALU_CYCLE_1) | instskip(NEXT) | instid1(SALU_CYCLE_1)
	s_and_b32 s7, exec_lo, s14
	s_or_b32 s12, s7, s12
	s_and_not1_b32 s7, s13, exec_lo
	s_and_b32 s13, s40, exec_lo
	s_delay_alu instid0(SALU_CYCLE_1)
	s_or_b32 s13, s7, s13
	s_and_not1_b32 exec_lo, exec_lo, s12
	s_cbranch_execz .LBB2_2646
.LBB2_2642:                             ;   Parent Loop BB2_2633 Depth=1
                                        ; =>  This Inner Loop Header: Depth=2
	s_sleep 1
	s_wait_loadcnt_dscnt 0x0
	flat_load_b64 v[32:33], v[22:23] scope:SCOPE_SYS
	s_or_b32 s40, s40, exec_lo
	s_or_b32 s14, s14, exec_lo
                                        ; implicit-def: $vgpr9
	s_wait_xcnt 0x0
	s_and_saveexec_b32 s42, vcc_lo
	s_cbranch_execz .LBB2_2641
; %bb.2643:                             ;   in Loop: Header=BB2_2642 Depth=2
	s_cmp_lt_i32 s41, 0x270f
	s_mov_b32 s43, -1
	s_cselect_b32 s45, -1, 0
	s_cmp_gt_i32 s41, 0x270e
	s_cbranch_scc0 .LBB2_2645
; %bb.2644:                             ;   in Loop: Header=BB2_2642 Depth=2
	s_trap 2
	ds_load_b64 v[12:13], v0
	s_and_not1_b32 s41, s45, exec_lo
	s_mov_b32 s44, 0
	s_wait_storecnt 0x0
	s_wait_loadcnt_dscnt 0x0
	flat_load_b32 v9, v[12:13] scope:SCOPE_SYS
	s_wait_loadcnt_dscnt 0x0
	global_inv scope:SCOPE_SYS
	v_cmp_eq_u32_e64 s7, 0, v9
	s_and_b32 s7, s7, exec_lo
	s_delay_alu instid0(SALU_CYCLE_1)
	s_or_b32 s45, s41, s7
	s_mov_b32 s41, 0
	s_and_saveexec_b32 s46, s45
	s_cbranch_execz .LBB2_2640
	s_branch .LBB2_2639
.LBB2_2645:                             ;   in Loop: Header=BB2_2642 Depth=2
	s_add_co_i32 s41, s41, 1
	s_mov_b32 s44, -1
                                        ; implicit-def: $vgpr9
	s_and_saveexec_b32 s46, s45
	s_cbranch_execz .LBB2_2640
	s_branch .LBB2_2639
.LBB2_2646:                             ;   in Loop: Header=BB2_2633 Depth=1
	s_or_b32 exec_lo, exec_lo, s12
	s_xor_b32 s7, s13, -1
	s_delay_alu instid0(SALU_CYCLE_1) | instskip(NEXT) | instid1(SALU_CYCLE_1)
	s_and_saveexec_b32 s12, s7
	s_xor_b32 s7, exec_lo, s12
	s_cbranch_execz .LBB2_2648
; %bb.2647:                             ;   in Loop: Header=BB2_2633 Depth=1
	v_or_b32_e32 v56, 64, v56
	s_wait_storecnt 0x0
	s_wait_loadcnt_dscnt 0x0
	ds_store_b32 v0, v9
	s_trap 2
.LBB2_2648:                             ;   in Loop: Header=BB2_2633 Depth=1
	s_or_b32 exec_lo, exec_lo, s7
.LBB2_2649:                             ;   in Loop: Header=BB2_2633 Depth=1
	s_delay_alu instid0(SALU_CYCLE_1) | instskip(SKIP_4) | instid1(VALU_DEP_2)
	s_or_b32 exec_lo, exec_lo, s11
	v_and_b32_e32 v9, 0x100, v56
	v_and_b32_e32 v36, 7, v8
	s_mov_b32 s7, -1
	;;#ASMSTART
	s_wakeup
	;;#ASMEND
	v_cmp_ne_u32_e32 vcc_lo, 0, v9
                                        ; implicit-def: $vgpr8_vgpr9
	s_and_saveexec_b32 s11, vcc_lo
	s_cbranch_execz .LBB2_2653
; %bb.2650:                             ;   in Loop: Header=BB2_2633 Depth=1
	v_mad_nc_u64_u32 v[12:13], v36, 24, v[6:7]
	flat_load_b32 v8, v[12:13]
	s_wait_loadcnt_dscnt 0x0
	v_cmp_eq_u32_e64 s7, 1, v8
	v_cmp_ne_u32_e32 vcc_lo, 1, v8
                                        ; implicit-def: $vgpr8_vgpr9
	s_wait_xcnt 0x0
	s_and_saveexec_b32 s12, s7
	s_cbranch_execz .LBB2_2652
; %bb.2651:                             ;   in Loop: Header=BB2_2633 Depth=1
	flat_load_b32 v8, v[12:13] offset:4 scope:SCOPE_SYS
	s_wait_loadcnt_dscnt 0x0
	v_ashrrev_i32_e32 v9, 31, v8
.LBB2_2652:                             ;   in Loop: Header=BB2_2633 Depth=1
	s_wait_xcnt 0x0
	s_or_b32 exec_lo, exec_lo, s12
	s_delay_alu instid0(SALU_CYCLE_1)
	s_or_not1_b32 s7, vcc_lo, exec_lo
.LBB2_2653:                             ;   in Loop: Header=BB2_2633 Depth=1
	s_or_b32 exec_lo, exec_lo, s11
	s_and_saveexec_b32 s11, s7
; %bb.2654:                             ;   in Loop: Header=BB2_2633 Depth=1
	v_mul_u64_e32 v[8:9], v[36:37], v[24:25]
; %bb.2655:                             ;   in Loop: Header=BB2_2633 Depth=1
	s_or_b32 exec_lo, exec_lo, s11
	s_delay_alu instid0(VALU_DEP_1)
	v_add_nc_u64_e32 v[8:9], v[26:27], v[8:9]
	v_and_b32_e32 v12, 0x2000, v56
	s_mov_b32 s7, exec_lo
	ds_store_b64 v0, v[8:9] offset:728
	v_cmpx_ne_u32_e32 0, v12
	s_cbranch_execz .LBB2_2657
; %bb.2656:                             ;   in Loop: Header=BB2_2633 Depth=1
	ds_load_b64 v[8:9], v0 offset:872
	s_wait_dscnt 0x0
	v_add_nc_u64_e32 v[8:9], 1, v[8:9]
	ds_store_b64 v0, v[8:9] offset:872
.LBB2_2657:                             ;   in Loop: Header=BB2_2633 Depth=1
	s_or_b32 exec_lo, exec_lo, s7
	v_mov_b64_e32 v[8:9], v[10:11]
.LBB2_2658:                             ;   in Loop: Header=BB2_2633 Depth=1
	s_or_b32 exec_lo, exec_lo, s10
	s_and_saveexec_b32 s7, s2
	s_cbranch_execz .LBB2_2677
; %bb.2659:                             ;   in Loop: Header=BB2_2633 Depth=1
	s_and_saveexec_b32 s10, s3
	s_delay_alu instid0(SALU_CYCLE_1)
	s_xor_b32 s10, exec_lo, s10
	s_cbranch_execz .LBB2_2674
; %bb.2660:                             ;   in Loop: Header=BB2_2633 Depth=1
	s_and_saveexec_b32 s11, s4
	s_cbranch_execz .LBB2_2673
; %bb.2661:                             ;   in Loop: Header=BB2_2633 Depth=1
	s_mov_b32 s13, exec_lo
	s_mov_b32 s12, exec_lo
	v_mbcnt_lo_u32_b32 v10, s13, 0
	global_wb scope:SCOPE_DEV
	s_wait_storecnt 0x0
	s_wait_loadcnt_dscnt 0x0
	global_inv scope:SCOPE_DEV
	v_cmpx_eq_u32_e32 0, v10
	s_cbranch_execz .LBB2_2663
; %bb.2662:                             ;   in Loop: Header=BB2_2633 Depth=1
	s_bcnt1_i32_b32 s13, s13
	s_delay_alu instid0(SALU_CYCLE_1)
	v_mov_b32_e32 v36, s13
	s_wait_loadcnt 0x0
	ds_add_u64 v0, v[36:37]
	s_trap 2
.LBB2_2663:                             ;   in Loop: Header=BB2_2633 Depth=1
	s_or_b32 exec_lo, exec_lo, s12
	s_trap 2
	ds_load_b64 v[10:11], v0
	s_wait_dscnt 0x0
	v_add_nc_u64_e32 v[28:29], v[28:29], v[38:39]
	s_mov_b32 s12, exec_lo
	s_delay_alu instid0(VALU_DEP_1)
	v_cmpx_lt_u64_e64 v[10:11], v[28:29]
	s_cbranch_execz .LBB2_2672
; %bb.2664:                             ;   in Loop: Header=BB2_2633 Depth=1
	s_mov_b32 s13, 0
	s_mov_b32 s41, 0
                                        ; implicit-def: $sgpr14
                                        ; implicit-def: $sgpr40
	s_branch .LBB2_2666
.LBB2_2665:                             ;   in Loop: Header=BB2_2666 Depth=2
	s_or_b32 exec_lo, exec_lo, s43
	s_delay_alu instid0(SALU_CYCLE_1) | instskip(NEXT) | instid1(SALU_CYCLE_1)
	s_and_b32 s42, exec_lo, s44
	s_or_b32 s13, s42, s13
	s_and_not1_b32 s14, s14, exec_lo
	s_and_b32 s42, s40, exec_lo
	s_delay_alu instid0(SALU_CYCLE_1)
	s_or_b32 s14, s14, s42
	s_and_not1_b32 exec_lo, exec_lo, s13
	s_cbranch_execz .LBB2_2670
.LBB2_2666:                             ;   Parent Loop BB2_2633 Depth=1
                                        ; =>  This Inner Loop Header: Depth=2
	s_add_co_i32 s41, s41, 1
	s_delay_alu instid0(SALU_CYCLE_1) | instskip(SKIP_1) | instid1(SALU_CYCLE_1)
	s_cmp_lg_u32 s41, 0x2710
	s_cselect_b32 s42, -1, 0
	s_and_b32 vcc_lo, exec_lo, s42
	s_cbranch_vccz .LBB2_2668
; %bb.2667:                             ;   in Loop: Header=BB2_2666 Depth=2
	s_mov_b32 s44, -1
	s_or_b32 s40, s40, exec_lo
	s_and_saveexec_b32 s43, s42
	s_cbranch_execz .LBB2_2665
	s_branch .LBB2_2669
.LBB2_2668:                             ;   in Loop: Header=BB2_2666 Depth=2
	s_trap 2
	ds_load_b64 v[10:11], v0
	s_and_not1_b32 s42, s42, exec_lo
	s_mov_b32 s41, 0
	s_wait_loadcnt_dscnt 0x0
	flat_load_b32 v10, v[10:11] scope:SCOPE_SYS
	s_wait_loadcnt_dscnt 0x0
	global_inv scope:SCOPE_SYS
	v_cmp_eq_u32_e32 vcc_lo, 0, v10
	s_and_b32 s43, vcc_lo, exec_lo
	s_delay_alu instid0(SALU_CYCLE_1)
	s_or_b32 s42, s42, s43
	s_mov_b32 s44, -1
	s_or_b32 s40, s40, exec_lo
	s_and_saveexec_b32 s43, s42
	s_cbranch_execz .LBB2_2665
.LBB2_2669:                             ;   in Loop: Header=BB2_2666 Depth=2
	s_sleep 1
	s_trap 2
	ds_load_b64 v[10:11], v0
	s_wait_dscnt 0x0
	s_and_not1_b32 s40, s40, exec_lo
	v_cmp_ge_u64_e32 vcc_lo, v[10:11], v[28:29]
	s_or_not1_b32 s44, vcc_lo, exec_lo
	s_branch .LBB2_2665
.LBB2_2670:                             ;   in Loop: Header=BB2_2633 Depth=1
	s_or_b32 exec_lo, exec_lo, s13
	s_and_saveexec_b32 s13, s14
	s_delay_alu instid0(SALU_CYCLE_1)
	s_xor_b32 s13, exec_lo, s13
	s_cbranch_execz .LBB2_2672
; %bb.2671:                             ;   in Loop: Header=BB2_2633 Depth=1
	ds_store_b32 v0, v44
	s_trap 2
.LBB2_2672:                             ;   in Loop: Header=BB2_2633 Depth=1
	s_or_b32 exec_lo, exec_lo, s12
	;;#ASMSTART
	s_wakeup
	;;#ASMEND
.LBB2_2673:                             ;   in Loop: Header=BB2_2633 Depth=1
	s_or_b32 exec_lo, exec_lo, s11
.LBB2_2674:                             ;   in Loop: Header=BB2_2633 Depth=1
	s_and_not1_saveexec_b32 s10, s10
	s_cbranch_execz .LBB2_2676
; %bb.2675:                             ;   in Loop: Header=BB2_2633 Depth=1
	global_wb scope:SCOPE_DEV
	s_wait_storecnt 0x0
	s_wait_loadcnt_dscnt 0x0
	global_inv scope:SCOPE_DEV
	s_barrier_signal -1
	s_barrier_wait -1
.LBB2_2676:                             ;   in Loop: Header=BB2_2633 Depth=1
	s_or_b32 exec_lo, exec_lo, s10
.LBB2_2677:                             ;   in Loop: Header=BB2_2633 Depth=1
	s_delay_alu instid0(SALU_CYCLE_1) | instskip(SKIP_3) | instid1(VALU_DEP_1)
	s_or_b32 exec_lo, exec_lo, s7
	s_trap 2
	ds_load_b32 v10, v0
	v_and_b32_e32 v11, 0x4000, v56
	v_cmp_ne_u32_e32 vcc_lo, 0, v11
	s_and_b32 s10, s26, vcc_lo
	s_delay_alu instid0(SALU_CYCLE_1)
	s_and_saveexec_b32 s7, s10
	s_cbranch_execz .LBB2_2696
; %bb.2678:                             ;   in Loop: Header=BB2_2633 Depth=1
	s_and_saveexec_b32 s10, s3
	s_delay_alu instid0(SALU_CYCLE_1)
	s_xor_b32 s10, exec_lo, s10
	s_cbranch_execz .LBB2_2693
; %bb.2679:                             ;   in Loop: Header=BB2_2633 Depth=1
	s_and_saveexec_b32 s11, s4
	s_cbranch_execz .LBB2_2692
; %bb.2680:                             ;   in Loop: Header=BB2_2633 Depth=1
	s_mov_b32 s13, exec_lo
	s_mov_b32 s12, exec_lo
	v_mbcnt_lo_u32_b32 v11, s13, 0
	global_wb scope:SCOPE_DEV
	s_wait_storecnt 0x0
	s_wait_loadcnt_dscnt 0x0
	global_inv scope:SCOPE_DEV
	v_cmpx_eq_u32_e32 0, v11
	s_cbranch_execz .LBB2_2682
; %bb.2681:                             ;   in Loop: Header=BB2_2633 Depth=1
	s_bcnt1_i32_b32 s13, s13
	s_delay_alu instid0(SALU_CYCLE_1)
	v_mov_b32_e32 v36, s13
	s_wait_loadcnt 0x0
	ds_add_u64 v0, v[36:37]
	s_trap 2
.LBB2_2682:                             ;   in Loop: Header=BB2_2633 Depth=1
	s_or_b32 exec_lo, exec_lo, s12
	s_trap 2
	ds_load_b64 v[12:13], v0
	s_wait_dscnt 0x0
	v_add_nc_u64_e32 v[28:29], v[28:29], v[38:39]
	s_mov_b32 s12, exec_lo
	s_delay_alu instid0(VALU_DEP_1)
	v_cmpx_lt_u64_e64 v[12:13], v[28:29]
	s_cbranch_execz .LBB2_2691
; %bb.2683:                             ;   in Loop: Header=BB2_2633 Depth=1
	s_mov_b32 s13, 0
	s_mov_b32 s41, 0
                                        ; implicit-def: $sgpr14
                                        ; implicit-def: $sgpr40
	s_branch .LBB2_2685
.LBB2_2684:                             ;   in Loop: Header=BB2_2685 Depth=2
	s_or_b32 exec_lo, exec_lo, s43
	s_delay_alu instid0(SALU_CYCLE_1) | instskip(NEXT) | instid1(SALU_CYCLE_1)
	s_and_b32 s42, exec_lo, s44
	s_or_b32 s13, s42, s13
	s_and_not1_b32 s14, s14, exec_lo
	s_and_b32 s42, s40, exec_lo
	s_delay_alu instid0(SALU_CYCLE_1)
	s_or_b32 s14, s14, s42
	s_and_not1_b32 exec_lo, exec_lo, s13
	s_cbranch_execz .LBB2_2689
.LBB2_2685:                             ;   Parent Loop BB2_2633 Depth=1
                                        ; =>  This Inner Loop Header: Depth=2
	s_add_co_i32 s41, s41, 1
	s_delay_alu instid0(SALU_CYCLE_1) | instskip(SKIP_1) | instid1(SALU_CYCLE_1)
	s_cmp_lg_u32 s41, 0x2710
	s_cselect_b32 s42, -1, 0
	s_and_b32 vcc_lo, exec_lo, s42
	s_cbranch_vccz .LBB2_2687
; %bb.2686:                             ;   in Loop: Header=BB2_2685 Depth=2
	s_mov_b32 s44, -1
	s_or_b32 s40, s40, exec_lo
	s_and_saveexec_b32 s43, s42
	s_cbranch_execz .LBB2_2684
	s_branch .LBB2_2688
.LBB2_2687:                             ;   in Loop: Header=BB2_2685 Depth=2
	s_trap 2
	ds_load_b64 v[12:13], v0
	s_and_not1_b32 s42, s42, exec_lo
	s_mov_b32 s41, 0
	s_wait_loadcnt_dscnt 0x0
	flat_load_b32 v11, v[12:13] scope:SCOPE_SYS
	s_wait_loadcnt_dscnt 0x0
	global_inv scope:SCOPE_SYS
	v_cmp_eq_u32_e32 vcc_lo, 0, v11
	s_and_b32 s43, vcc_lo, exec_lo
	s_delay_alu instid0(SALU_CYCLE_1)
	s_or_b32 s42, s42, s43
	s_mov_b32 s44, -1
	s_or_b32 s40, s40, exec_lo
	s_and_saveexec_b32 s43, s42
	s_cbranch_execz .LBB2_2684
.LBB2_2688:                             ;   in Loop: Header=BB2_2685 Depth=2
	s_sleep 1
	s_trap 2
	ds_load_b64 v[12:13], v0
	s_wait_dscnt 0x0
	s_and_not1_b32 s40, s40, exec_lo
	v_cmp_ge_u64_e32 vcc_lo, v[12:13], v[28:29]
	s_or_not1_b32 s44, vcc_lo, exec_lo
	s_branch .LBB2_2684
.LBB2_2689:                             ;   in Loop: Header=BB2_2633 Depth=1
	s_or_b32 exec_lo, exec_lo, s13
	s_and_saveexec_b32 s13, s14
	s_delay_alu instid0(SALU_CYCLE_1)
	s_xor_b32 s13, exec_lo, s13
	s_cbranch_execz .LBB2_2691
; %bb.2690:                             ;   in Loop: Header=BB2_2633 Depth=1
	ds_store_b32 v0, v44
	s_trap 2
.LBB2_2691:                             ;   in Loop: Header=BB2_2633 Depth=1
	s_or_b32 exec_lo, exec_lo, s12
	;;#ASMSTART
	s_wakeup
	;;#ASMEND
.LBB2_2692:                             ;   in Loop: Header=BB2_2633 Depth=1
	s_or_b32 exec_lo, exec_lo, s11
.LBB2_2693:                             ;   in Loop: Header=BB2_2633 Depth=1
	s_and_not1_saveexec_b32 s10, s10
	s_cbranch_execz .LBB2_2695
; %bb.2694:                             ;   in Loop: Header=BB2_2633 Depth=1
	global_wb scope:SCOPE_DEV
	s_wait_storecnt 0x0
	s_wait_loadcnt_dscnt 0x0
	global_inv scope:SCOPE_DEV
	s_barrier_signal -1
	s_barrier_wait -1
.LBB2_2695:                             ;   in Loop: Header=BB2_2633 Depth=1
	s_or_b32 exec_lo, exec_lo, s10
.LBB2_2696:                             ;   in Loop: Header=BB2_2633 Depth=1
	s_delay_alu instid0(SALU_CYCLE_1)
	s_or_b32 exec_lo, exec_lo, s7
	s_trap 2
	ds_load_b64 v[68:69], v0
	v_min_u32_e32 v67, v67, v66
	s_wait_dscnt 0x0
	v_cmp_eq_u64_e32 vcc_lo, 0, v[68:69]
	s_cbranch_vccnz .LBB2_2704
; %bb.2697:                             ;   in Loop: Header=BB2_2633 Depth=1
	s_trap 2
	ds_load_b64 v[70:71], v0
	s_wait_dscnt 0x0
	v_cmp_eq_u64_e32 vcc_lo, 0, v[70:71]
	s_cbranch_vccnz .LBB2_2704
; %bb.2698:                             ;   in Loop: Header=BB2_2633 Depth=1
	s_trap 2
	ds_load_b64 v[12:13], v0
	s_mov_b32 s7, -1
	s_wait_dscnt 0x0
	v_readfirstlane_b32 s40, v12
	s_and_saveexec_b32 s10, s5
	s_cbranch_execz .LBB2_2700
; %bb.2699:                             ;   in Loop: Header=BB2_2633 Depth=1
	ds_load_b32 v11, v0 offset:720
	s_wait_dscnt 0x0
	v_and_b32_e32 v11, 15, v11
	s_delay_alu instid0(VALU_DEP_1)
	v_cmp_eq_u32_e32 vcc_lo, 0, v11
	s_or_not1_b32 s7, vcc_lo, exec_lo
.LBB2_2700:                             ;   in Loop: Header=BB2_2633 Depth=1
	s_or_b32 exec_lo, exec_lo, s10
	s_and_saveexec_b32 s10, s6
	s_cbranch_execz .LBB2_2702
; %bb.2701:                             ;   in Loop: Header=BB2_2633 Depth=1
	ds_load_b32 v11, v0 offset:784
	s_wait_dscnt 0x0
	v_and_b32_e32 v11, 15, v11
	s_delay_alu instid0(VALU_DEP_1) | instskip(SKIP_3) | instid1(SALU_CYCLE_1)
	v_cmp_eq_u32_e32 vcc_lo, 0, v11
	s_and_b32 s11, s7, vcc_lo
	s_and_not1_b32 s7, s7, exec_lo
	s_and_b32 s11, s11, exec_lo
	s_or_b32 s7, s7, s11
.LBB2_2702:                             ;   in Loop: Header=BB2_2633 Depth=1
	s_or_b32 exec_lo, exec_lo, s10
	v_cmp_eq_u32_e32 vcc_lo, 0, v10
	s_xor_b32 s7, s7, -1
	s_mov_b32 s10, -1
	v_cndmask_b32_e64 v11, 0, 1, s7
	v_dual_mov_b32 v58, 0 :: v_dual_cndmask_b32 v47, 0, v67
	v_mov_b32_e32 v30, v0
	s_delay_alu instid0(VALU_DEP_3) | instskip(NEXT) | instid1(VALU_DEP_3)
	v_cmp_ne_u32_e32 vcc_lo, 0, v11
	v_mov_b32_e32 v59, v47
	s_cbranch_vccz .LBB2_2705
; %bb.2703:                             ;   in Loop: Header=BB2_2633 Depth=1
	s_and_saveexec_b32 s12, s10
	s_cbranch_execnz .LBB2_4508
	s_branch .LBB2_5128
.LBB2_2704:                             ;   in Loop: Header=BB2_2633 Depth=1
	s_mov_b32 s7, 0
	s_and_saveexec_b32 s10, s2
	s_cbranch_execnz .LBB2_5129
	s_branch .LBB2_5147
.LBB2_2705:                             ;   in Loop: Header=BB2_2633 Depth=1
	v_dual_lshrrev_b32 v10, 9, v47 :: v_dual_sub_nc_u32 v102, v47, v48
	v_and_b32_e32 v101, 0x1ff, v47
	s_mov_b32 s41, exec_lo
	s_delay_alu instid0(VALU_DEP_2) | instskip(NEXT) | instid1(VALU_DEP_2)
	v_sub_nc_u32_e32 v10, v10, v43
	v_cmp_lt_u32_e64 s7, 15, v101
	s_delay_alu instid0(VALU_DEP_1)
	v_add_co_ci_u32_e64 v100, null, 0, v10, s7
	v_cmpx_lt_i32_e32 15, v102
	s_cbranch_execz .LBB2_3605
; %bb.2706:                             ;   in Loop: Header=BB2_2633 Depth=1
	s_trap 2
	ds_load_b64 v[10:11], v0
	v_add_nc_u64_e32 v[80:81], v[68:69], v[48:49]
	v_add_nc_u64_e32 v[84:85], v[70:71], v[48:49]
	s_bitcmp1_b32 s40, 0
	s_mov_b32 s42, 0
	s_cselect_b32 s43, -1, 0
	s_wait_dscnt 0x0
	v_add_nc_u64_e32 v[82:83], v[10:11], v[48:49]
	s_branch .LBB2_2709
.LBB2_2707:                             ;   in Loop: Header=BB2_2709 Depth=2
	s_or_b32 exec_lo, exec_lo, s11
.LBB2_2708:                             ;   in Loop: Header=BB2_2709 Depth=2
	s_delay_alu instid0(SALU_CYCLE_1)
	s_or_b32 exec_lo, exec_lo, s10
	v_lshl_or_b32 v11, v98, 8, v115
	v_dual_lshlrev_b32 v12, 16, v96 :: v_dual_lshlrev_b32 v13, 24, v30
	v_lshl_or_b32 v15, v112, 8, v103
	v_dual_lshlrev_b32 v16, 16, v113 :: v_dual_lshlrev_b32 v17, 24, v114
	;; [unrolled: 2-line block ×3, first 2 shown]
	v_lshlrev_b32_e32 v96, 24, v10
	v_lshlrev_b32_e32 v14, 16, v14
	v_lshl_or_b32 v86, v86, 8, v118
	v_or3_b32 v11, v11, v12, v13
	v_or3_b32 v10, v15, v16, v17
	;; [unrolled: 1-line block ×3, first 2 shown]
	v_sub_nc_u32_e32 v102, v102, v50
	v_or3_b32 v13, v86, v14, v96
	v_add_nc_u64_e32 v[80:81], v[80:81], v[50:51]
	v_add_nc_u64_e32 v[82:83], v[82:83], v[50:51]
	v_sub_nc_u32_e32 v100, v100, v38
	v_cmp_gt_i32_e32 vcc_lo, 16, v102
	global_store_b128 v[84:85], v[10:13], off th:TH_STORE_NT
	s_wait_xcnt 0x0
	v_add_nc_u64_e32 v[84:85], v[84:85], v[50:51]
	s_or_b32 s42, vcc_lo, s42
	s_delay_alu instid0(SALU_CYCLE_1)
	s_and_not1_b32 exec_lo, exec_lo, s42
	s_cbranch_execz .LBB2_3604
.LBB2_2709:                             ;   Parent Loop BB2_2633 Depth=1
                                        ; =>  This Inner Loop Header: Depth=2
	global_load_b128 v[14:17], v[82:83], off th:TH_LOAD_NT
	global_load_b128 v[10:13], v[80:81], off th:TH_LOAD_NT
	s_mov_b32 s13, -1
	s_wait_loadcnt 0x1
	v_dual_lshlrev_b32 v87, 24, v14 :: v_dual_bitop2_b32 v30, 3, v14 bitop3:0x40
	v_bfe_i32 v98, v14, 0, 8
	v_and_b32_e32 v86, 0x7c, v14
	s_wait_loadcnt 0x0
	v_and_b32_e32 v97, 0xff, v10
	v_clz_i32_u32_e32 v36, v30
	v_bfe_i32 v99, v10, 0, 8
	v_cmp_lt_i16_e32 vcc_lo, -1, v98
	v_cmp_eq_u32_e64 s10, 0x7c, v86
	v_and_or_b32 v86, v87, s27, 0x38000000
	v_min_u32_e32 v96, 32, v36
	v_bfe_u32 v36, v14, 2, 5
	v_cndmask_b32_e32 v114, 0xff800000, v45, vcc_lo
	v_cmp_eq_u32_e32 vcc_lo, 0, v30
	v_cmp_ne_u16_e64 s12, 0, v97
	v_subrev_nc_u32_e32 v103, 29, v96
	v_cmp_eq_u32_e64 s11, 0, v36
	v_dual_cndmask_b32 v87, 0x7f800001, v114 :: v_dual_sub_nc_u32 v96, 30, v96
	s_and_b32 vcc_lo, exec_lo, s43
	v_lshlrev_b64_e32 v[112:113], v103, v[14:15]
	s_delay_alu instid0(VALU_DEP_1)
	v_and_b32_e32 v97, 3, v112
                                        ; implicit-def: $vgpr112
	s_cbranch_vccz .LBB2_2727
; %bb.2710:                             ;   in Loop: Header=BB2_2709 Depth=2
	v_mov_b32_e32 v103, 0
	s_wait_xcnt 0x0
	s_and_saveexec_b32 s13, s12
	s_cbranch_execz .LBB2_2720
; %bb.2711:                             ;   in Loop: Header=BB2_2709 Depth=2
	v_bfrev_b32_e32 v103, 1
	s_mov_b32 s14, exec_lo
	v_cmpx_ne_u16_e32 0xff80, v99
	s_cbranch_execz .LBB2_2719
; %bb.2712:                             ;   in Loop: Header=BB2_2709 Depth=2
	v_and_b32_e32 v103, 0x7c, v10
	v_and_b32_e32 v112, 3, v10
	s_delay_alu instid0(VALU_DEP_2) | instskip(SKIP_1) | instid1(SALU_CYCLE_1)
	v_cmp_ne_u32_e32 vcc_lo, 0x7c, v103
                                        ; implicit-def: $vgpr103
	s_and_saveexec_b32 s44, vcc_lo
	s_xor_b32 s44, exec_lo, s44
	s_cbranch_execz .LBB2_2716
; %bb.2713:                             ;   in Loop: Header=BB2_2709 Depth=2
	v_bfe_u32 v103, v10, 2, 5
	s_mov_b32 s45, exec_lo
	s_delay_alu instid0(VALU_DEP_1)
	v_cmpx_eq_u32_e32 0, v103
; %bb.2714:                             ;   in Loop: Header=BB2_2709 Depth=2
	v_clz_i32_u32_e32 v103, v112
	s_delay_alu instid0(VALU_DEP_1) | instskip(NEXT) | instid1(VALU_DEP_1)
	v_min_u32_e32 v103, 32, v103
	v_subrev_nc_u32_e32 v112, 29, v103
	s_delay_alu instid0(VALU_DEP_1) | instskip(NEXT) | instid1(VALU_DEP_1)
	v_lshlrev_b64_e32 v[112:113], v112, v[10:11]
	v_dual_sub_nc_u32 v103, 30, v103 :: v_dual_bitop2_b32 v112, 3, v112 bitop3:0x40
; %bb.2715:                             ;   in Loop: Header=BB2_2709 Depth=2
	s_or_b32 exec_lo, exec_lo, s45
	v_lshlrev_b32_e32 v113, 24, v10
	s_delay_alu instid0(VALU_DEP_1) | instskip(NEXT) | instid1(VALU_DEP_1)
	v_and_b32_e32 v113, 0x80000000, v113
	v_lshl_add_u32 v103, v103, 23, v113
	s_delay_alu instid0(VALU_DEP_1) | instskip(NEXT) | instid1(VALU_DEP_1)
	v_lshl_or_b32 v103, v112, 21, v103
                                        ; implicit-def: $vgpr112
	v_add_nc_u32_e32 v103, 0x38000000, v103
.LBB2_2716:                             ;   in Loop: Header=BB2_2709 Depth=2
	s_and_not1_saveexec_b32 s44, s44
; %bb.2717:                             ;   in Loop: Header=BB2_2709 Depth=2
	v_cmp_lt_i16_e32 vcc_lo, -1, v99
	v_cndmask_b32_e32 v103, 0xff800000, v45, vcc_lo
	v_cmp_eq_u32_e32 vcc_lo, 0, v112
	s_delay_alu instid0(VALU_DEP_2)
	v_cndmask_b32_e32 v103, 0x7f800001, v103, vcc_lo
; %bb.2718:                             ;   in Loop: Header=BB2_2709 Depth=2
	s_or_b32 exec_lo, exec_lo, s44
.LBB2_2719:                             ;   in Loop: Header=BB2_2709 Depth=2
	s_delay_alu instid0(SALU_CYCLE_1)
	s_or_b32 exec_lo, exec_lo, s14
.LBB2_2720:                             ;   in Loop: Header=BB2_2709 Depth=2
	s_delay_alu instid0(SALU_CYCLE_1) | instskip(SKIP_3) | instid1(VALU_DEP_1)
	s_or_b32 exec_lo, exec_lo, s13
	v_and_b32_e32 v113, 0xff, v98
	s_mov_b32 s13, 0
	s_mov_b32 s14, exec_lo
	v_cmpx_lt_i16_e32 0x7f, v113
	s_xor_b32 s14, exec_lo, s14
	s_cbranch_execz .LBB2_3556
; %bb.2721:                             ;   in Loop: Header=BB2_2709 Depth=2
	s_mov_b32 s13, -1
	s_mov_b32 s44, exec_lo
	v_cmpx_eq_u16_e32 0x80, v113
; %bb.2722:                             ;   in Loop: Header=BB2_2709 Depth=2
	s_xor_b32 s13, exec_lo, -1
; %bb.2723:                             ;   in Loop: Header=BB2_2709 Depth=2
	s_or_b32 exec_lo, exec_lo, s44
	s_delay_alu instid0(SALU_CYCLE_1)
	s_and_b32 s13, s13, exec_lo
                                        ; implicit-def: $vgpr113
	s_or_saveexec_b32 s14, s14
	v_bfrev_b32_e32 v112, 1
	s_xor_b32 exec_lo, exec_lo, s14
	s_cbranch_execnz .LBB2_3557
.LBB2_2724:                             ;   in Loop: Header=BB2_2709 Depth=2
	s_or_b32 exec_lo, exec_lo, s14
	s_and_saveexec_b32 s14, s13
.LBB2_2725:                             ;   in Loop: Header=BB2_2709 Depth=2
	v_dual_cndmask_b32 v112, v36, v96, s11 :: v_dual_cndmask_b32 v113, v30, v97, s11
	s_delay_alu instid0(VALU_DEP_1) | instskip(NEXT) | instid1(VALU_DEP_1)
	v_lshl_add_u32 v112, v112, 23, v86
	v_lshl_or_b32 v112, v113, 21, v112
	s_delay_alu instid0(VALU_DEP_1)
	v_cndmask_b32_e64 v112, v112, v87, s10
.LBB2_2726:                             ;   in Loop: Header=BB2_2709 Depth=2
	s_or_b32 exec_lo, exec_lo, s14
	s_delay_alu instid0(VALU_DEP_1) | instskip(SKIP_1) | instid1(VALU_DEP_1)
	v_dual_max_num_f32 v112, v112, v112 :: v_dual_max_num_f32 v103, v103, v103
	s_mov_b32 s13, 0
	v_max_num_f32_e32 v112, v103, v112
.LBB2_2727:                             ;   in Loop: Header=BB2_2709 Depth=2
	s_and_b32 vcc_lo, exec_lo, s13
	s_cbranch_vccz .LBB2_2745
; %bb.2728:                             ;   in Loop: Header=BB2_2709 Depth=2
	v_mov_b32_e32 v103, 0
	s_wait_xcnt 0x0
	s_and_saveexec_b32 s13, s12
	s_cbranch_execz .LBB2_2738
; %bb.2729:                             ;   in Loop: Header=BB2_2709 Depth=2
	v_bfrev_b32_e32 v103, 1
	s_mov_b32 s12, exec_lo
	v_cmpx_ne_u16_e32 0xff80, v99
	s_cbranch_execz .LBB2_2737
; %bb.2730:                             ;   in Loop: Header=BB2_2709 Depth=2
	v_and_b32_e32 v103, 0x7c, v10
	v_and_b32_e32 v112, 3, v10
	s_delay_alu instid0(VALU_DEP_2) | instskip(SKIP_1) | instid1(SALU_CYCLE_1)
	v_cmp_ne_u32_e32 vcc_lo, 0x7c, v103
                                        ; implicit-def: $vgpr103
	s_and_saveexec_b32 s14, vcc_lo
	s_xor_b32 s14, exec_lo, s14
	s_cbranch_execz .LBB2_2734
; %bb.2731:                             ;   in Loop: Header=BB2_2709 Depth=2
	v_bfe_u32 v99, v10, 2, 5
	s_mov_b32 s44, exec_lo
	s_delay_alu instid0(VALU_DEP_1)
	v_cmpx_eq_u32_e32 0, v99
; %bb.2732:                             ;   in Loop: Header=BB2_2709 Depth=2
	v_clz_i32_u32_e32 v99, v112
	s_delay_alu instid0(VALU_DEP_1) | instskip(NEXT) | instid1(VALU_DEP_1)
	v_min_u32_e32 v99, 32, v99
	v_subrev_nc_u32_e32 v103, 29, v99
	s_delay_alu instid0(VALU_DEP_1) | instskip(NEXT) | instid1(VALU_DEP_1)
	v_lshlrev_b64_e32 v[112:113], v103, v[10:11]
	v_dual_sub_nc_u32 v99, 30, v99 :: v_dual_bitop2_b32 v112, 3, v112 bitop3:0x40
; %bb.2733:                             ;   in Loop: Header=BB2_2709 Depth=2
	s_or_b32 exec_lo, exec_lo, s44
	v_lshlrev_b32_e32 v103, 24, v10
	s_delay_alu instid0(VALU_DEP_1) | instskip(NEXT) | instid1(VALU_DEP_1)
	v_and_b32_e32 v103, 0x80000000, v103
	v_lshl_add_u32 v99, v99, 23, v103
	s_delay_alu instid0(VALU_DEP_1) | instskip(NEXT) | instid1(VALU_DEP_1)
	v_lshl_or_b32 v99, v112, 21, v99
                                        ; implicit-def: $vgpr112
	v_add_nc_u32_e32 v103, 0x38000000, v99
                                        ; implicit-def: $vgpr99
.LBB2_2734:                             ;   in Loop: Header=BB2_2709 Depth=2
	s_and_not1_saveexec_b32 s14, s14
; %bb.2735:                             ;   in Loop: Header=BB2_2709 Depth=2
	v_cmp_lt_i16_e32 vcc_lo, -1, v99
	v_cndmask_b32_e32 v99, 0xff800000, v45, vcc_lo
	v_cmp_eq_u32_e32 vcc_lo, 0, v112
	s_delay_alu instid0(VALU_DEP_2)
	v_cndmask_b32_e32 v103, 0x7f800001, v99, vcc_lo
; %bb.2736:                             ;   in Loop: Header=BB2_2709 Depth=2
	s_or_b32 exec_lo, exec_lo, s14
.LBB2_2737:                             ;   in Loop: Header=BB2_2709 Depth=2
	s_delay_alu instid0(SALU_CYCLE_1)
	s_or_b32 exec_lo, exec_lo, s12
.LBB2_2738:                             ;   in Loop: Header=BB2_2709 Depth=2
	s_delay_alu instid0(SALU_CYCLE_1) | instskip(SKIP_3) | instid1(VALU_DEP_1)
	s_or_b32 exec_lo, exec_lo, s13
	v_and_b32_e32 v99, 0xff, v98
	s_mov_b32 s12, 0
	s_mov_b32 s13, exec_lo
	v_cmpx_lt_i16_e32 0x7f, v99
	s_xor_b32 s13, exec_lo, s13
	s_cbranch_execz .LBB2_3558
; %bb.2739:                             ;   in Loop: Header=BB2_2709 Depth=2
	s_mov_b32 s12, -1
	s_mov_b32 s14, exec_lo
	v_cmpx_eq_u16_e32 0x80, v99
; %bb.2740:                             ;   in Loop: Header=BB2_2709 Depth=2
	s_xor_b32 s12, exec_lo, -1
; %bb.2741:                             ;   in Loop: Header=BB2_2709 Depth=2
	s_or_b32 exec_lo, exec_lo, s14
	s_delay_alu instid0(SALU_CYCLE_1)
	s_and_b32 s12, s12, exec_lo
                                        ; implicit-def: $vgpr99
	s_or_saveexec_b32 s13, s13
	v_bfrev_b32_e32 v98, 1
	s_xor_b32 exec_lo, exec_lo, s13
	s_cbranch_execnz .LBB2_3559
.LBB2_2742:                             ;   in Loop: Header=BB2_2709 Depth=2
	s_or_b32 exec_lo, exec_lo, s13
	s_and_saveexec_b32 s13, s12
.LBB2_2743:                             ;   in Loop: Header=BB2_2709 Depth=2
	v_dual_cndmask_b32 v36, v36, v96, s11 :: v_dual_cndmask_b32 v30, v30, v97, s11
	s_delay_alu instid0(VALU_DEP_1) | instskip(NEXT) | instid1(VALU_DEP_1)
	v_lshl_add_u32 v36, v36, 23, v86
	v_lshl_or_b32 v30, v30, 21, v36
	s_delay_alu instid0(VALU_DEP_1)
	v_cndmask_b32_e64 v98, v30, v87, s10
.LBB2_2744:                             ;   in Loop: Header=BB2_2709 Depth=2
	s_or_b32 exec_lo, exec_lo, s13
	s_delay_alu instid0(VALU_DEP_1) | instskip(NEXT) | instid1(VALU_DEP_1)
	v_dual_max_num_f32 v30, v98, v98 :: v_dual_max_num_f32 v36, v103, v103
	v_min_num_f32_e32 v112, v36, v30
.LBB2_2745:                             ;   in Loop: Header=BB2_2709 Depth=2
	s_delay_alu instid0(VALU_DEP_1) | instskip(SKIP_4) | instid1(VALU_DEP_2)
	v_and_b32_e32 v86, 0x7f800000, v112
	v_dual_mov_b32 v87, v37 :: v_dual_lshrrev_b32 v30, 24, v112
	v_and_b32_e32 v36, 0x7fffff, v112
                                        ; implicit-def: $vgpr103
	s_mov_b32 s10, exec_lo
	s_wait_xcnt 0x0
	v_cmpx_ne_u64_e32 0x7f800000, v[86:87]
	s_xor_b32 s11, exec_lo, s10
	s_cbranch_execz .LBB2_2759
; %bb.2746:                             ;   in Loop: Header=BB2_2709 Depth=2
	v_and_b32_e32 v86, 0x7fffffff, v112
	v_mov_b32_e32 v87, v37
	v_and_b32_e32 v30, 0x80, v30
                                        ; implicit-def: $vgpr103
	s_mov_b32 s10, exec_lo
	s_delay_alu instid0(VALU_DEP_2)
	v_cmpx_gt_u64_e32 0x47600001, v[86:87]
	s_xor_b32 s12, exec_lo, s10
	s_cbranch_execz .LBB2_2756
; %bb.2747:                             ;   in Loop: Header=BB2_2709 Depth=2
	v_mov_b32_e32 v103, 0
	s_mov_b32 s13, exec_lo
	v_cmpx_ne_u32_e32 0, v112
	s_cbranch_execz .LBB2_2755
; %bb.2748:                             ;   in Loop: Header=BB2_2709 Depth=2
	v_bfe_u32 v98, v112, 23, 8
	v_or_b32_e32 v96, 0x800000, v36
	s_delay_alu instid0(VALU_DEP_2) | instskip(SKIP_1) | instid1(VALU_DEP_2)
	v_sub_nc_u32_e32 v86, 0x71, v98
	v_cmp_gt_u32_e32 vcc_lo, 0x72, v98
	v_cndmask_b32_e32 v86, 0, v86, vcc_lo
	v_cmp_eq_u32_e32 vcc_lo, 0, v98
	s_delay_alu instid0(VALU_DEP_2) | instskip(NEXT) | instid1(VALU_DEP_1)
	v_cndmask_b32_e64 v99, v86, 0x70, vcc_lo
	v_dual_cndmask_b32 v36, v96, v36, vcc_lo :: v_dual_add_nc_u32 v86, 21, v99
	v_add_nc_u32_e32 v97, 20, v99
	s_delay_alu instid0(VALU_DEP_2) | instskip(NEXT) | instid1(VALU_DEP_2)
	v_lshlrev_b64_e64 v[86:87], v86, -1
	v_lshlrev_b64_e64 v[96:97], v97, 1
	s_delay_alu instid0(VALU_DEP_2) | instskip(NEXT) | instid1(VALU_DEP_3)
	v_bfi_b32 v113, v87, 0, 0
	v_bfi_b32 v112, v86, 0, v36
	v_lshrrev_b64 v[86:87], v99, v[36:37]
	s_delay_alu instid0(VALU_DEP_2) | instskip(NEXT) | instid1(VALU_DEP_2)
	v_cmp_eq_u64_e64 s10, v[112:113], v[96:97]
	v_mov_b64_e32 v[96:97], v[86:87]
	s_and_saveexec_b32 s14, s10
; %bb.2749:                             ;   in Loop: Header=BB2_2709 Depth=2
	v_bfe_u32 v36, v86, 21, 1
	s_delay_alu instid0(VALU_DEP_1) | instskip(NEXT) | instid1(VALU_DEP_1)
	v_add_nc_u64_e32 v[96:97], v[86:87], v[36:37]
	v_add_nc_u64_e32 v[96:97], -1, v[96:97]
; %bb.2750:                             ;   in Loop: Header=BB2_2709 Depth=2
	s_or_b32 exec_lo, exec_lo, s14
	v_add_nc_u32_e32 v36, 0xffffff81, v98
	v_lshrrev_b32_e32 v87, 23, v86
	s_mov_b32 s10, exec_lo
	s_delay_alu instid0(VALU_DEP_2) | instskip(NEXT) | instid1(VALU_DEP_1)
	v_cndmask_b32_e64 v36, v36, 0xffffff82, vcc_lo
	v_add3_u32 v97, v99, v36, v87
	v_and_b32_e32 v36, 0x1fffff, v96
                                        ; implicit-def: $vgpr96
	s_delay_alu instid0(VALU_DEP_1) | instskip(NEXT) | instid1(VALU_DEP_1)
	v_dual_add_nc_u32 v98, 14, v97 :: v_dual_add_nc_u32 v36, v36, v86
                                        ; implicit-def: $vgpr86_vgpr87
	v_cmpx_ne_u32_e32 0, v98
	s_xor_b32 s10, exec_lo, s10
; %bb.2751:                             ;   in Loop: Header=BB2_2709 Depth=2
	s_delay_alu instid0(VALU_DEP_2) | instskip(SKIP_1) | instid1(VALU_DEP_1)
	v_cmp_lt_u64_e32 vcc_lo, 0xffffff, v[36:37]
	v_add_nc_u32_e32 v86, 15, v97
	v_cndmask_b32_e32 v96, v98, v86, vcc_lo
	v_cndmask_b32_e64 v86, 0, 1, vcc_lo
	s_delay_alu instid0(VALU_DEP_1)
	v_lshrrev_b64 v[86:87], v86, v[36:37]
; %bb.2752:                             ;   in Loop: Header=BB2_2709 Depth=2
	s_and_not1_saveexec_b32 s10, s10
; %bb.2753:                             ;   in Loop: Header=BB2_2709 Depth=2
	v_mov_b64_e32 v[86:87], v[36:37]
	v_bfe_u32 v96, v36, 23, 1
; %bb.2754:                             ;   in Loop: Header=BB2_2709 Depth=2
	s_or_b32 exec_lo, exec_lo, s10
	s_delay_alu instid0(VALU_DEP_2) | instskip(NEXT) | instid1(VALU_DEP_2)
	v_lshrrev_b64 v[86:87], 21, v[86:87]
	v_cmp_gt_i32_e32 vcc_lo, 32, v96
	v_min_i32_e32 v36, 31, v96
	v_cmp_eq_u32_e64 s10, 0, v96
	s_delay_alu instid0(VALU_DEP_2) | instskip(SKIP_1) | instid1(VALU_DEP_2)
	v_dual_cndmask_b32 v87, 0, v87 :: v_dual_lshlrev_b32 v36, 2, v36
	v_cndmask_b32_e32 v86, 3, v86, vcc_lo
	v_and_b32_e32 v36, 0xfc, v36
	s_delay_alu instid0(VALU_DEP_2) | instskip(NEXT) | instid1(VALU_DEP_2)
	v_cmp_eq_u64_e32 vcc_lo, 0, v[86:87]
	v_and_or_b32 v36, v86, 3, v36
	s_and_b32 s10, s10, vcc_lo
	s_delay_alu instid0(VALU_DEP_1) | instid1(SALU_CYCLE_1)
	v_cndmask_b32_e64 v36, v36, 0, s10
	s_delay_alu instid0(VALU_DEP_1)
	v_or_b32_e32 v103, v36, v30
.LBB2_2755:                             ;   in Loop: Header=BB2_2709 Depth=2
	s_or_b32 exec_lo, exec_lo, s13
                                        ; implicit-def: $vgpr30
.LBB2_2756:                             ;   in Loop: Header=BB2_2709 Depth=2
	s_and_not1_saveexec_b32 s10, s12
; %bb.2757:                             ;   in Loop: Header=BB2_2709 Depth=2
	v_or_b32_e32 v103, 0x7b, v30
; %bb.2758:                             ;   in Loop: Header=BB2_2709 Depth=2
	s_or_b32 exec_lo, exec_lo, s10
                                        ; implicit-def: $vgpr112
                                        ; implicit-def: $vgpr30
.LBB2_2759:                             ;   in Loop: Header=BB2_2709 Depth=2
	s_and_not1_saveexec_b32 s10, s11
	s_cbranch_execz .LBB2_2765
; %bb.2760:                             ;   in Loop: Header=BB2_2709 Depth=2
	s_mov_b32 s11, exec_lo
                                        ; implicit-def: $vgpr103
	v_cmpx_ne_u64_e32 0, v[36:37]
	s_xor_b32 s11, exec_lo, s11
; %bb.2761:                             ;   in Loop: Header=BB2_2709 Depth=2
	v_or_b32_e32 v103, 0x7f, v30
                                        ; implicit-def: $vgpr112
; %bb.2762:                             ;   in Loop: Header=BB2_2709 Depth=2
	s_and_not1_saveexec_b32 s11, s11
; %bb.2763:                             ;   in Loop: Header=BB2_2709 Depth=2
	v_cmp_lt_i32_e32 vcc_lo, -1, v112
	v_cndmask_b32_e32 v103, 0xfc, v46, vcc_lo
; %bb.2764:                             ;   in Loop: Header=BB2_2709 Depth=2
	s_or_b32 exec_lo, exec_lo, s11
.LBB2_2765:                             ;   in Loop: Header=BB2_2709 Depth=2
	s_delay_alu instid0(SALU_CYCLE_1) | instskip(SKIP_3) | instid1(VALU_DEP_2)
	s_or_b32 exec_lo, exec_lo, s10
	v_lshrrev_b16 v36, 8, v14
	v_cmp_lt_i16_e32 vcc_lo, -1, v14
	s_mov_b32 s13, -1
	v_and_b32_e32 v87, 0xffff, v36
	s_delay_alu instid0(VALU_DEP_1) | instskip(SKIP_2) | instid1(VALU_DEP_3)
	v_dual_lshlrev_b32 v97, 24, v36 :: v_dual_bitop2_b32 v30, 3, v87 bitop3:0x40
	v_and_b32_e32 v116, 0x7c, v87
	v_bfe_u32 v96, v87, 2, 5
                                        ; implicit-def: $vgpr87
	v_and_or_b32 v97, v97, s27, 0x38000000
	s_delay_alu instid0(VALU_DEP_4) | instskip(NEXT) | instid1(VALU_DEP_4)
	v_clz_i32_u32_e32 v86, v30
	v_cmp_eq_u32_e64 s10, 0x7c, v116
	s_delay_alu instid0(VALU_DEP_4) | instskip(NEXT) | instid1(VALU_DEP_3)
	v_cmp_eq_u32_e64 s11, 0, v96
	v_min_u32_e32 v99, 32, v86
	v_lshrrev_b16 v86, 8, v10
	v_cndmask_b32_e32 v98, 0xff800000, v45, vcc_lo
	v_cmp_eq_u32_e32 vcc_lo, 0, v30
	s_delay_alu instid0(VALU_DEP_4) | instskip(NEXT) | instid1(VALU_DEP_4)
	v_subrev_nc_u32_e32 v112, 29, v99
	v_and_b32_e32 v113, 0xffff, v86
	v_cmp_ne_u16_e64 s12, 0, v86
	v_dual_cndmask_b32 v98, 0x7f800001, v98 :: v_dual_sub_nc_u32 v99, 30, v99
	s_delay_alu instid0(VALU_DEP_4) | instskip(SKIP_1) | instid1(VALU_DEP_1)
	v_lshlrev_b64_e32 v[114:115], v112, v[36:37]
	s_and_b32 vcc_lo, exec_lo, s43
	v_and_b32_e32 v112, 3, v114
	s_cbranch_vccz .LBB2_2783
; %bb.2766:                             ;   in Loop: Header=BB2_2709 Depth=2
	v_mov_b32_e32 v87, 0
	s_and_saveexec_b32 s13, s12
	s_cbranch_execz .LBB2_2776
; %bb.2767:                             ;   in Loop: Header=BB2_2709 Depth=2
	v_bfrev_b32_e32 v87, 1
	s_mov_b32 s14, exec_lo
	v_cmpx_ne_u16_e32 0x80, v86
	s_cbranch_execz .LBB2_2775
; %bb.2768:                             ;   in Loop: Header=BB2_2709 Depth=2
	v_and_b32_e32 v87, 0x7c, v113
	v_and_b32_e32 v114, 3, v113
	s_delay_alu instid0(VALU_DEP_2) | instskip(SKIP_1) | instid1(SALU_CYCLE_1)
	v_cmp_ne_u32_e32 vcc_lo, 0x7c, v87
                                        ; implicit-def: $vgpr87
	s_and_saveexec_b32 s44, vcc_lo
	s_xor_b32 s44, exec_lo, s44
	s_cbranch_execz .LBB2_2772
; %bb.2769:                             ;   in Loop: Header=BB2_2709 Depth=2
	v_bfe_u32 v87, v113, 2, 5
	s_mov_b32 s45, exec_lo
	s_delay_alu instid0(VALU_DEP_1)
	v_cmpx_eq_u32_e32 0, v87
; %bb.2770:                             ;   in Loop: Header=BB2_2709 Depth=2
	v_clz_i32_u32_e32 v87, v114
	s_delay_alu instid0(VALU_DEP_1) | instskip(SKIP_1) | instid1(VALU_DEP_2)
	v_min_u32_e32 v116, 32, v87
	v_mov_b32_e32 v87, v37
	v_subrev_nc_u32_e32 v114, 29, v116
	s_delay_alu instid0(VALU_DEP_1) | instskip(NEXT) | instid1(VALU_DEP_1)
	v_lshlrev_b64_e32 v[114:115], v114, v[86:87]
	v_dual_sub_nc_u32 v87, 30, v116 :: v_dual_bitop2_b32 v114, 3, v114 bitop3:0x40
; %bb.2771:                             ;   in Loop: Header=BB2_2709 Depth=2
	s_or_b32 exec_lo, exec_lo, s45
	v_lshlrev_b32_e32 v115, 16, v10
	s_delay_alu instid0(VALU_DEP_1) | instskip(NEXT) | instid1(VALU_DEP_1)
	v_and_b32_e32 v115, 0x80000000, v115
	v_lshl_add_u32 v87, v87, 23, v115
	s_delay_alu instid0(VALU_DEP_1) | instskip(NEXT) | instid1(VALU_DEP_1)
	v_lshl_or_b32 v87, v114, 21, v87
                                        ; implicit-def: $vgpr114
	v_add_nc_u32_e32 v87, 0x38000000, v87
.LBB2_2772:                             ;   in Loop: Header=BB2_2709 Depth=2
	s_and_not1_saveexec_b32 s44, s44
; %bb.2773:                             ;   in Loop: Header=BB2_2709 Depth=2
	v_cmp_lt_i16_e32 vcc_lo, -1, v10
	v_cndmask_b32_e32 v87, 0xff800000, v45, vcc_lo
	v_cmp_eq_u32_e32 vcc_lo, 0, v114
	s_delay_alu instid0(VALU_DEP_2)
	v_cndmask_b32_e32 v87, 0x7f800001, v87, vcc_lo
; %bb.2774:                             ;   in Loop: Header=BB2_2709 Depth=2
	s_or_b32 exec_lo, exec_lo, s44
.LBB2_2775:                             ;   in Loop: Header=BB2_2709 Depth=2
	s_delay_alu instid0(SALU_CYCLE_1)
	s_or_b32 exec_lo, exec_lo, s14
.LBB2_2776:                             ;   in Loop: Header=BB2_2709 Depth=2
	s_delay_alu instid0(SALU_CYCLE_1)
	s_or_b32 exec_lo, exec_lo, s13
	s_mov_b32 s13, 0
	s_mov_b32 s14, exec_lo
	v_cmpx_lt_i16_e32 0x7f, v36
	s_xor_b32 s14, exec_lo, s14
	s_cbranch_execz .LBB2_3560
; %bb.2777:                             ;   in Loop: Header=BB2_2709 Depth=2
	s_mov_b32 s13, -1
	s_mov_b32 s44, exec_lo
	v_cmpx_eq_u16_e32 0x80, v36
; %bb.2778:                             ;   in Loop: Header=BB2_2709 Depth=2
	s_xor_b32 s13, exec_lo, -1
; %bb.2779:                             ;   in Loop: Header=BB2_2709 Depth=2
	s_or_b32 exec_lo, exec_lo, s44
	s_delay_alu instid0(SALU_CYCLE_1)
	s_and_b32 s13, s13, exec_lo
	s_or_saveexec_b32 s14, s14
	v_bfrev_b32_e32 v114, 1
	s_xor_b32 exec_lo, exec_lo, s14
	s_cbranch_execnz .LBB2_3561
.LBB2_2780:                             ;   in Loop: Header=BB2_2709 Depth=2
	s_or_b32 exec_lo, exec_lo, s14
	s_and_saveexec_b32 s14, s13
.LBB2_2781:                             ;   in Loop: Header=BB2_2709 Depth=2
	v_dual_cndmask_b32 v114, v96, v99, s11 :: v_dual_cndmask_b32 v115, v30, v112, s11
	s_delay_alu instid0(VALU_DEP_1) | instskip(NEXT) | instid1(VALU_DEP_1)
	v_lshl_add_u32 v114, v114, 23, v97
	v_lshl_or_b32 v114, v115, 21, v114
	s_delay_alu instid0(VALU_DEP_1)
	v_cndmask_b32_e64 v114, v114, v98, s10
.LBB2_2782:                             ;   in Loop: Header=BB2_2709 Depth=2
	s_or_b32 exec_lo, exec_lo, s14
	s_delay_alu instid0(VALU_DEP_1) | instskip(SKIP_1) | instid1(VALU_DEP_1)
	v_dual_max_num_f32 v114, v114, v114 :: v_dual_max_num_f32 v87, v87, v87
	s_mov_b32 s13, 0
	v_max_num_f32_e32 v87, v87, v114
.LBB2_2783:                             ;   in Loop: Header=BB2_2709 Depth=2
	s_and_b32 vcc_lo, exec_lo, s13
	s_cbranch_vccz .LBB2_2801
; %bb.2784:                             ;   in Loop: Header=BB2_2709 Depth=2
	v_mov_b32_e32 v87, 0
	s_and_saveexec_b32 s13, s12
	s_cbranch_execz .LBB2_2794
; %bb.2785:                             ;   in Loop: Header=BB2_2709 Depth=2
	v_bfrev_b32_e32 v87, 1
	s_mov_b32 s12, exec_lo
	v_cmpx_ne_u16_e32 0x80, v86
	s_cbranch_execz .LBB2_2793
; %bb.2786:                             ;   in Loop: Header=BB2_2709 Depth=2
	v_and_b32_e32 v87, 0x7c, v113
	v_and_b32_e32 v114, 3, v113
	s_delay_alu instid0(VALU_DEP_2) | instskip(SKIP_1) | instid1(SALU_CYCLE_1)
	v_cmp_ne_u32_e32 vcc_lo, 0x7c, v87
                                        ; implicit-def: $vgpr87
	s_and_saveexec_b32 s14, vcc_lo
	s_xor_b32 s14, exec_lo, s14
	s_cbranch_execz .LBB2_2790
; %bb.2787:                             ;   in Loop: Header=BB2_2709 Depth=2
	v_bfe_u32 v87, v113, 2, 5
	s_mov_b32 s44, exec_lo
	s_delay_alu instid0(VALU_DEP_1)
	v_cmpx_eq_u32_e32 0, v87
; %bb.2788:                             ;   in Loop: Header=BB2_2709 Depth=2
	v_clz_i32_u32_e32 v87, v114
	s_delay_alu instid0(VALU_DEP_1) | instskip(SKIP_1) | instid1(VALU_DEP_2)
	v_min_u32_e32 v113, 32, v87
	v_mov_b32_e32 v87, v37
	v_subrev_nc_u32_e32 v114, 29, v113
	s_delay_alu instid0(VALU_DEP_1) | instskip(NEXT) | instid1(VALU_DEP_1)
	v_lshlrev_b64_e32 v[86:87], v114, v[86:87]
	v_dual_sub_nc_u32 v87, 30, v113 :: v_dual_bitop2_b32 v114, 3, v86 bitop3:0x40
; %bb.2789:                             ;   in Loop: Header=BB2_2709 Depth=2
	s_or_b32 exec_lo, exec_lo, s44
	v_lshlrev_b32_e32 v86, 16, v10
	s_delay_alu instid0(VALU_DEP_1) | instskip(NEXT) | instid1(VALU_DEP_1)
	v_and_b32_e32 v86, 0x80000000, v86
	v_lshl_add_u32 v86, v87, 23, v86
	s_delay_alu instid0(VALU_DEP_1) | instskip(NEXT) | instid1(VALU_DEP_1)
	v_lshl_or_b32 v86, v114, 21, v86
                                        ; implicit-def: $vgpr114
	v_add_nc_u32_e32 v87, 0x38000000, v86
.LBB2_2790:                             ;   in Loop: Header=BB2_2709 Depth=2
	s_and_not1_saveexec_b32 s14, s14
; %bb.2791:                             ;   in Loop: Header=BB2_2709 Depth=2
	v_cmp_lt_i16_e32 vcc_lo, -1, v10
	v_cndmask_b32_e32 v86, 0xff800000, v45, vcc_lo
	v_cmp_eq_u32_e32 vcc_lo, 0, v114
	s_delay_alu instid0(VALU_DEP_2)
	v_cndmask_b32_e32 v87, 0x7f800001, v86, vcc_lo
; %bb.2792:                             ;   in Loop: Header=BB2_2709 Depth=2
	s_or_b32 exec_lo, exec_lo, s14
.LBB2_2793:                             ;   in Loop: Header=BB2_2709 Depth=2
	s_delay_alu instid0(SALU_CYCLE_1)
	s_or_b32 exec_lo, exec_lo, s12
.LBB2_2794:                             ;   in Loop: Header=BB2_2709 Depth=2
	s_delay_alu instid0(SALU_CYCLE_1)
	s_or_b32 exec_lo, exec_lo, s13
	s_mov_b32 s12, 0
	s_mov_b32 s13, exec_lo
	v_cmpx_lt_i16_e32 0x7f, v36
	s_xor_b32 s13, exec_lo, s13
	s_cbranch_execz .LBB2_3562
; %bb.2795:                             ;   in Loop: Header=BB2_2709 Depth=2
	s_mov_b32 s12, -1
	s_mov_b32 s14, exec_lo
	v_cmpx_eq_u16_e32 0x80, v36
; %bb.2796:                             ;   in Loop: Header=BB2_2709 Depth=2
	s_xor_b32 s12, exec_lo, -1
; %bb.2797:                             ;   in Loop: Header=BB2_2709 Depth=2
	s_or_b32 exec_lo, exec_lo, s14
	s_delay_alu instid0(SALU_CYCLE_1)
	s_and_b32 s12, s12, exec_lo
	s_or_saveexec_b32 s13, s13
	v_bfrev_b32_e32 v86, 1
	s_xor_b32 exec_lo, exec_lo, s13
	s_cbranch_execnz .LBB2_3563
.LBB2_2798:                             ;   in Loop: Header=BB2_2709 Depth=2
	s_or_b32 exec_lo, exec_lo, s13
	s_and_saveexec_b32 s13, s12
.LBB2_2799:                             ;   in Loop: Header=BB2_2709 Depth=2
	v_dual_cndmask_b32 v36, v96, v99, s11 :: v_dual_cndmask_b32 v30, v30, v112, s11
	s_delay_alu instid0(VALU_DEP_1) | instskip(NEXT) | instid1(VALU_DEP_1)
	v_lshl_add_u32 v36, v36, 23, v97
	v_lshl_or_b32 v30, v30, 21, v36
	s_delay_alu instid0(VALU_DEP_1)
	v_cndmask_b32_e64 v86, v30, v98, s10
.LBB2_2800:                             ;   in Loop: Header=BB2_2709 Depth=2
	s_or_b32 exec_lo, exec_lo, s13
	s_delay_alu instid0(VALU_DEP_1) | instskip(NEXT) | instid1(VALU_DEP_1)
	v_dual_max_num_f32 v30, v86, v86 :: v_dual_max_num_f32 v36, v87, v87
	v_min_num_f32_e32 v87, v36, v30
.LBB2_2801:                             ;   in Loop: Header=BB2_2709 Depth=2
	s_delay_alu instid0(VALU_DEP_1) | instskip(SKIP_3) | instid1(VALU_DEP_2)
	v_and_b32_e32 v96, 0x7f800000, v87
	v_dual_mov_b32 v97, v37 :: v_dual_lshrrev_b32 v30, 24, v87
	v_and_b32_e32 v36, 0x7fffff, v87
                                        ; implicit-def: $vgpr112
	s_mov_b32 s10, exec_lo
	v_cmpx_ne_u64_e32 0x7f800000, v[96:97]
	s_xor_b32 s11, exec_lo, s10
	s_cbranch_execz .LBB2_2815
; %bb.2802:                             ;   in Loop: Header=BB2_2709 Depth=2
	v_and_b32_e32 v96, 0x7fffffff, v87
	v_mov_b32_e32 v97, v37
	v_and_b32_e32 v30, 0x80, v30
                                        ; implicit-def: $vgpr112
	s_mov_b32 s10, exec_lo
	s_delay_alu instid0(VALU_DEP_2)
	v_cmpx_gt_u64_e32 0x47600001, v[96:97]
	s_xor_b32 s12, exec_lo, s10
	s_cbranch_execz .LBB2_2812
; %bb.2803:                             ;   in Loop: Header=BB2_2709 Depth=2
	v_mov_b32_e32 v112, 0
	s_mov_b32 s13, exec_lo
	v_cmpx_ne_u32_e32 0, v87
	s_cbranch_execz .LBB2_2811
; %bb.2804:                             ;   in Loop: Header=BB2_2709 Depth=2
	v_bfe_u32 v98, v87, 23, 8
	v_or_b32_e32 v96, 0x800000, v36
	s_delay_alu instid0(VALU_DEP_2) | instskip(SKIP_1) | instid1(VALU_DEP_2)
	v_sub_nc_u32_e32 v86, 0x71, v98
	v_cmp_gt_u32_e32 vcc_lo, 0x72, v98
	v_cndmask_b32_e32 v86, 0, v86, vcc_lo
	v_cmp_eq_u32_e32 vcc_lo, 0, v98
	s_delay_alu instid0(VALU_DEP_2) | instskip(NEXT) | instid1(VALU_DEP_1)
	v_cndmask_b32_e64 v99, v86, 0x70, vcc_lo
	v_dual_cndmask_b32 v36, v96, v36, vcc_lo :: v_dual_add_nc_u32 v86, 21, v99
	v_add_nc_u32_e32 v97, 20, v99
	s_delay_alu instid0(VALU_DEP_2) | instskip(NEXT) | instid1(VALU_DEP_2)
	v_lshlrev_b64_e64 v[86:87], v86, -1
	v_lshlrev_b64_e64 v[96:97], v97, 1
	s_delay_alu instid0(VALU_DEP_2) | instskip(NEXT) | instid1(VALU_DEP_3)
	v_bfi_b32 v113, v87, 0, 0
	v_bfi_b32 v112, v86, 0, v36
	v_lshrrev_b64 v[86:87], v99, v[36:37]
	s_delay_alu instid0(VALU_DEP_2) | instskip(NEXT) | instid1(VALU_DEP_2)
	v_cmp_eq_u64_e64 s10, v[112:113], v[96:97]
	v_mov_b64_e32 v[96:97], v[86:87]
	s_and_saveexec_b32 s14, s10
; %bb.2805:                             ;   in Loop: Header=BB2_2709 Depth=2
	v_bfe_u32 v36, v86, 21, 1
	s_delay_alu instid0(VALU_DEP_1) | instskip(NEXT) | instid1(VALU_DEP_1)
	v_add_nc_u64_e32 v[96:97], v[86:87], v[36:37]
	v_add_nc_u64_e32 v[96:97], -1, v[96:97]
; %bb.2806:                             ;   in Loop: Header=BB2_2709 Depth=2
	s_or_b32 exec_lo, exec_lo, s14
	v_add_nc_u32_e32 v36, 0xffffff81, v98
	v_lshrrev_b32_e32 v87, 23, v86
	s_mov_b32 s10, exec_lo
	s_delay_alu instid0(VALU_DEP_2) | instskip(NEXT) | instid1(VALU_DEP_1)
	v_cndmask_b32_e64 v36, v36, 0xffffff82, vcc_lo
	v_add3_u32 v97, v99, v36, v87
	v_and_b32_e32 v36, 0x1fffff, v96
                                        ; implicit-def: $vgpr96
	s_delay_alu instid0(VALU_DEP_1) | instskip(NEXT) | instid1(VALU_DEP_1)
	v_dual_add_nc_u32 v98, 14, v97 :: v_dual_add_nc_u32 v36, v36, v86
                                        ; implicit-def: $vgpr86_vgpr87
	v_cmpx_ne_u32_e32 0, v98
	s_xor_b32 s10, exec_lo, s10
; %bb.2807:                             ;   in Loop: Header=BB2_2709 Depth=2
	s_delay_alu instid0(VALU_DEP_2) | instskip(SKIP_1) | instid1(VALU_DEP_1)
	v_cmp_lt_u64_e32 vcc_lo, 0xffffff, v[36:37]
	v_add_nc_u32_e32 v86, 15, v97
	v_cndmask_b32_e32 v96, v98, v86, vcc_lo
	v_cndmask_b32_e64 v86, 0, 1, vcc_lo
	s_delay_alu instid0(VALU_DEP_1)
	v_lshrrev_b64 v[86:87], v86, v[36:37]
; %bb.2808:                             ;   in Loop: Header=BB2_2709 Depth=2
	s_and_not1_saveexec_b32 s10, s10
; %bb.2809:                             ;   in Loop: Header=BB2_2709 Depth=2
	v_mov_b64_e32 v[86:87], v[36:37]
	v_bfe_u32 v96, v36, 23, 1
; %bb.2810:                             ;   in Loop: Header=BB2_2709 Depth=2
	s_or_b32 exec_lo, exec_lo, s10
	s_delay_alu instid0(VALU_DEP_2) | instskip(NEXT) | instid1(VALU_DEP_2)
	v_lshrrev_b64 v[86:87], 21, v[86:87]
	v_cmp_gt_i32_e32 vcc_lo, 32, v96
	v_min_i32_e32 v36, 31, v96
	v_cmp_eq_u32_e64 s10, 0, v96
	s_delay_alu instid0(VALU_DEP_2) | instskip(SKIP_1) | instid1(VALU_DEP_2)
	v_dual_cndmask_b32 v87, 0, v87 :: v_dual_lshlrev_b32 v36, 2, v36
	v_cndmask_b32_e32 v86, 3, v86, vcc_lo
	v_and_b32_e32 v36, 0xfc, v36
	s_delay_alu instid0(VALU_DEP_2) | instskip(NEXT) | instid1(VALU_DEP_2)
	v_cmp_eq_u64_e32 vcc_lo, 0, v[86:87]
	v_and_or_b32 v36, v86, 3, v36
	s_and_b32 s10, s10, vcc_lo
	s_delay_alu instid0(VALU_DEP_1) | instid1(SALU_CYCLE_1)
	v_cndmask_b32_e64 v36, v36, 0, s10
	s_delay_alu instid0(VALU_DEP_1)
	v_or_b32_e32 v112, v36, v30
.LBB2_2811:                             ;   in Loop: Header=BB2_2709 Depth=2
	s_or_b32 exec_lo, exec_lo, s13
                                        ; implicit-def: $vgpr30
.LBB2_2812:                             ;   in Loop: Header=BB2_2709 Depth=2
	s_and_not1_saveexec_b32 s10, s12
; %bb.2813:                             ;   in Loop: Header=BB2_2709 Depth=2
	v_or_b32_e32 v112, 0x7b, v30
; %bb.2814:                             ;   in Loop: Header=BB2_2709 Depth=2
	s_or_b32 exec_lo, exec_lo, s10
                                        ; implicit-def: $vgpr87
                                        ; implicit-def: $vgpr30
.LBB2_2815:                             ;   in Loop: Header=BB2_2709 Depth=2
	s_and_not1_saveexec_b32 s10, s11
	s_cbranch_execz .LBB2_2821
; %bb.2816:                             ;   in Loop: Header=BB2_2709 Depth=2
	s_mov_b32 s11, exec_lo
                                        ; implicit-def: $vgpr112
	v_cmpx_ne_u64_e32 0, v[36:37]
	s_xor_b32 s11, exec_lo, s11
; %bb.2817:                             ;   in Loop: Header=BB2_2709 Depth=2
	v_or_b32_e32 v112, 0x7f, v30
                                        ; implicit-def: $vgpr87
; %bb.2818:                             ;   in Loop: Header=BB2_2709 Depth=2
	s_and_not1_saveexec_b32 s11, s11
; %bb.2819:                             ;   in Loop: Header=BB2_2709 Depth=2
	v_cmp_lt_i32_e32 vcc_lo, -1, v87
	v_cndmask_b32_e32 v112, 0xfc, v46, vcc_lo
; %bb.2820:                             ;   in Loop: Header=BB2_2709 Depth=2
	s_or_b32 exec_lo, exec_lo, s11
.LBB2_2821:                             ;   in Loop: Header=BB2_2709 Depth=2
	s_delay_alu instid0(SALU_CYCLE_1) | instskip(SKIP_4) | instid1(VALU_DEP_4)
	s_or_b32 exec_lo, exec_lo, s10
	v_bfe_u32 v36, v14, 16, 2
	v_dual_lshrrev_b32 v96, 16, v14 :: v_dual_lshlrev_b32 v98, 8, v14
	v_bfe_u32 v86, v14, 18, 5
	v_and_b32_e32 v87, 0x7c0000, v14
	v_clz_i32_u32_e32 v30, v36
	s_delay_alu instid0(VALU_DEP_4)
	v_bfe_i32 v99, v96, 0, 8
	s_mov_b32 s13, -1
	v_cmp_eq_u32_e64 s11, 0, v86
	v_cmp_eq_u32_e64 s10, 0x7c0000, v87
	v_min_u32_e32 v97, 32, v30
	v_lshrrev_b32_e32 v30, 16, v10
	v_cmp_lt_i16_e32 vcc_lo, -1, v99
	v_and_or_b32 v87, v98, s27, 0x38000000
	s_delay_alu instid0(VALU_DEP_4) | instskip(NEXT) | instid1(VALU_DEP_1)
	v_subrev_nc_u32_e32 v114, 29, v97
	v_lshlrev_b64_e32 v[114:115], v114, v[96:97]
	v_cndmask_b32_e32 v96, 0xff800000, v45, vcc_lo
	v_sub_nc_u32_e32 v97, 30, v97
	v_and_b32_e32 v113, 0xff, v30
	v_cmp_eq_u32_e32 vcc_lo, 0, v36
	v_and_b32_e32 v98, 3, v114
	s_delay_alu instid0(VALU_DEP_3)
	v_cmp_ne_u16_e64 s12, 0, v113
	v_cndmask_b32_e32 v96, 0x7f800001, v96, vcc_lo
	s_and_b32 vcc_lo, exec_lo, s43
                                        ; implicit-def: $vgpr114
	s_cbranch_vccz .LBB2_2839
; %bb.2822:                             ;   in Loop: Header=BB2_2709 Depth=2
	v_mov_b32_e32 v114, 0
	s_and_saveexec_b32 s13, s12
	s_cbranch_execz .LBB2_2832
; %bb.2823:                             ;   in Loop: Header=BB2_2709 Depth=2
	v_bfrev_b32_e32 v114, 1
	s_mov_b32 s14, exec_lo
	v_cmpx_ne_u16_e32 0x80, v113
	s_cbranch_execz .LBB2_2831
; %bb.2824:                             ;   in Loop: Header=BB2_2709 Depth=2
	v_and_b32_e32 v114, 0x7c0000, v10
	v_bfe_u32 v115, v10, 16, 2
	s_delay_alu instid0(VALU_DEP_2) | instskip(SKIP_1) | instid1(SALU_CYCLE_1)
	v_cmp_ne_u32_e32 vcc_lo, 0x7c0000, v114
                                        ; implicit-def: $vgpr114
	s_and_saveexec_b32 s44, vcc_lo
	s_xor_b32 s44, exec_lo, s44
	s_cbranch_execz .LBB2_2828
; %bb.2825:                             ;   in Loop: Header=BB2_2709 Depth=2
	v_bfe_u32 v114, v10, 18, 5
	s_mov_b32 s45, exec_lo
	s_delay_alu instid0(VALU_DEP_1)
	v_cmpx_eq_u32_e32 0, v114
; %bb.2826:                             ;   in Loop: Header=BB2_2709 Depth=2
	v_clz_i32_u32_e32 v114, v115
	s_delay_alu instid0(VALU_DEP_1) | instskip(NEXT) | instid1(VALU_DEP_1)
	v_min_u32_e32 v114, 32, v114
	v_subrev_nc_u32_e32 v115, 29, v114
	s_delay_alu instid0(VALU_DEP_1) | instskip(NEXT) | instid1(VALU_DEP_1)
	v_lshlrev_b64_e32 v[116:117], v115, v[30:31]
	v_dual_sub_nc_u32 v114, 30, v114 :: v_dual_bitop2_b32 v115, 3, v116 bitop3:0x40
; %bb.2827:                             ;   in Loop: Header=BB2_2709 Depth=2
	s_or_b32 exec_lo, exec_lo, s45
	v_lshlrev_b32_e32 v116, 24, v30
	s_delay_alu instid0(VALU_DEP_1) | instskip(NEXT) | instid1(VALU_DEP_1)
	v_and_b32_e32 v116, 0x80000000, v116
	v_lshl_add_u32 v114, v114, 23, v116
	s_delay_alu instid0(VALU_DEP_1) | instskip(NEXT) | instid1(VALU_DEP_1)
	v_lshl_or_b32 v114, v115, 21, v114
                                        ; implicit-def: $vgpr115
	v_add_nc_u32_e32 v114, 0x38000000, v114
.LBB2_2828:                             ;   in Loop: Header=BB2_2709 Depth=2
	s_and_not1_saveexec_b32 s44, s44
; %bb.2829:                             ;   in Loop: Header=BB2_2709 Depth=2
	v_bfe_i32 v114, v30, 0, 8
	s_delay_alu instid0(VALU_DEP_1) | instskip(SKIP_2) | instid1(VALU_DEP_2)
	v_cmp_lt_i16_e32 vcc_lo, -1, v114
	v_cndmask_b32_e32 v114, 0xff800000, v45, vcc_lo
	v_cmp_eq_u32_e32 vcc_lo, 0, v115
	v_cndmask_b32_e32 v114, 0x7f800001, v114, vcc_lo
; %bb.2830:                             ;   in Loop: Header=BB2_2709 Depth=2
	s_or_b32 exec_lo, exec_lo, s44
.LBB2_2831:                             ;   in Loop: Header=BB2_2709 Depth=2
	s_delay_alu instid0(SALU_CYCLE_1)
	s_or_b32 exec_lo, exec_lo, s14
.LBB2_2832:                             ;   in Loop: Header=BB2_2709 Depth=2
	s_delay_alu instid0(SALU_CYCLE_1) | instskip(SKIP_3) | instid1(VALU_DEP_1)
	s_or_b32 exec_lo, exec_lo, s13
	v_and_b32_e32 v116, 0xff, v99
	s_mov_b32 s13, 0
	s_mov_b32 s14, exec_lo
	v_cmpx_lt_i16_e32 0x7f, v116
	s_xor_b32 s14, exec_lo, s14
	s_cbranch_execz .LBB2_3564
; %bb.2833:                             ;   in Loop: Header=BB2_2709 Depth=2
	s_mov_b32 s13, -1
	s_mov_b32 s44, exec_lo
	v_cmpx_eq_u16_e32 0x80, v116
; %bb.2834:                             ;   in Loop: Header=BB2_2709 Depth=2
	s_xor_b32 s13, exec_lo, -1
; %bb.2835:                             ;   in Loop: Header=BB2_2709 Depth=2
	s_or_b32 exec_lo, exec_lo, s44
	s_delay_alu instid0(SALU_CYCLE_1)
	s_and_b32 s13, s13, exec_lo
                                        ; implicit-def: $vgpr116
	s_or_saveexec_b32 s14, s14
	v_bfrev_b32_e32 v115, 1
	s_xor_b32 exec_lo, exec_lo, s14
	s_cbranch_execnz .LBB2_3565
.LBB2_2836:                             ;   in Loop: Header=BB2_2709 Depth=2
	s_or_b32 exec_lo, exec_lo, s14
	s_and_saveexec_b32 s14, s13
.LBB2_2837:                             ;   in Loop: Header=BB2_2709 Depth=2
	v_dual_cndmask_b32 v115, v86, v97, s11 :: v_dual_cndmask_b32 v116, v36, v98, s11
	s_delay_alu instid0(VALU_DEP_1) | instskip(NEXT) | instid1(VALU_DEP_1)
	v_lshl_add_u32 v115, v115, 23, v87
	v_lshl_or_b32 v115, v116, 21, v115
	s_delay_alu instid0(VALU_DEP_1)
	v_cndmask_b32_e64 v115, v115, v96, s10
.LBB2_2838:                             ;   in Loop: Header=BB2_2709 Depth=2
	s_or_b32 exec_lo, exec_lo, s14
	s_delay_alu instid0(VALU_DEP_1) | instskip(SKIP_1) | instid1(VALU_DEP_1)
	v_dual_max_num_f32 v115, v115, v115 :: v_dual_max_num_f32 v114, v114, v114
	s_mov_b32 s13, 0
	v_max_num_f32_e32 v114, v114, v115
.LBB2_2839:                             ;   in Loop: Header=BB2_2709 Depth=2
	s_and_b32 vcc_lo, exec_lo, s13
	s_cbranch_vccz .LBB2_2857
; %bb.2840:                             ;   in Loop: Header=BB2_2709 Depth=2
	v_mov_b32_e32 v114, 0
	s_and_saveexec_b32 s13, s12
	s_cbranch_execz .LBB2_2850
; %bb.2841:                             ;   in Loop: Header=BB2_2709 Depth=2
	v_bfrev_b32_e32 v114, 1
	s_mov_b32 s12, exec_lo
	v_cmpx_ne_u16_e32 0x80, v113
	s_cbranch_execz .LBB2_2849
; %bb.2842:                             ;   in Loop: Header=BB2_2709 Depth=2
	v_and_b32_e32 v114, 0x7c0000, v10
	v_bfe_u32 v113, v10, 16, 2
	s_delay_alu instid0(VALU_DEP_2) | instskip(SKIP_1) | instid1(SALU_CYCLE_1)
	v_cmp_ne_u32_e32 vcc_lo, 0x7c0000, v114
                                        ; implicit-def: $vgpr114
	s_and_saveexec_b32 s14, vcc_lo
	s_xor_b32 s14, exec_lo, s14
	s_cbranch_execz .LBB2_2846
; %bb.2843:                             ;   in Loop: Header=BB2_2709 Depth=2
	v_bfe_u32 v114, v10, 18, 5
	s_mov_b32 s44, exec_lo
	s_delay_alu instid0(VALU_DEP_1)
	v_cmpx_eq_u32_e32 0, v114
; %bb.2844:                             ;   in Loop: Header=BB2_2709 Depth=2
	v_clz_i32_u32_e32 v113, v113
	s_delay_alu instid0(VALU_DEP_1) | instskip(NEXT) | instid1(VALU_DEP_1)
	v_min_u32_e32 v113, 32, v113
	v_subrev_nc_u32_e32 v114, 29, v113
	s_delay_alu instid0(VALU_DEP_1) | instskip(NEXT) | instid1(VALU_DEP_1)
	v_lshlrev_b64_e32 v[116:117], v114, v[30:31]
	v_dual_sub_nc_u32 v114, 30, v113 :: v_dual_bitop2_b32 v113, 3, v116 bitop3:0x40
; %bb.2845:                             ;   in Loop: Header=BB2_2709 Depth=2
	s_or_b32 exec_lo, exec_lo, s44
	v_lshlrev_b32_e32 v30, 24, v30
	s_delay_alu instid0(VALU_DEP_1) | instskip(NEXT) | instid1(VALU_DEP_1)
	v_and_b32_e32 v30, 0x80000000, v30
	v_lshl_add_u32 v30, v114, 23, v30
	s_delay_alu instid0(VALU_DEP_1) | instskip(NEXT) | instid1(VALU_DEP_1)
	v_lshl_or_b32 v30, v113, 21, v30
                                        ; implicit-def: $vgpr113
	v_add_nc_u32_e32 v114, 0x38000000, v30
                                        ; implicit-def: $vgpr30
.LBB2_2846:                             ;   in Loop: Header=BB2_2709 Depth=2
	s_and_not1_saveexec_b32 s14, s14
; %bb.2847:                             ;   in Loop: Header=BB2_2709 Depth=2
	v_bfe_i32 v30, v30, 0, 8
	s_delay_alu instid0(VALU_DEP_1) | instskip(SKIP_2) | instid1(VALU_DEP_2)
	v_cmp_lt_i16_e32 vcc_lo, -1, v30
	v_cndmask_b32_e32 v30, 0xff800000, v45, vcc_lo
	v_cmp_eq_u32_e32 vcc_lo, 0, v113
	v_cndmask_b32_e32 v114, 0x7f800001, v30, vcc_lo
; %bb.2848:                             ;   in Loop: Header=BB2_2709 Depth=2
	s_or_b32 exec_lo, exec_lo, s14
.LBB2_2849:                             ;   in Loop: Header=BB2_2709 Depth=2
	s_delay_alu instid0(SALU_CYCLE_1)
	s_or_b32 exec_lo, exec_lo, s12
.LBB2_2850:                             ;   in Loop: Header=BB2_2709 Depth=2
	s_delay_alu instid0(SALU_CYCLE_1) | instskip(SKIP_3) | instid1(VALU_DEP_1)
	s_or_b32 exec_lo, exec_lo, s13
	v_and_b32_e32 v99, 0xff, v99
	s_mov_b32 s12, 0
	s_mov_b32 s13, exec_lo
	v_cmpx_lt_i16_e32 0x7f, v99
	s_xor_b32 s13, exec_lo, s13
	s_cbranch_execz .LBB2_3566
; %bb.2851:                             ;   in Loop: Header=BB2_2709 Depth=2
	s_mov_b32 s12, -1
	s_mov_b32 s14, exec_lo
	v_cmpx_eq_u16_e32 0x80, v99
; %bb.2852:                             ;   in Loop: Header=BB2_2709 Depth=2
	s_xor_b32 s12, exec_lo, -1
; %bb.2853:                             ;   in Loop: Header=BB2_2709 Depth=2
	s_or_b32 exec_lo, exec_lo, s14
	s_delay_alu instid0(SALU_CYCLE_1)
	s_and_b32 s12, s12, exec_lo
                                        ; implicit-def: $vgpr99
	s_or_saveexec_b32 s13, s13
	v_bfrev_b32_e32 v30, 1
	s_xor_b32 exec_lo, exec_lo, s13
	s_cbranch_execnz .LBB2_3567
.LBB2_2854:                             ;   in Loop: Header=BB2_2709 Depth=2
	s_or_b32 exec_lo, exec_lo, s13
	s_and_saveexec_b32 s13, s12
.LBB2_2855:                             ;   in Loop: Header=BB2_2709 Depth=2
	v_dual_cndmask_b32 v30, v86, v97, s11 :: v_dual_cndmask_b32 v36, v36, v98, s11
	s_delay_alu instid0(VALU_DEP_1) | instskip(NEXT) | instid1(VALU_DEP_1)
	v_lshl_add_u32 v30, v30, 23, v87
	v_lshl_or_b32 v30, v36, 21, v30
	s_delay_alu instid0(VALU_DEP_1)
	v_cndmask_b32_e64 v30, v30, v96, s10
.LBB2_2856:                             ;   in Loop: Header=BB2_2709 Depth=2
	s_or_b32 exec_lo, exec_lo, s13
	s_delay_alu instid0(VALU_DEP_1) | instskip(SKIP_1) | instid1(VALU_DEP_1)
	v_max_num_f32_e32 v30, v30, v30
	v_max_num_f32_e32 v36, v114, v114
	v_min_num_f32_e32 v114, v36, v30
.LBB2_2857:                             ;   in Loop: Header=BB2_2709 Depth=2
	s_delay_alu instid0(VALU_DEP_1) | instskip(SKIP_3) | instid1(VALU_DEP_2)
	v_and_b32_e32 v86, 0x7f800000, v114
	v_dual_mov_b32 v87, v37 :: v_dual_lshrrev_b32 v30, 24, v114
	v_and_b32_e32 v36, 0x7fffff, v114
                                        ; implicit-def: $vgpr113
	s_mov_b32 s10, exec_lo
	v_cmpx_ne_u64_e32 0x7f800000, v[86:87]
	s_xor_b32 s11, exec_lo, s10
	s_cbranch_execz .LBB2_2871
; %bb.2858:                             ;   in Loop: Header=BB2_2709 Depth=2
	v_and_b32_e32 v86, 0x7fffffff, v114
	v_mov_b32_e32 v87, v37
	v_and_b32_e32 v30, 0x80, v30
                                        ; implicit-def: $vgpr113
	s_mov_b32 s10, exec_lo
	s_delay_alu instid0(VALU_DEP_2)
	v_cmpx_gt_u64_e32 0x47600001, v[86:87]
	s_xor_b32 s12, exec_lo, s10
	s_cbranch_execz .LBB2_2868
; %bb.2859:                             ;   in Loop: Header=BB2_2709 Depth=2
	v_mov_b32_e32 v113, 0
	s_mov_b32 s13, exec_lo
	v_cmpx_ne_u32_e32 0, v114
	s_cbranch_execz .LBB2_2867
; %bb.2860:                             ;   in Loop: Header=BB2_2709 Depth=2
	v_bfe_u32 v98, v114, 23, 8
	v_or_b32_e32 v96, 0x800000, v36
	s_delay_alu instid0(VALU_DEP_2) | instskip(SKIP_1) | instid1(VALU_DEP_2)
	v_sub_nc_u32_e32 v86, 0x71, v98
	v_cmp_gt_u32_e32 vcc_lo, 0x72, v98
	v_cndmask_b32_e32 v86, 0, v86, vcc_lo
	v_cmp_eq_u32_e32 vcc_lo, 0, v98
	s_delay_alu instid0(VALU_DEP_2) | instskip(NEXT) | instid1(VALU_DEP_1)
	v_cndmask_b32_e64 v99, v86, 0x70, vcc_lo
	v_dual_cndmask_b32 v36, v96, v36, vcc_lo :: v_dual_add_nc_u32 v86, 21, v99
	v_add_nc_u32_e32 v97, 20, v99
	s_delay_alu instid0(VALU_DEP_2) | instskip(NEXT) | instid1(VALU_DEP_2)
	v_lshlrev_b64_e64 v[86:87], v86, -1
	v_lshlrev_b64_e64 v[96:97], v97, 1
	s_delay_alu instid0(VALU_DEP_2) | instskip(NEXT) | instid1(VALU_DEP_3)
	v_bfi_b32 v115, v87, 0, 0
	v_bfi_b32 v114, v86, 0, v36
	v_lshrrev_b64 v[86:87], v99, v[36:37]
	s_delay_alu instid0(VALU_DEP_2) | instskip(NEXT) | instid1(VALU_DEP_2)
	v_cmp_eq_u64_e64 s10, v[114:115], v[96:97]
	v_mov_b64_e32 v[96:97], v[86:87]
	s_and_saveexec_b32 s14, s10
; %bb.2861:                             ;   in Loop: Header=BB2_2709 Depth=2
	v_bfe_u32 v36, v86, 21, 1
	s_delay_alu instid0(VALU_DEP_1) | instskip(NEXT) | instid1(VALU_DEP_1)
	v_add_nc_u64_e32 v[96:97], v[86:87], v[36:37]
	v_add_nc_u64_e32 v[96:97], -1, v[96:97]
; %bb.2862:                             ;   in Loop: Header=BB2_2709 Depth=2
	s_or_b32 exec_lo, exec_lo, s14
	v_add_nc_u32_e32 v36, 0xffffff81, v98
	v_lshrrev_b32_e32 v87, 23, v86
	s_mov_b32 s10, exec_lo
	s_delay_alu instid0(VALU_DEP_2) | instskip(NEXT) | instid1(VALU_DEP_1)
	v_cndmask_b32_e64 v36, v36, 0xffffff82, vcc_lo
	v_add3_u32 v97, v99, v36, v87
	v_and_b32_e32 v36, 0x1fffff, v96
                                        ; implicit-def: $vgpr96
	s_delay_alu instid0(VALU_DEP_1) | instskip(NEXT) | instid1(VALU_DEP_1)
	v_dual_add_nc_u32 v98, 14, v97 :: v_dual_add_nc_u32 v36, v36, v86
                                        ; implicit-def: $vgpr86_vgpr87
	v_cmpx_ne_u32_e32 0, v98
	s_xor_b32 s10, exec_lo, s10
; %bb.2863:                             ;   in Loop: Header=BB2_2709 Depth=2
	s_delay_alu instid0(VALU_DEP_2) | instskip(SKIP_1) | instid1(VALU_DEP_1)
	v_cmp_lt_u64_e32 vcc_lo, 0xffffff, v[36:37]
	v_add_nc_u32_e32 v86, 15, v97
	v_cndmask_b32_e32 v96, v98, v86, vcc_lo
	v_cndmask_b32_e64 v86, 0, 1, vcc_lo
	s_delay_alu instid0(VALU_DEP_1)
	v_lshrrev_b64 v[86:87], v86, v[36:37]
; %bb.2864:                             ;   in Loop: Header=BB2_2709 Depth=2
	s_and_not1_saveexec_b32 s10, s10
; %bb.2865:                             ;   in Loop: Header=BB2_2709 Depth=2
	v_mov_b64_e32 v[86:87], v[36:37]
	v_bfe_u32 v96, v36, 23, 1
; %bb.2866:                             ;   in Loop: Header=BB2_2709 Depth=2
	s_or_b32 exec_lo, exec_lo, s10
	s_delay_alu instid0(VALU_DEP_2) | instskip(NEXT) | instid1(VALU_DEP_2)
	v_lshrrev_b64 v[86:87], 21, v[86:87]
	v_cmp_gt_i32_e32 vcc_lo, 32, v96
	v_min_i32_e32 v36, 31, v96
	v_cmp_eq_u32_e64 s10, 0, v96
	s_delay_alu instid0(VALU_DEP_2) | instskip(SKIP_1) | instid1(VALU_DEP_2)
	v_dual_cndmask_b32 v87, 0, v87 :: v_dual_lshlrev_b32 v36, 2, v36
	v_cndmask_b32_e32 v86, 3, v86, vcc_lo
	v_and_b32_e32 v36, 0xfc, v36
	s_delay_alu instid0(VALU_DEP_2) | instskip(NEXT) | instid1(VALU_DEP_2)
	v_cmp_eq_u64_e32 vcc_lo, 0, v[86:87]
	v_and_or_b32 v36, v86, 3, v36
	s_and_b32 s10, s10, vcc_lo
	s_delay_alu instid0(VALU_DEP_1) | instid1(SALU_CYCLE_1)
	v_cndmask_b32_e64 v36, v36, 0, s10
	s_delay_alu instid0(VALU_DEP_1)
	v_or_b32_e32 v113, v36, v30
.LBB2_2867:                             ;   in Loop: Header=BB2_2709 Depth=2
	s_or_b32 exec_lo, exec_lo, s13
                                        ; implicit-def: $vgpr30
.LBB2_2868:                             ;   in Loop: Header=BB2_2709 Depth=2
	s_and_not1_saveexec_b32 s10, s12
; %bb.2869:                             ;   in Loop: Header=BB2_2709 Depth=2
	v_or_b32_e32 v113, 0x7b, v30
; %bb.2870:                             ;   in Loop: Header=BB2_2709 Depth=2
	s_or_b32 exec_lo, exec_lo, s10
                                        ; implicit-def: $vgpr114
                                        ; implicit-def: $vgpr30
.LBB2_2871:                             ;   in Loop: Header=BB2_2709 Depth=2
	s_and_not1_saveexec_b32 s10, s11
	s_cbranch_execz .LBB2_2877
; %bb.2872:                             ;   in Loop: Header=BB2_2709 Depth=2
	s_mov_b32 s11, exec_lo
                                        ; implicit-def: $vgpr113
	v_cmpx_ne_u64_e32 0, v[36:37]
	s_xor_b32 s11, exec_lo, s11
; %bb.2873:                             ;   in Loop: Header=BB2_2709 Depth=2
	v_or_b32_e32 v113, 0x7f, v30
                                        ; implicit-def: $vgpr114
; %bb.2874:                             ;   in Loop: Header=BB2_2709 Depth=2
	s_and_not1_saveexec_b32 s11, s11
; %bb.2875:                             ;   in Loop: Header=BB2_2709 Depth=2
	v_cmp_lt_i32_e32 vcc_lo, -1, v114
	v_cndmask_b32_e32 v113, 0xfc, v46, vcc_lo
; %bb.2876:                             ;   in Loop: Header=BB2_2709 Depth=2
	s_or_b32 exec_lo, exec_lo, s11
.LBB2_2877:                             ;   in Loop: Header=BB2_2709 Depth=2
	s_delay_alu instid0(SALU_CYCLE_1)
	s_or_b32 exec_lo, exec_lo, s10
	v_bfe_u32 v36, v14, 24, 2
	v_cmp_lt_i32_e32 vcc_lo, -1, v14
	v_lshrrev_b32_e32 v30, 24, v10
	v_and_b32_e32 v114, 0x7c000000, v14
	v_cmp_gt_u32_e64 s10, 0x1000000, v14
	v_clz_i32_u32_e32 v86, v36
	v_cndmask_b32_e32 v115, 0xff800000, v45, vcc_lo
	v_cmp_eq_u32_e32 vcc_lo, 0, v36
	v_and_or_b32 v87, v14, s27, 0x38000000
	v_cmp_lt_u32_e64 s14, 0xffffff, v10
	v_min_u32_e32 v97, 32, v86
	v_lshrrev_b32_e32 v96, 24, v14
	v_bfe_u32 v86, v14, 26, 5
	v_cmp_eq_u32_e64 s12, 0x7c000000, v114
	s_mov_b32 s44, -1
	v_subrev_nc_u32_e32 v98, 29, v97
	v_cmp_eq_u32_e64 s13, 0, v86
	s_delay_alu instid0(VALU_DEP_2)
	v_lshlrev_b64_e32 v[98:99], v98, v[96:97]
	v_sub_nc_u32_e32 v97, 30, v97
	v_cmp_eq_u32_e64 s11, 0x80, v96
	v_cndmask_b32_e32 v96, 0x7f800001, v115, vcc_lo
	s_and_b32 vcc_lo, exec_lo, s43
                                        ; implicit-def: $vgpr99
	v_and_b32_e32 v98, 3, v98
	s_cbranch_vccz .LBB2_2889
; %bb.2878:                             ;   in Loop: Header=BB2_2709 Depth=2
	v_mov_b32_e32 v99, 0
	s_and_saveexec_b32 s44, s14
	s_cbranch_execz .LBB2_2888
; %bb.2879:                             ;   in Loop: Header=BB2_2709 Depth=2
	v_bfrev_b32_e32 v99, 1
	s_mov_b32 s45, exec_lo
	v_cmpx_ne_u32_e32 0x80, v30
	s_cbranch_execz .LBB2_2887
; %bb.2880:                             ;   in Loop: Header=BB2_2709 Depth=2
	v_and_b32_e32 v99, 0x7c000000, v10
	v_bfe_u32 v114, v10, 24, 2
	s_delay_alu instid0(VALU_DEP_2) | instskip(SKIP_1) | instid1(SALU_CYCLE_1)
	v_cmp_ne_u32_e32 vcc_lo, 0x7c000000, v99
                                        ; implicit-def: $vgpr99
	s_and_saveexec_b32 s46, vcc_lo
	s_xor_b32 s46, exec_lo, s46
	s_cbranch_execz .LBB2_2884
; %bb.2881:                             ;   in Loop: Header=BB2_2709 Depth=2
	v_bfe_u32 v99, v10, 26, 5
	s_mov_b32 s47, exec_lo
	s_delay_alu instid0(VALU_DEP_1)
	v_cmpx_eq_u32_e32 0, v99
; %bb.2882:                             ;   in Loop: Header=BB2_2709 Depth=2
	v_clz_i32_u32_e32 v99, v114
	s_delay_alu instid0(VALU_DEP_1) | instskip(NEXT) | instid1(VALU_DEP_1)
	v_min_u32_e32 v99, 32, v99
	v_subrev_nc_u32_e32 v114, 29, v99
	s_delay_alu instid0(VALU_DEP_1) | instskip(NEXT) | instid1(VALU_DEP_1)
	v_lshlrev_b64_e32 v[114:115], v114, v[30:31]
	v_dual_sub_nc_u32 v99, 30, v99 :: v_dual_bitop2_b32 v114, 3, v114 bitop3:0x40
; %bb.2883:                             ;   in Loop: Header=BB2_2709 Depth=2
	s_or_b32 exec_lo, exec_lo, s47
	v_and_b32_e32 v115, 0x80000000, v10
	s_delay_alu instid0(VALU_DEP_1) | instskip(NEXT) | instid1(VALU_DEP_1)
	v_lshl_add_u32 v99, v99, 23, v115
	v_lshl_or_b32 v99, v114, 21, v99
                                        ; implicit-def: $vgpr114
	s_delay_alu instid0(VALU_DEP_1)
	v_add_nc_u32_e32 v99, 0x38000000, v99
.LBB2_2884:                             ;   in Loop: Header=BB2_2709 Depth=2
	s_and_not1_saveexec_b32 s46, s46
; %bb.2885:                             ;   in Loop: Header=BB2_2709 Depth=2
	v_cmp_lt_i32_e32 vcc_lo, -1, v10
	v_cndmask_b32_e32 v99, 0xff800000, v45, vcc_lo
	v_cmp_eq_u32_e32 vcc_lo, 0, v114
	s_delay_alu instid0(VALU_DEP_2)
	v_cndmask_b32_e32 v99, 0x7f800001, v99, vcc_lo
; %bb.2886:                             ;   in Loop: Header=BB2_2709 Depth=2
	s_or_b32 exec_lo, exec_lo, s46
.LBB2_2887:                             ;   in Loop: Header=BB2_2709 Depth=2
	s_delay_alu instid0(SALU_CYCLE_1)
	s_or_b32 exec_lo, exec_lo, s45
.LBB2_2888:                             ;   in Loop: Header=BB2_2709 Depth=2
	s_delay_alu instid0(SALU_CYCLE_1) | instskip(SKIP_3) | instid1(VALU_DEP_2)
	s_or_b32 exec_lo, exec_lo, s44
	v_dual_cndmask_b32 v114, v86, v97, s13 :: v_dual_cndmask_b32 v115, v36, v98, s13
	s_mov_b32 s44, 0
	v_max_num_f32_e32 v99, v99, v99
	v_lshl_add_u32 v114, v114, 23, v87
	s_delay_alu instid0(VALU_DEP_1) | instskip(NEXT) | instid1(VALU_DEP_1)
	v_lshl_or_b32 v114, v115, 21, v114
	v_cndmask_b32_e64 v114, v114, v96, s12
	s_delay_alu instid0(VALU_DEP_1) | instskip(NEXT) | instid1(VALU_DEP_1)
	v_cndmask_b32_e64 v114, v114, 0x80000000, s11
	v_cndmask_b32_e64 v114, v114, 0, s10
	s_delay_alu instid0(VALU_DEP_1) | instskip(NEXT) | instid1(VALU_DEP_1)
	v_max_num_f32_e32 v114, v114, v114
	v_max_num_f32_e32 v99, v99, v114
.LBB2_2889:                             ;   in Loop: Header=BB2_2709 Depth=2
	s_and_b32 vcc_lo, exec_lo, s44
	s_cbranch_vccz .LBB2_2901
; %bb.2890:                             ;   in Loop: Header=BB2_2709 Depth=2
	v_mov_b32_e32 v99, 0
	s_and_saveexec_b32 s44, s14
	s_cbranch_execz .LBB2_2900
; %bb.2891:                             ;   in Loop: Header=BB2_2709 Depth=2
	v_bfrev_b32_e32 v99, 1
	s_mov_b32 s14, exec_lo
	v_cmpx_ne_u32_e32 0x80, v30
	s_cbranch_execz .LBB2_2899
; %bb.2892:                             ;   in Loop: Header=BB2_2709 Depth=2
	v_and_b32_e32 v99, 0x7c000000, v10
	v_bfe_u32 v114, v10, 24, 2
	s_delay_alu instid0(VALU_DEP_2) | instskip(SKIP_1) | instid1(SALU_CYCLE_1)
	v_cmp_ne_u32_e32 vcc_lo, 0x7c000000, v99
                                        ; implicit-def: $vgpr99
	s_and_saveexec_b32 s45, vcc_lo
	s_xor_b32 s45, exec_lo, s45
	s_cbranch_execz .LBB2_2896
; %bb.2893:                             ;   in Loop: Header=BB2_2709 Depth=2
	v_bfe_u32 v99, v10, 26, 5
	s_mov_b32 s46, exec_lo
	s_delay_alu instid0(VALU_DEP_1)
	v_cmpx_eq_u32_e32 0, v99
; %bb.2894:                             ;   in Loop: Header=BB2_2709 Depth=2
	v_clz_i32_u32_e32 v99, v114
	s_delay_alu instid0(VALU_DEP_1) | instskip(NEXT) | instid1(VALU_DEP_1)
	v_min_u32_e32 v99, 32, v99
	v_subrev_nc_u32_e32 v114, 29, v99
	s_delay_alu instid0(VALU_DEP_1) | instskip(NEXT) | instid1(VALU_DEP_1)
	v_lshlrev_b64_e32 v[114:115], v114, v[30:31]
	v_dual_sub_nc_u32 v99, 30, v99 :: v_dual_bitop2_b32 v114, 3, v114 bitop3:0x40
; %bb.2895:                             ;   in Loop: Header=BB2_2709 Depth=2
	s_or_b32 exec_lo, exec_lo, s46
	v_and_b32_e32 v30, 0x80000000, v10
	s_delay_alu instid0(VALU_DEP_1) | instskip(NEXT) | instid1(VALU_DEP_1)
	v_lshl_add_u32 v30, v99, 23, v30
	v_lshl_or_b32 v30, v114, 21, v30
                                        ; implicit-def: $vgpr114
	s_delay_alu instid0(VALU_DEP_1)
	v_add_nc_u32_e32 v99, 0x38000000, v30
.LBB2_2896:                             ;   in Loop: Header=BB2_2709 Depth=2
	s_and_not1_saveexec_b32 s45, s45
; %bb.2897:                             ;   in Loop: Header=BB2_2709 Depth=2
	v_cmp_lt_i32_e32 vcc_lo, -1, v10
	v_cndmask_b32_e32 v30, 0xff800000, v45, vcc_lo
	v_cmp_eq_u32_e32 vcc_lo, 0, v114
	s_delay_alu instid0(VALU_DEP_2)
	v_cndmask_b32_e32 v99, 0x7f800001, v30, vcc_lo
; %bb.2898:                             ;   in Loop: Header=BB2_2709 Depth=2
	s_or_b32 exec_lo, exec_lo, s45
.LBB2_2899:                             ;   in Loop: Header=BB2_2709 Depth=2
	s_delay_alu instid0(SALU_CYCLE_1)
	s_or_b32 exec_lo, exec_lo, s14
.LBB2_2900:                             ;   in Loop: Header=BB2_2709 Depth=2
	s_delay_alu instid0(SALU_CYCLE_1) | instskip(SKIP_1) | instid1(VALU_DEP_1)
	s_or_b32 exec_lo, exec_lo, s44
	v_dual_cndmask_b32 v30, v86, v97, s13 :: v_dual_cndmask_b32 v36, v36, v98, s13
	v_lshl_add_u32 v30, v30, 23, v87
	s_delay_alu instid0(VALU_DEP_1) | instskip(NEXT) | instid1(VALU_DEP_1)
	v_lshl_or_b32 v30, v36, 21, v30
	v_dual_max_num_f32 v36, v99, v99 :: v_dual_cndmask_b32 v30, v30, v96, s12
	s_delay_alu instid0(VALU_DEP_1) | instskip(NEXT) | instid1(VALU_DEP_1)
	v_cndmask_b32_e64 v30, v30, 0x80000000, s11
	v_cndmask_b32_e64 v30, v30, 0, s10
	s_delay_alu instid0(VALU_DEP_1) | instskip(NEXT) | instid1(VALU_DEP_1)
	v_max_num_f32_e32 v30, v30, v30
	v_min_num_f32_e32 v99, v36, v30
.LBB2_2901:                             ;   in Loop: Header=BB2_2709 Depth=2
	s_delay_alu instid0(VALU_DEP_1) | instskip(SKIP_3) | instid1(VALU_DEP_2)
	v_and_b32_e32 v86, 0x7f800000, v99
	v_dual_mov_b32 v87, v37 :: v_dual_lshrrev_b32 v30, 24, v99
	v_and_b32_e32 v36, 0x7fffff, v99
                                        ; implicit-def: $vgpr114
	s_mov_b32 s10, exec_lo
	v_cmpx_ne_u64_e32 0x7f800000, v[86:87]
	s_xor_b32 s11, exec_lo, s10
	s_cbranch_execz .LBB2_2915
; %bb.2902:                             ;   in Loop: Header=BB2_2709 Depth=2
	v_and_b32_e32 v86, 0x7fffffff, v99
	v_mov_b32_e32 v87, v37
	v_and_b32_e32 v30, 0x80, v30
                                        ; implicit-def: $vgpr114
	s_mov_b32 s10, exec_lo
	s_delay_alu instid0(VALU_DEP_2)
	v_cmpx_gt_u64_e32 0x47600001, v[86:87]
	s_xor_b32 s12, exec_lo, s10
	s_cbranch_execz .LBB2_2912
; %bb.2903:                             ;   in Loop: Header=BB2_2709 Depth=2
	v_mov_b32_e32 v114, 0
	s_mov_b32 s13, exec_lo
	v_cmpx_ne_u32_e32 0, v99
	s_cbranch_execz .LBB2_2911
; %bb.2904:                             ;   in Loop: Header=BB2_2709 Depth=2
	v_bfe_u32 v98, v99, 23, 8
	v_or_b32_e32 v96, 0x800000, v36
	s_delay_alu instid0(VALU_DEP_2) | instskip(SKIP_1) | instid1(VALU_DEP_2)
	v_sub_nc_u32_e32 v86, 0x71, v98
	v_cmp_gt_u32_e32 vcc_lo, 0x72, v98
	v_cndmask_b32_e32 v86, 0, v86, vcc_lo
	v_cmp_eq_u32_e32 vcc_lo, 0, v98
	s_delay_alu instid0(VALU_DEP_2) | instskip(NEXT) | instid1(VALU_DEP_1)
	v_cndmask_b32_e64 v99, v86, 0x70, vcc_lo
	v_dual_cndmask_b32 v36, v96, v36, vcc_lo :: v_dual_add_nc_u32 v86, 21, v99
	v_add_nc_u32_e32 v97, 20, v99
	s_delay_alu instid0(VALU_DEP_2) | instskip(NEXT) | instid1(VALU_DEP_2)
	v_lshlrev_b64_e64 v[86:87], v86, -1
	v_lshlrev_b64_e64 v[96:97], v97, 1
	s_delay_alu instid0(VALU_DEP_2) | instskip(NEXT) | instid1(VALU_DEP_3)
	v_bfi_b32 v115, v87, 0, 0
	v_bfi_b32 v114, v86, 0, v36
	v_lshrrev_b64 v[86:87], v99, v[36:37]
	s_delay_alu instid0(VALU_DEP_2) | instskip(NEXT) | instid1(VALU_DEP_2)
	v_cmp_eq_u64_e64 s10, v[114:115], v[96:97]
	v_mov_b64_e32 v[96:97], v[86:87]
	s_and_saveexec_b32 s14, s10
; %bb.2905:                             ;   in Loop: Header=BB2_2709 Depth=2
	v_bfe_u32 v36, v86, 21, 1
	s_delay_alu instid0(VALU_DEP_1) | instskip(NEXT) | instid1(VALU_DEP_1)
	v_add_nc_u64_e32 v[96:97], v[86:87], v[36:37]
	v_add_nc_u64_e32 v[96:97], -1, v[96:97]
; %bb.2906:                             ;   in Loop: Header=BB2_2709 Depth=2
	s_or_b32 exec_lo, exec_lo, s14
	v_add_nc_u32_e32 v36, 0xffffff81, v98
	v_lshrrev_b32_e32 v87, 23, v86
	s_mov_b32 s10, exec_lo
	s_delay_alu instid0(VALU_DEP_2) | instskip(NEXT) | instid1(VALU_DEP_1)
	v_cndmask_b32_e64 v36, v36, 0xffffff82, vcc_lo
	v_add3_u32 v97, v99, v36, v87
	v_and_b32_e32 v36, 0x1fffff, v96
                                        ; implicit-def: $vgpr96
	s_delay_alu instid0(VALU_DEP_1) | instskip(NEXT) | instid1(VALU_DEP_1)
	v_dual_add_nc_u32 v98, 14, v97 :: v_dual_add_nc_u32 v36, v36, v86
                                        ; implicit-def: $vgpr86_vgpr87
	v_cmpx_ne_u32_e32 0, v98
	s_xor_b32 s10, exec_lo, s10
; %bb.2907:                             ;   in Loop: Header=BB2_2709 Depth=2
	s_delay_alu instid0(VALU_DEP_2) | instskip(SKIP_1) | instid1(VALU_DEP_1)
	v_cmp_lt_u64_e32 vcc_lo, 0xffffff, v[36:37]
	v_add_nc_u32_e32 v86, 15, v97
	v_cndmask_b32_e32 v96, v98, v86, vcc_lo
	v_cndmask_b32_e64 v86, 0, 1, vcc_lo
	s_delay_alu instid0(VALU_DEP_1)
	v_lshrrev_b64 v[86:87], v86, v[36:37]
; %bb.2908:                             ;   in Loop: Header=BB2_2709 Depth=2
	s_and_not1_saveexec_b32 s10, s10
; %bb.2909:                             ;   in Loop: Header=BB2_2709 Depth=2
	v_mov_b64_e32 v[86:87], v[36:37]
	v_bfe_u32 v96, v36, 23, 1
; %bb.2910:                             ;   in Loop: Header=BB2_2709 Depth=2
	s_or_b32 exec_lo, exec_lo, s10
	s_delay_alu instid0(VALU_DEP_2) | instskip(NEXT) | instid1(VALU_DEP_2)
	v_lshrrev_b64 v[86:87], 21, v[86:87]
	v_cmp_gt_i32_e32 vcc_lo, 32, v96
	v_min_i32_e32 v36, 31, v96
	v_cmp_eq_u32_e64 s10, 0, v96
	s_delay_alu instid0(VALU_DEP_2) | instskip(SKIP_1) | instid1(VALU_DEP_2)
	v_dual_cndmask_b32 v87, 0, v87 :: v_dual_lshlrev_b32 v36, 2, v36
	v_cndmask_b32_e32 v86, 3, v86, vcc_lo
	v_and_b32_e32 v36, 0xfc, v36
	s_delay_alu instid0(VALU_DEP_2) | instskip(NEXT) | instid1(VALU_DEP_2)
	v_cmp_eq_u64_e32 vcc_lo, 0, v[86:87]
	v_and_or_b32 v36, v86, 3, v36
	s_and_b32 s10, s10, vcc_lo
	s_delay_alu instid0(VALU_DEP_1) | instid1(SALU_CYCLE_1)
	v_cndmask_b32_e64 v36, v36, 0, s10
	s_delay_alu instid0(VALU_DEP_1)
	v_or_b32_e32 v114, v36, v30
.LBB2_2911:                             ;   in Loop: Header=BB2_2709 Depth=2
	s_or_b32 exec_lo, exec_lo, s13
                                        ; implicit-def: $vgpr30
.LBB2_2912:                             ;   in Loop: Header=BB2_2709 Depth=2
	s_and_not1_saveexec_b32 s10, s12
; %bb.2913:                             ;   in Loop: Header=BB2_2709 Depth=2
	v_or_b32_e32 v114, 0x7b, v30
; %bb.2914:                             ;   in Loop: Header=BB2_2709 Depth=2
	s_or_b32 exec_lo, exec_lo, s10
                                        ; implicit-def: $vgpr99
                                        ; implicit-def: $vgpr30
.LBB2_2915:                             ;   in Loop: Header=BB2_2709 Depth=2
	s_and_not1_saveexec_b32 s10, s11
	s_cbranch_execz .LBB2_2921
; %bb.2916:                             ;   in Loop: Header=BB2_2709 Depth=2
	s_mov_b32 s11, exec_lo
                                        ; implicit-def: $vgpr114
	v_cmpx_ne_u64_e32 0, v[36:37]
	s_xor_b32 s11, exec_lo, s11
; %bb.2917:                             ;   in Loop: Header=BB2_2709 Depth=2
	v_or_b32_e32 v114, 0x7f, v30
                                        ; implicit-def: $vgpr99
; %bb.2918:                             ;   in Loop: Header=BB2_2709 Depth=2
	s_and_not1_saveexec_b32 s11, s11
; %bb.2919:                             ;   in Loop: Header=BB2_2709 Depth=2
	v_cmp_lt_i32_e32 vcc_lo, -1, v99
	v_cndmask_b32_e32 v114, 0xfc, v46, vcc_lo
; %bb.2920:                             ;   in Loop: Header=BB2_2709 Depth=2
	s_or_b32 exec_lo, exec_lo, s11
.LBB2_2921:                             ;   in Loop: Header=BB2_2709 Depth=2
	s_delay_alu instid0(SALU_CYCLE_1) | instskip(SKIP_4) | instid1(VALU_DEP_4)
	s_or_b32 exec_lo, exec_lo, s10
	v_dual_mov_b32 v36, v15 :: v_dual_bitop2_b32 v30, 3, v15 bitop3:0x40
	v_bfe_i32 v116, v15, 0, 8
	v_bfe_u32 v96, v15, 2, 5
	v_and_b32_e32 v97, 0x7c, v15
	v_clz_i32_u32_e32 v86, v30
	v_lshlrev_b32_e32 v98, 24, v15
	v_cmp_lt_i16_e32 vcc_lo, -1, v116
	v_mov_b32_e32 v87, v37
	v_and_b32_e32 v117, 0xff, v11
	v_min_u32_e32 v99, 32, v86
	v_mov_b32_e32 v86, v11
	v_cndmask_b32_e32 v40, 0xff800000, v45, vcc_lo
	v_cmp_eq_u32_e32 vcc_lo, 0, v30
	v_cmp_eq_u32_e64 s10, 0x7c, v97
	v_subrev_nc_u32_e32 v115, 29, v99
	v_cmp_eq_u32_e64 s11, 0, v96
	v_and_or_b32 v97, v98, s27, 0x38000000
	v_cmp_ne_u16_e64 s12, 0, v117
	v_dual_cndmask_b32 v98, 0x7f800001, v40 :: v_dual_sub_nc_u32 v99, 30, v99
	v_lshlrev_b64_e32 v[118:119], v115, v[36:37]
	s_and_b32 vcc_lo, exec_lo, s43
	s_mov_b32 s13, -1
	s_delay_alu instid0(VALU_DEP_1)
	v_and_b32_e32 v115, 3, v118
                                        ; implicit-def: $vgpr118
	s_cbranch_vccz .LBB2_2939
; %bb.2922:                             ;   in Loop: Header=BB2_2709 Depth=2
	v_mov_b32_e32 v118, 0
	s_and_saveexec_b32 s13, s12
	s_cbranch_execz .LBB2_2932
; %bb.2923:                             ;   in Loop: Header=BB2_2709 Depth=2
	v_bfrev_b32_e32 v118, 1
	s_mov_b32 s14, exec_lo
	v_cmpx_ne_u16_e32 0x80, v117
	s_cbranch_execz .LBB2_2931
; %bb.2924:                             ;   in Loop: Header=BB2_2709 Depth=2
	v_and_b32_e32 v118, 0x7c, v11
	v_and_b32_e32 v119, 3, v11
	s_delay_alu instid0(VALU_DEP_2) | instskip(SKIP_1) | instid1(SALU_CYCLE_1)
	v_cmp_ne_u32_e32 vcc_lo, 0x7c, v118
                                        ; implicit-def: $vgpr118
	s_and_saveexec_b32 s44, vcc_lo
	s_xor_b32 s44, exec_lo, s44
	s_cbranch_execz .LBB2_2928
; %bb.2925:                             ;   in Loop: Header=BB2_2709 Depth=2
	v_bfe_u32 v118, v11, 2, 5
	s_mov_b32 s45, exec_lo
	s_delay_alu instid0(VALU_DEP_1)
	v_cmpx_eq_u32_e32 0, v118
; %bb.2926:                             ;   in Loop: Header=BB2_2709 Depth=2
	v_clz_i32_u32_e32 v118, v119
	s_delay_alu instid0(VALU_DEP_1) | instskip(NEXT) | instid1(VALU_DEP_1)
	v_min_u32_e32 v118, 32, v118
	v_subrev_nc_u32_e32 v119, 29, v118
	s_delay_alu instid0(VALU_DEP_1) | instskip(NEXT) | instid1(VALU_DEP_1)
	v_lshlrev_b64_e32 v[40:41], v119, v[86:87]
	v_dual_sub_nc_u32 v118, 30, v118 :: v_dual_bitop2_b32 v119, 3, v40 bitop3:0x40
; %bb.2927:                             ;   in Loop: Header=BB2_2709 Depth=2
	s_or_b32 exec_lo, exec_lo, s45
	v_lshlrev_b32_e32 v40, 24, v11
	s_delay_alu instid0(VALU_DEP_1) | instskip(NEXT) | instid1(VALU_DEP_1)
	v_and_b32_e32 v40, 0x80000000, v40
	v_lshl_add_u32 v118, v118, 23, v40
	s_delay_alu instid0(VALU_DEP_1) | instskip(NEXT) | instid1(VALU_DEP_1)
	v_lshl_or_b32 v118, v119, 21, v118
                                        ; implicit-def: $vgpr119
	v_add_nc_u32_e32 v118, 0x38000000, v118
.LBB2_2928:                             ;   in Loop: Header=BB2_2709 Depth=2
	s_and_not1_saveexec_b32 s44, s44
; %bb.2929:                             ;   in Loop: Header=BB2_2709 Depth=2
	v_bfe_i32 v118, v11, 0, 8
	s_delay_alu instid0(VALU_DEP_1) | instskip(SKIP_2) | instid1(VALU_DEP_2)
	v_cmp_lt_i16_e32 vcc_lo, -1, v118
	v_cndmask_b32_e32 v118, 0xff800000, v45, vcc_lo
	v_cmp_eq_u32_e32 vcc_lo, 0, v119
	v_cndmask_b32_e32 v118, 0x7f800001, v118, vcc_lo
; %bb.2930:                             ;   in Loop: Header=BB2_2709 Depth=2
	s_or_b32 exec_lo, exec_lo, s44
.LBB2_2931:                             ;   in Loop: Header=BB2_2709 Depth=2
	s_delay_alu instid0(SALU_CYCLE_1)
	s_or_b32 exec_lo, exec_lo, s14
.LBB2_2932:                             ;   in Loop: Header=BB2_2709 Depth=2
	s_delay_alu instid0(SALU_CYCLE_1) | instskip(SKIP_3) | instid1(VALU_DEP_1)
	s_or_b32 exec_lo, exec_lo, s13
	v_and_b32_e32 v40, 0xff, v116
	s_mov_b32 s13, 0
	s_mov_b32 s14, exec_lo
	v_cmpx_lt_i16_e32 0x7f, v40
	s_xor_b32 s14, exec_lo, s14
	s_cbranch_execz .LBB2_3568
; %bb.2933:                             ;   in Loop: Header=BB2_2709 Depth=2
	s_mov_b32 s13, -1
	s_mov_b32 s44, exec_lo
	v_cmpx_eq_u16_e32 0x80, v40
; %bb.2934:                             ;   in Loop: Header=BB2_2709 Depth=2
	s_xor_b32 s13, exec_lo, -1
; %bb.2935:                             ;   in Loop: Header=BB2_2709 Depth=2
	s_or_b32 exec_lo, exec_lo, s44
	s_delay_alu instid0(SALU_CYCLE_1)
	s_and_b32 s13, s13, exec_lo
                                        ; implicit-def: $vgpr40
	s_or_saveexec_b32 s14, s14
	v_bfrev_b32_e32 v119, 1
	s_xor_b32 exec_lo, exec_lo, s14
	s_cbranch_execnz .LBB2_3569
.LBB2_2936:                             ;   in Loop: Header=BB2_2709 Depth=2
	s_or_b32 exec_lo, exec_lo, s14
	s_and_saveexec_b32 s14, s13
.LBB2_2937:                             ;   in Loop: Header=BB2_2709 Depth=2
	v_cndmask_b32_e64 v119, v96, v99, s11
	v_cndmask_b32_e64 v40, v30, v115, s11
	s_delay_alu instid0(VALU_DEP_2) | instskip(NEXT) | instid1(VALU_DEP_1)
	v_lshl_add_u32 v119, v119, 23, v97
	v_lshl_or_b32 v119, v40, 21, v119
	s_delay_alu instid0(VALU_DEP_1)
	v_cndmask_b32_e64 v119, v119, v98, s10
.LBB2_2938:                             ;   in Loop: Header=BB2_2709 Depth=2
	s_or_b32 exec_lo, exec_lo, s14
	s_delay_alu instid0(VALU_DEP_1) | instskip(SKIP_1) | instid1(VALU_DEP_1)
	v_dual_max_num_f32 v119, v119, v119 :: v_dual_max_num_f32 v118, v118, v118
	s_mov_b32 s13, 0
	v_max_num_f32_e32 v118, v118, v119
.LBB2_2939:                             ;   in Loop: Header=BB2_2709 Depth=2
	s_and_b32 vcc_lo, exec_lo, s13
	s_cbranch_vccz .LBB2_2957
; %bb.2940:                             ;   in Loop: Header=BB2_2709 Depth=2
	v_mov_b32_e32 v118, 0
	s_and_saveexec_b32 s13, s12
	s_cbranch_execz .LBB2_2950
; %bb.2941:                             ;   in Loop: Header=BB2_2709 Depth=2
	v_bfrev_b32_e32 v118, 1
	s_mov_b32 s12, exec_lo
	v_cmpx_ne_u16_e32 0x80, v117
	s_cbranch_execz .LBB2_2949
; %bb.2942:                             ;   in Loop: Header=BB2_2709 Depth=2
	v_and_b32_e32 v118, 0x7c, v11
	v_and_b32_e32 v117, 3, v11
	s_delay_alu instid0(VALU_DEP_2) | instskip(SKIP_1) | instid1(SALU_CYCLE_1)
	v_cmp_ne_u32_e32 vcc_lo, 0x7c, v118
                                        ; implicit-def: $vgpr118
	s_and_saveexec_b32 s14, vcc_lo
	s_xor_b32 s14, exec_lo, s14
	s_cbranch_execz .LBB2_2946
; %bb.2943:                             ;   in Loop: Header=BB2_2709 Depth=2
	v_bfe_u32 v118, v11, 2, 5
	s_mov_b32 s44, exec_lo
	s_delay_alu instid0(VALU_DEP_1)
	v_cmpx_eq_u32_e32 0, v118
; %bb.2944:                             ;   in Loop: Header=BB2_2709 Depth=2
	v_clz_i32_u32_e32 v117, v117
	s_delay_alu instid0(VALU_DEP_1) | instskip(NEXT) | instid1(VALU_DEP_1)
	v_min_u32_e32 v117, 32, v117
	v_subrev_nc_u32_e32 v118, 29, v117
	s_delay_alu instid0(VALU_DEP_1) | instskip(NEXT) | instid1(VALU_DEP_1)
	v_lshlrev_b64_e32 v[40:41], v118, v[86:87]
	v_dual_sub_nc_u32 v118, 30, v117 :: v_dual_bitop2_b32 v117, 3, v40 bitop3:0x40
; %bb.2945:                             ;   in Loop: Header=BB2_2709 Depth=2
	s_or_b32 exec_lo, exec_lo, s44
	v_lshlrev_b32_e32 v87, 24, v11
	s_delay_alu instid0(VALU_DEP_1) | instskip(NEXT) | instid1(VALU_DEP_1)
	v_and_b32_e32 v87, 0x80000000, v87
	v_lshl_add_u32 v87, v118, 23, v87
	s_delay_alu instid0(VALU_DEP_1) | instskip(NEXT) | instid1(VALU_DEP_1)
	v_lshl_or_b32 v87, v117, 21, v87
                                        ; implicit-def: $vgpr117
	v_add_nc_u32_e32 v118, 0x38000000, v87
.LBB2_2946:                             ;   in Loop: Header=BB2_2709 Depth=2
	s_and_not1_saveexec_b32 s14, s14
; %bb.2947:                             ;   in Loop: Header=BB2_2709 Depth=2
	v_bfe_i32 v87, v11, 0, 8
	s_delay_alu instid0(VALU_DEP_1) | instskip(SKIP_2) | instid1(VALU_DEP_2)
	v_cmp_lt_i16_e32 vcc_lo, -1, v87
	v_cndmask_b32_e32 v87, 0xff800000, v45, vcc_lo
	v_cmp_eq_u32_e32 vcc_lo, 0, v117
	v_cndmask_b32_e32 v118, 0x7f800001, v87, vcc_lo
; %bb.2948:                             ;   in Loop: Header=BB2_2709 Depth=2
	s_or_b32 exec_lo, exec_lo, s14
.LBB2_2949:                             ;   in Loop: Header=BB2_2709 Depth=2
	s_delay_alu instid0(SALU_CYCLE_1)
	s_or_b32 exec_lo, exec_lo, s12
.LBB2_2950:                             ;   in Loop: Header=BB2_2709 Depth=2
	s_delay_alu instid0(SALU_CYCLE_1) | instskip(SKIP_3) | instid1(VALU_DEP_1)
	s_or_b32 exec_lo, exec_lo, s13
	v_and_b32_e32 v116, 0xff, v116
	s_mov_b32 s12, 0
	s_mov_b32 s13, exec_lo
	v_cmpx_lt_i16_e32 0x7f, v116
	s_xor_b32 s13, exec_lo, s13
	s_cbranch_execz .LBB2_3570
; %bb.2951:                             ;   in Loop: Header=BB2_2709 Depth=2
	s_mov_b32 s12, -1
	s_mov_b32 s14, exec_lo
	v_cmpx_eq_u16_e32 0x80, v116
; %bb.2952:                             ;   in Loop: Header=BB2_2709 Depth=2
	s_xor_b32 s12, exec_lo, -1
; %bb.2953:                             ;   in Loop: Header=BB2_2709 Depth=2
	s_or_b32 exec_lo, exec_lo, s14
	s_delay_alu instid0(SALU_CYCLE_1)
	s_and_b32 s12, s12, exec_lo
                                        ; implicit-def: $vgpr116
	s_or_saveexec_b32 s13, s13
	v_bfrev_b32_e32 v87, 1
	s_xor_b32 exec_lo, exec_lo, s13
	s_cbranch_execnz .LBB2_3571
.LBB2_2954:                             ;   in Loop: Header=BB2_2709 Depth=2
	s_or_b32 exec_lo, exec_lo, s13
	s_and_saveexec_b32 s13, s12
.LBB2_2955:                             ;   in Loop: Header=BB2_2709 Depth=2
	v_cndmask_b32_e64 v87, v96, v99, s11
	v_cndmask_b32_e64 v30, v30, v115, s11
	s_delay_alu instid0(VALU_DEP_2) | instskip(NEXT) | instid1(VALU_DEP_1)
	v_lshl_add_u32 v87, v87, 23, v97
	v_lshl_or_b32 v30, v30, 21, v87
	s_delay_alu instid0(VALU_DEP_1)
	v_cndmask_b32_e64 v87, v30, v98, s10
.LBB2_2956:                             ;   in Loop: Header=BB2_2709 Depth=2
	s_or_b32 exec_lo, exec_lo, s13
	s_delay_alu instid0(VALU_DEP_1) | instskip(NEXT) | instid1(VALU_DEP_1)
	v_dual_max_num_f32 v30, v87, v87 :: v_dual_max_num_f32 v87, v118, v118
	v_min_num_f32_e32 v118, v87, v30
.LBB2_2957:                             ;   in Loop: Header=BB2_2709 Depth=2
	s_delay_alu instid0(VALU_DEP_1) | instskip(SKIP_4) | instid1(VALU_DEP_3)
	v_and_b32_e32 v98, 0x7f800000, v118
	v_dual_mov_b32 v99, v37 :: v_dual_mov_b32 v97, v37
	v_and_b32_e32 v96, 0x7fffff, v118
	v_lshrrev_b32_e32 v30, 24, v118
                                        ; implicit-def: $vgpr115
	s_mov_b32 s10, exec_lo
	v_cmpx_ne_u64_e32 0x7f800000, v[98:99]
	s_xor_b32 s11, exec_lo, s10
	s_cbranch_execz .LBB2_2971
; %bb.2958:                             ;   in Loop: Header=BB2_2709 Depth=2
	v_and_b32_e32 v98, 0x7fffffff, v118
	v_mov_b32_e32 v99, v37
	v_and_b32_e32 v30, 0x80, v30
                                        ; implicit-def: $vgpr115
	s_mov_b32 s10, exec_lo
	s_delay_alu instid0(VALU_DEP_2)
	v_cmpx_gt_u64_e32 0x47600001, v[98:99]
	s_xor_b32 s12, exec_lo, s10
	s_cbranch_execz .LBB2_2968
; %bb.2959:                             ;   in Loop: Header=BB2_2709 Depth=2
	v_mov_b32_e32 v115, 0
	s_mov_b32 s13, exec_lo
	v_cmpx_ne_u32_e32 0, v118
	s_cbranch_execz .LBB2_2967
; %bb.2960:                             ;   in Loop: Header=BB2_2709 Depth=2
	v_bfe_u32 v87, v118, 23, 8
	v_or_b32_e32 v116, 0x800000, v96
	s_delay_alu instid0(VALU_DEP_2) | instskip(SKIP_1) | instid1(VALU_DEP_2)
	v_sub_nc_u32_e32 v98, 0x71, v87
	v_cmp_gt_u32_e32 vcc_lo, 0x72, v87
	v_cndmask_b32_e32 v98, 0, v98, vcc_lo
	v_cmp_eq_u32_e32 vcc_lo, 0, v87
	s_delay_alu instid0(VALU_DEP_2) | instskip(NEXT) | instid1(VALU_DEP_1)
	v_cndmask_b32_e64 v115, v98, 0x70, vcc_lo
	v_dual_cndmask_b32 v96, v116, v96, vcc_lo :: v_dual_add_nc_u32 v98, 21, v115
	v_add_nc_u32_e32 v117, 20, v115
	s_delay_alu instid0(VALU_DEP_2) | instskip(NEXT) | instid1(VALU_DEP_2)
	v_lshlrev_b64_e64 v[98:99], v98, -1
	v_lshlrev_b64_e64 v[116:117], v117, 1
	s_delay_alu instid0(VALU_DEP_2) | instskip(SKIP_1) | instid1(VALU_DEP_4)
	v_bfi_b32 v98, v98, 0, v96
	v_lshrrev_b64 v[96:97], v115, v[96:97]
	v_bfi_b32 v99, v99, 0, 0
	s_delay_alu instid0(VALU_DEP_1) | instskip(NEXT) | instid1(VALU_DEP_3)
	v_cmp_eq_u64_e64 s10, v[98:99], v[116:117]
	v_mov_b64_e32 v[98:99], v[96:97]
	s_and_saveexec_b32 s14, s10
; %bb.2961:                             ;   in Loop: Header=BB2_2709 Depth=2
	v_bfe_u32 v98, v96, 21, 1
	v_mov_b32_e32 v99, v37
	s_delay_alu instid0(VALU_DEP_1) | instskip(NEXT) | instid1(VALU_DEP_1)
	v_add_nc_u64_e32 v[98:99], v[96:97], v[98:99]
	v_add_nc_u64_e32 v[98:99], -1, v[98:99]
; %bb.2962:                             ;   in Loop: Header=BB2_2709 Depth=2
	s_or_b32 exec_lo, exec_lo, s14
	v_add_nc_u32_e32 v87, 0xffffff81, v87
	v_lshrrev_b32_e32 v97, 23, v96
	s_mov_b32 s10, exec_lo
	s_delay_alu instid0(VALU_DEP_2) | instskip(NEXT) | instid1(VALU_DEP_1)
	v_cndmask_b32_e64 v87, v87, 0xffffff82, vcc_lo
	v_add3_u32 v99, v115, v87, v97
	v_and_b32_e32 v87, 0x1fffff, v98
	s_delay_alu instid0(VALU_DEP_2) | instskip(NEXT) | instid1(VALU_DEP_2)
	v_dual_mov_b32 v97, v37 :: v_dual_add_nc_u32 v98, 14, v99
	v_add_nc_u32_e32 v96, v87, v96
                                        ; implicit-def: $vgpr87
	s_delay_alu instid0(VALU_DEP_2)
	v_cmpx_ne_u32_e32 0, v98
	s_xor_b32 s10, exec_lo, s10
; %bb.2963:                             ;   in Loop: Header=BB2_2709 Depth=2
	s_delay_alu instid0(VALU_DEP_2) | instskip(SKIP_1) | instid1(VALU_DEP_1)
	v_cmp_lt_u64_e32 vcc_lo, 0xffffff, v[96:97]
	v_add_nc_u32_e32 v87, 15, v99
	v_cndmask_b32_e32 v87, v98, v87, vcc_lo
	v_cndmask_b32_e64 v98, 0, 1, vcc_lo
	s_delay_alu instid0(VALU_DEP_1)
	v_lshrrev_b64 v[96:97], v98, v[96:97]
; %bb.2964:                             ;   in Loop: Header=BB2_2709 Depth=2
	s_and_not1_saveexec_b32 s10, s10
; %bb.2965:                             ;   in Loop: Header=BB2_2709 Depth=2
	s_delay_alu instid0(VALU_DEP_1)
	v_bfe_u32 v87, v96, 23, 1
; %bb.2966:                             ;   in Loop: Header=BB2_2709 Depth=2
	s_or_b32 exec_lo, exec_lo, s10
	s_delay_alu instid0(VALU_DEP_2) | instskip(NEXT) | instid1(VALU_DEP_2)
	v_lshrrev_b64 v[96:97], 21, v[96:97]
	v_cmp_gt_i32_e32 vcc_lo, 32, v87
	v_min_i32_e32 v98, 31, v87
	v_cmp_eq_u32_e64 s10, 0, v87
	s_delay_alu instid0(VALU_DEP_2) | instskip(SKIP_1) | instid1(VALU_DEP_2)
	v_dual_cndmask_b32 v97, 0, v97 :: v_dual_lshlrev_b32 v98, 2, v98
	v_cndmask_b32_e32 v96, 3, v96, vcc_lo
	v_and_b32_e32 v98, 0xfc, v98
	s_delay_alu instid0(VALU_DEP_2) | instskip(NEXT) | instid1(VALU_DEP_2)
	v_cmp_eq_u64_e32 vcc_lo, 0, v[96:97]
	v_and_or_b32 v87, v96, 3, v98
	s_and_b32 s10, s10, vcc_lo
	s_delay_alu instid0(VALU_DEP_1) | instid1(SALU_CYCLE_1)
	v_cndmask_b32_e64 v87, v87, 0, s10
	s_delay_alu instid0(VALU_DEP_1)
	v_or_b32_e32 v115, v87, v30
.LBB2_2967:                             ;   in Loop: Header=BB2_2709 Depth=2
	s_or_b32 exec_lo, exec_lo, s13
                                        ; implicit-def: $vgpr30
.LBB2_2968:                             ;   in Loop: Header=BB2_2709 Depth=2
	s_and_not1_saveexec_b32 s10, s12
; %bb.2969:                             ;   in Loop: Header=BB2_2709 Depth=2
	v_or_b32_e32 v115, 0x7b, v30
; %bb.2970:                             ;   in Loop: Header=BB2_2709 Depth=2
	s_or_b32 exec_lo, exec_lo, s10
                                        ; implicit-def: $vgpr118
                                        ; implicit-def: $vgpr96_vgpr97
                                        ; implicit-def: $vgpr30
.LBB2_2971:                             ;   in Loop: Header=BB2_2709 Depth=2
	s_and_not1_saveexec_b32 s10, s11
	s_cbranch_execz .LBB2_2977
; %bb.2972:                             ;   in Loop: Header=BB2_2709 Depth=2
	s_mov_b32 s11, exec_lo
                                        ; implicit-def: $vgpr115
	v_cmpx_ne_u64_e32 0, v[96:97]
	s_xor_b32 s11, exec_lo, s11
; %bb.2973:                             ;   in Loop: Header=BB2_2709 Depth=2
	v_or_b32_e32 v115, 0x7f, v30
                                        ; implicit-def: $vgpr118
; %bb.2974:                             ;   in Loop: Header=BB2_2709 Depth=2
	s_and_not1_saveexec_b32 s11, s11
; %bb.2975:                             ;   in Loop: Header=BB2_2709 Depth=2
	v_cmp_lt_i32_e32 vcc_lo, -1, v118
	v_cndmask_b32_e32 v115, 0xfc, v46, vcc_lo
; %bb.2976:                             ;   in Loop: Header=BB2_2709 Depth=2
	s_or_b32 exec_lo, exec_lo, s11
.LBB2_2977:                             ;   in Loop: Header=BB2_2709 Depth=2
	s_delay_alu instid0(SALU_CYCLE_1)
	s_or_b32 exec_lo, exec_lo, s10
	v_lshrrev_b16 v96, 8, v36
	v_cmp_lt_i16_e32 vcc_lo, -1, v36
	v_lshrrev_b16 v98, 8, v86
	s_mov_b32 s13, -1
	v_mov_b32_e32 v97, v37
	v_and_b32_e32 v99, 0xffff, v96
	v_cndmask_b32_e32 v116, 0xff800000, v45, vcc_lo
	v_cmp_ne_u16_e64 s12, 0, v98
	s_delay_alu instid0(VALU_DEP_3) | instskip(SKIP_2) | instid1(VALU_DEP_3)
	v_and_b32_e32 v30, 3, v99
	v_and_b32_e32 v41, 0x7c, v99
	v_bfe_u32 v36, v99, 2, 5
                                        ; implicit-def: $vgpr99
	v_clz_i32_u32_e32 v87, v30
	v_cmp_eq_u32_e32 vcc_lo, 0, v30
	s_delay_alu instid0(VALU_DEP_4) | instskip(NEXT) | instid1(VALU_DEP_4)
	v_cmp_eq_u32_e64 s10, 0x7c, v41
	v_cmp_eq_u32_e64 s11, 0, v36
	s_delay_alu instid0(VALU_DEP_4)
	v_min_u32_e32 v117, 32, v87
	v_lshlrev_b32_e32 v40, 24, v96
	v_and_b32_e32 v87, 0xffff, v98
	v_cndmask_b32_e32 v116, 0x7f800001, v116, vcc_lo
	s_and_b32 vcc_lo, exec_lo, s43
	v_subrev_nc_u32_e32 v118, 29, v117
	v_sub_nc_u32_e32 v117, 30, v117
	s_delay_alu instid0(VALU_DEP_2) | instskip(SKIP_1) | instid1(VALU_DEP_2)
	v_lshlrev_b64_e32 v[118:119], v118, v[96:97]
	v_and_or_b32 v97, v40, s27, 0x38000000
	v_and_b32_e32 v118, 3, v118
	s_cbranch_vccz .LBB2_2995
; %bb.2978:                             ;   in Loop: Header=BB2_2709 Depth=2
	v_mov_b32_e32 v99, 0
	s_and_saveexec_b32 s13, s12
	s_cbranch_execz .LBB2_2988
; %bb.2979:                             ;   in Loop: Header=BB2_2709 Depth=2
	v_bfrev_b32_e32 v99, 1
	s_mov_b32 s14, exec_lo
	v_cmpx_ne_u16_e32 0x80, v98
	s_cbranch_execz .LBB2_2987
; %bb.2980:                             ;   in Loop: Header=BB2_2709 Depth=2
	v_and_b32_e32 v99, 0x7c, v87
	v_and_b32_e32 v119, 3, v87
	s_delay_alu instid0(VALU_DEP_2) | instskip(SKIP_1) | instid1(SALU_CYCLE_1)
	v_cmp_ne_u32_e32 vcc_lo, 0x7c, v99
                                        ; implicit-def: $vgpr99
	s_and_saveexec_b32 s44, vcc_lo
	s_xor_b32 s44, exec_lo, s44
	s_cbranch_execz .LBB2_2984
; %bb.2981:                             ;   in Loop: Header=BB2_2709 Depth=2
	v_bfe_u32 v99, v87, 2, 5
	s_mov_b32 s45, exec_lo
	s_delay_alu instid0(VALU_DEP_1)
	v_cmpx_eq_u32_e32 0, v99
; %bb.2982:                             ;   in Loop: Header=BB2_2709 Depth=2
	v_clz_i32_u32_e32 v99, v119
	s_delay_alu instid0(VALU_DEP_1) | instskip(SKIP_1) | instid1(VALU_DEP_2)
	v_min_u32_e32 v119, 32, v99
	v_mov_b32_e32 v99, v37
	v_subrev_nc_u32_e32 v40, 29, v119
	s_delay_alu instid0(VALU_DEP_1) | instskip(NEXT) | instid1(VALU_DEP_1)
	v_lshlrev_b64_e32 v[40:41], v40, v[98:99]
	v_dual_sub_nc_u32 v99, 30, v119 :: v_dual_bitop2_b32 v119, 3, v40 bitop3:0x40
; %bb.2983:                             ;   in Loop: Header=BB2_2709 Depth=2
	s_or_b32 exec_lo, exec_lo, s45
	v_lshlrev_b32_e32 v40, 16, v86
	s_delay_alu instid0(VALU_DEP_1) | instskip(NEXT) | instid1(VALU_DEP_1)
	v_and_b32_e32 v40, 0x80000000, v40
	v_lshl_add_u32 v99, v99, 23, v40
	s_delay_alu instid0(VALU_DEP_1) | instskip(NEXT) | instid1(VALU_DEP_1)
	v_lshl_or_b32 v99, v119, 21, v99
                                        ; implicit-def: $vgpr119
	v_add_nc_u32_e32 v99, 0x38000000, v99
.LBB2_2984:                             ;   in Loop: Header=BB2_2709 Depth=2
	s_and_not1_saveexec_b32 s44, s44
; %bb.2985:                             ;   in Loop: Header=BB2_2709 Depth=2
	v_cmp_lt_i16_e32 vcc_lo, -1, v86
	v_cndmask_b32_e32 v99, 0xff800000, v45, vcc_lo
	v_cmp_eq_u32_e32 vcc_lo, 0, v119
	s_delay_alu instid0(VALU_DEP_2)
	v_cndmask_b32_e32 v99, 0x7f800001, v99, vcc_lo
; %bb.2986:                             ;   in Loop: Header=BB2_2709 Depth=2
	s_or_b32 exec_lo, exec_lo, s44
.LBB2_2987:                             ;   in Loop: Header=BB2_2709 Depth=2
	s_delay_alu instid0(SALU_CYCLE_1)
	s_or_b32 exec_lo, exec_lo, s14
.LBB2_2988:                             ;   in Loop: Header=BB2_2709 Depth=2
	s_delay_alu instid0(SALU_CYCLE_1)
	s_or_b32 exec_lo, exec_lo, s13
	s_mov_b32 s13, 0
	s_mov_b32 s14, exec_lo
	v_cmpx_lt_i16_e32 0x7f, v96
	s_xor_b32 s14, exec_lo, s14
	s_cbranch_execz .LBB2_3572
; %bb.2989:                             ;   in Loop: Header=BB2_2709 Depth=2
	s_mov_b32 s13, -1
	s_mov_b32 s44, exec_lo
	v_cmpx_eq_u16_e32 0x80, v96
; %bb.2990:                             ;   in Loop: Header=BB2_2709 Depth=2
	s_xor_b32 s13, exec_lo, -1
; %bb.2991:                             ;   in Loop: Header=BB2_2709 Depth=2
	s_or_b32 exec_lo, exec_lo, s44
	s_delay_alu instid0(SALU_CYCLE_1)
	s_and_b32 s13, s13, exec_lo
	s_or_saveexec_b32 s14, s14
	v_bfrev_b32_e32 v119, 1
	s_xor_b32 exec_lo, exec_lo, s14
	s_cbranch_execnz .LBB2_3573
.LBB2_2992:                             ;   in Loop: Header=BB2_2709 Depth=2
	s_or_b32 exec_lo, exec_lo, s14
	s_and_saveexec_b32 s14, s13
.LBB2_2993:                             ;   in Loop: Header=BB2_2709 Depth=2
	v_dual_cndmask_b32 v119, v36, v117, s11 :: v_dual_cndmask_b32 v40, v30, v118, s11
	s_delay_alu instid0(VALU_DEP_1) | instskip(NEXT) | instid1(VALU_DEP_1)
	v_lshl_add_u32 v119, v119, 23, v97
	v_lshl_or_b32 v119, v40, 21, v119
	s_delay_alu instid0(VALU_DEP_1)
	v_cndmask_b32_e64 v119, v119, v116, s10
.LBB2_2994:                             ;   in Loop: Header=BB2_2709 Depth=2
	s_or_b32 exec_lo, exec_lo, s14
	s_delay_alu instid0(VALU_DEP_1) | instskip(SKIP_2) | instid1(VALU_DEP_1)
	v_max_num_f32_e32 v119, v119, v119
	v_max_num_f32_e32 v99, v99, v99
	s_mov_b32 s13, 0
	v_max_num_f32_e32 v99, v99, v119
.LBB2_2995:                             ;   in Loop: Header=BB2_2709 Depth=2
	s_and_b32 vcc_lo, exec_lo, s13
	s_cbranch_vccz .LBB2_3013
; %bb.2996:                             ;   in Loop: Header=BB2_2709 Depth=2
	v_mov_b32_e32 v99, 0
	s_and_saveexec_b32 s13, s12
	s_cbranch_execz .LBB2_3006
; %bb.2997:                             ;   in Loop: Header=BB2_2709 Depth=2
	v_bfrev_b32_e32 v99, 1
	s_mov_b32 s12, exec_lo
	v_cmpx_ne_u16_e32 0x80, v98
	s_cbranch_execz .LBB2_3005
; %bb.2998:                             ;   in Loop: Header=BB2_2709 Depth=2
	v_and_b32_e32 v99, 0x7c, v87
	v_and_b32_e32 v119, 3, v87
	s_delay_alu instid0(VALU_DEP_2) | instskip(SKIP_1) | instid1(SALU_CYCLE_1)
	v_cmp_ne_u32_e32 vcc_lo, 0x7c, v99
                                        ; implicit-def: $vgpr99
	s_and_saveexec_b32 s14, vcc_lo
	s_xor_b32 s14, exec_lo, s14
	s_cbranch_execz .LBB2_3002
; %bb.2999:                             ;   in Loop: Header=BB2_2709 Depth=2
	v_bfe_u32 v87, v87, 2, 5
	s_mov_b32 s44, exec_lo
	s_delay_alu instid0(VALU_DEP_1)
	v_cmpx_eq_u32_e32 0, v87
	s_cbranch_execz .LBB2_3001
; %bb.3000:                             ;   in Loop: Header=BB2_2709 Depth=2
	v_clz_i32_u32_e32 v87, v119
	s_delay_alu instid0(VALU_DEP_1) | instskip(SKIP_1) | instid1(VALU_DEP_2)
	v_min_u32_e32 v87, 32, v87
	v_mov_b32_e32 v99, v37
	v_subrev_nc_u32_e32 v119, 29, v87
	v_sub_nc_u32_e32 v87, 30, v87
	s_delay_alu instid0(VALU_DEP_2) | instskip(NEXT) | instid1(VALU_DEP_1)
	v_lshlrev_b64_e32 v[98:99], v119, v[98:99]
	v_and_b32_e32 v119, 3, v98
.LBB2_3001:                             ;   in Loop: Header=BB2_2709 Depth=2
	s_or_b32 exec_lo, exec_lo, s44
	v_lshlrev_b32_e32 v86, 16, v86
	s_delay_alu instid0(VALU_DEP_1) | instskip(NEXT) | instid1(VALU_DEP_1)
	v_and_b32_e32 v86, 0x80000000, v86
	v_lshl_add_u32 v86, v87, 23, v86
	s_delay_alu instid0(VALU_DEP_1) | instskip(NEXT) | instid1(VALU_DEP_1)
	v_lshl_or_b32 v86, v119, 21, v86
                                        ; implicit-def: $vgpr119
	v_add_nc_u32_e32 v99, 0x38000000, v86
                                        ; implicit-def: $vgpr86_vgpr87
.LBB2_3002:                             ;   in Loop: Header=BB2_2709 Depth=2
	s_and_not1_saveexec_b32 s14, s14
; %bb.3003:                             ;   in Loop: Header=BB2_2709 Depth=2
	v_cmp_lt_i16_e32 vcc_lo, -1, v86
	v_cndmask_b32_e32 v86, 0xff800000, v45, vcc_lo
	v_cmp_eq_u32_e32 vcc_lo, 0, v119
	s_delay_alu instid0(VALU_DEP_2)
	v_cndmask_b32_e32 v99, 0x7f800001, v86, vcc_lo
; %bb.3004:                             ;   in Loop: Header=BB2_2709 Depth=2
	s_or_b32 exec_lo, exec_lo, s14
.LBB2_3005:                             ;   in Loop: Header=BB2_2709 Depth=2
	s_delay_alu instid0(SALU_CYCLE_1)
	s_or_b32 exec_lo, exec_lo, s12
.LBB2_3006:                             ;   in Loop: Header=BB2_2709 Depth=2
	s_delay_alu instid0(SALU_CYCLE_1)
	s_or_b32 exec_lo, exec_lo, s13
	s_mov_b32 s12, 0
	s_mov_b32 s13, exec_lo
	v_cmpx_lt_i16_e32 0x7f, v96
	s_xor_b32 s13, exec_lo, s13
	s_cbranch_execz .LBB2_3574
; %bb.3007:                             ;   in Loop: Header=BB2_2709 Depth=2
	s_mov_b32 s12, -1
	s_mov_b32 s14, exec_lo
	v_cmpx_eq_u16_e32 0x80, v96
; %bb.3008:                             ;   in Loop: Header=BB2_2709 Depth=2
	s_xor_b32 s12, exec_lo, -1
; %bb.3009:                             ;   in Loop: Header=BB2_2709 Depth=2
	s_or_b32 exec_lo, exec_lo, s14
	s_delay_alu instid0(SALU_CYCLE_1)
	s_and_b32 s12, s12, exec_lo
                                        ; implicit-def: $vgpr96
	s_or_saveexec_b32 s13, s13
	v_bfrev_b32_e32 v86, 1
	s_xor_b32 exec_lo, exec_lo, s13
	s_cbranch_execnz .LBB2_3575
.LBB2_3010:                             ;   in Loop: Header=BB2_2709 Depth=2
	s_or_b32 exec_lo, exec_lo, s13
	s_and_saveexec_b32 s13, s12
.LBB2_3011:                             ;   in Loop: Header=BB2_2709 Depth=2
	v_dual_cndmask_b32 v36, v36, v117, s11 :: v_dual_cndmask_b32 v30, v30, v118, s11
	s_delay_alu instid0(VALU_DEP_1) | instskip(NEXT) | instid1(VALU_DEP_1)
	v_lshl_add_u32 v36, v36, 23, v97
	v_lshl_or_b32 v30, v30, 21, v36
	s_delay_alu instid0(VALU_DEP_1)
	v_cndmask_b32_e64 v86, v30, v116, s10
.LBB2_3012:                             ;   in Loop: Header=BB2_2709 Depth=2
	s_or_b32 exec_lo, exec_lo, s13
	s_delay_alu instid0(VALU_DEP_1) | instskip(NEXT) | instid1(VALU_DEP_1)
	v_dual_max_num_f32 v30, v86, v86 :: v_dual_max_num_f32 v36, v99, v99
	v_min_num_f32_e32 v99, v36, v30
.LBB2_3013:                             ;   in Loop: Header=BB2_2709 Depth=2
	s_delay_alu instid0(VALU_DEP_1) | instskip(SKIP_3) | instid1(VALU_DEP_2)
	v_and_b32_e32 v86, 0x7f800000, v99
	v_dual_mov_b32 v87, v37 :: v_dual_lshrrev_b32 v30, 24, v99
	v_and_b32_e32 v36, 0x7fffff, v99
                                        ; implicit-def: $vgpr98
	s_mov_b32 s10, exec_lo
	v_cmpx_ne_u64_e32 0x7f800000, v[86:87]
	s_xor_b32 s11, exec_lo, s10
	s_cbranch_execz .LBB2_3027
; %bb.3014:                             ;   in Loop: Header=BB2_2709 Depth=2
	v_and_b32_e32 v86, 0x7fffffff, v99
	v_mov_b32_e32 v87, v37
	v_and_b32_e32 v30, 0x80, v30
                                        ; implicit-def: $vgpr98
	s_mov_b32 s10, exec_lo
	s_delay_alu instid0(VALU_DEP_2)
	v_cmpx_gt_u64_e32 0x47600001, v[86:87]
	s_xor_b32 s12, exec_lo, s10
	s_cbranch_execz .LBB2_3024
; %bb.3015:                             ;   in Loop: Header=BB2_2709 Depth=2
	v_mov_b32_e32 v98, 0
	s_mov_b32 s13, exec_lo
	v_cmpx_ne_u32_e32 0, v99
	s_cbranch_execz .LBB2_3023
; %bb.3016:                             ;   in Loop: Header=BB2_2709 Depth=2
	v_bfe_u32 v98, v99, 23, 8
	v_or_b32_e32 v96, 0x800000, v36
	s_delay_alu instid0(VALU_DEP_2) | instskip(SKIP_1) | instid1(VALU_DEP_2)
	v_sub_nc_u32_e32 v86, 0x71, v98
	v_cmp_gt_u32_e32 vcc_lo, 0x72, v98
	v_cndmask_b32_e32 v86, 0, v86, vcc_lo
	v_cmp_eq_u32_e32 vcc_lo, 0, v98
	s_delay_alu instid0(VALU_DEP_2) | instskip(NEXT) | instid1(VALU_DEP_1)
	v_cndmask_b32_e64 v99, v86, 0x70, vcc_lo
	v_dual_cndmask_b32 v36, v96, v36, vcc_lo :: v_dual_add_nc_u32 v86, 21, v99
	v_add_nc_u32_e32 v97, 20, v99
	s_delay_alu instid0(VALU_DEP_2) | instskip(NEXT) | instid1(VALU_DEP_2)
	v_lshlrev_b64_e64 v[86:87], v86, -1
	v_lshlrev_b64_e64 v[96:97], v97, 1
	s_delay_alu instid0(VALU_DEP_2) | instskip(NEXT) | instid1(VALU_DEP_3)
	v_bfi_b32 v117, v87, 0, 0
	v_bfi_b32 v116, v86, 0, v36
	v_lshrrev_b64 v[86:87], v99, v[36:37]
	s_delay_alu instid0(VALU_DEP_2) | instskip(NEXT) | instid1(VALU_DEP_2)
	v_cmp_eq_u64_e64 s10, v[116:117], v[96:97]
	v_mov_b64_e32 v[96:97], v[86:87]
	s_and_saveexec_b32 s14, s10
; %bb.3017:                             ;   in Loop: Header=BB2_2709 Depth=2
	v_bfe_u32 v36, v86, 21, 1
	s_delay_alu instid0(VALU_DEP_1) | instskip(NEXT) | instid1(VALU_DEP_1)
	v_add_nc_u64_e32 v[96:97], v[86:87], v[36:37]
	v_add_nc_u64_e32 v[96:97], -1, v[96:97]
; %bb.3018:                             ;   in Loop: Header=BB2_2709 Depth=2
	s_or_b32 exec_lo, exec_lo, s14
	v_add_nc_u32_e32 v36, 0xffffff81, v98
	v_lshrrev_b32_e32 v87, 23, v86
	s_mov_b32 s10, exec_lo
	s_delay_alu instid0(VALU_DEP_2) | instskip(NEXT) | instid1(VALU_DEP_1)
	v_cndmask_b32_e64 v36, v36, 0xffffff82, vcc_lo
	v_add3_u32 v97, v99, v36, v87
	v_and_b32_e32 v36, 0x1fffff, v96
                                        ; implicit-def: $vgpr96
	s_delay_alu instid0(VALU_DEP_1) | instskip(NEXT) | instid1(VALU_DEP_1)
	v_dual_add_nc_u32 v98, 14, v97 :: v_dual_add_nc_u32 v36, v36, v86
                                        ; implicit-def: $vgpr86_vgpr87
	v_cmpx_ne_u32_e32 0, v98
	s_xor_b32 s10, exec_lo, s10
; %bb.3019:                             ;   in Loop: Header=BB2_2709 Depth=2
	s_delay_alu instid0(VALU_DEP_2) | instskip(SKIP_1) | instid1(VALU_DEP_1)
	v_cmp_lt_u64_e32 vcc_lo, 0xffffff, v[36:37]
	v_add_nc_u32_e32 v86, 15, v97
	v_cndmask_b32_e32 v96, v98, v86, vcc_lo
	v_cndmask_b32_e64 v86, 0, 1, vcc_lo
	s_delay_alu instid0(VALU_DEP_1)
	v_lshrrev_b64 v[86:87], v86, v[36:37]
; %bb.3020:                             ;   in Loop: Header=BB2_2709 Depth=2
	s_and_not1_saveexec_b32 s10, s10
; %bb.3021:                             ;   in Loop: Header=BB2_2709 Depth=2
	v_mov_b64_e32 v[86:87], v[36:37]
	v_bfe_u32 v96, v36, 23, 1
; %bb.3022:                             ;   in Loop: Header=BB2_2709 Depth=2
	s_or_b32 exec_lo, exec_lo, s10
	s_delay_alu instid0(VALU_DEP_2) | instskip(NEXT) | instid1(VALU_DEP_2)
	v_lshrrev_b64 v[86:87], 21, v[86:87]
	v_cmp_gt_i32_e32 vcc_lo, 32, v96
	v_min_i32_e32 v36, 31, v96
	v_cmp_eq_u32_e64 s10, 0, v96
	s_delay_alu instid0(VALU_DEP_2) | instskip(SKIP_1) | instid1(VALU_DEP_2)
	v_dual_cndmask_b32 v87, 0, v87 :: v_dual_lshlrev_b32 v36, 2, v36
	v_cndmask_b32_e32 v86, 3, v86, vcc_lo
	v_and_b32_e32 v36, 0xfc, v36
	s_delay_alu instid0(VALU_DEP_2) | instskip(NEXT) | instid1(VALU_DEP_2)
	v_cmp_eq_u64_e32 vcc_lo, 0, v[86:87]
	v_and_or_b32 v36, v86, 3, v36
	s_and_b32 s10, s10, vcc_lo
	s_delay_alu instid0(VALU_DEP_1) | instid1(SALU_CYCLE_1)
	v_cndmask_b32_e64 v36, v36, 0, s10
	s_delay_alu instid0(VALU_DEP_1)
	v_or_b32_e32 v98, v36, v30
.LBB2_3023:                             ;   in Loop: Header=BB2_2709 Depth=2
	s_or_b32 exec_lo, exec_lo, s13
                                        ; implicit-def: $vgpr30
.LBB2_3024:                             ;   in Loop: Header=BB2_2709 Depth=2
	s_and_not1_saveexec_b32 s10, s12
; %bb.3025:                             ;   in Loop: Header=BB2_2709 Depth=2
	v_or_b32_e32 v98, 0x7b, v30
; %bb.3026:                             ;   in Loop: Header=BB2_2709 Depth=2
	s_or_b32 exec_lo, exec_lo, s10
                                        ; implicit-def: $vgpr99
                                        ; implicit-def: $vgpr30
.LBB2_3027:                             ;   in Loop: Header=BB2_2709 Depth=2
	s_and_not1_saveexec_b32 s10, s11
	s_cbranch_execz .LBB2_3033
; %bb.3028:                             ;   in Loop: Header=BB2_2709 Depth=2
	s_mov_b32 s11, exec_lo
                                        ; implicit-def: $vgpr98
	v_cmpx_ne_u64_e32 0, v[36:37]
	s_xor_b32 s11, exec_lo, s11
; %bb.3029:                             ;   in Loop: Header=BB2_2709 Depth=2
	v_or_b32_e32 v98, 0x7f, v30
                                        ; implicit-def: $vgpr99
; %bb.3030:                             ;   in Loop: Header=BB2_2709 Depth=2
	s_and_not1_saveexec_b32 s11, s11
; %bb.3031:                             ;   in Loop: Header=BB2_2709 Depth=2
	v_cmp_lt_i32_e32 vcc_lo, -1, v99
	v_cndmask_b32_e32 v98, 0xfc, v46, vcc_lo
; %bb.3032:                             ;   in Loop: Header=BB2_2709 Depth=2
	s_or_b32 exec_lo, exec_lo, s11
.LBB2_3033:                             ;   in Loop: Header=BB2_2709 Depth=2
	s_delay_alu instid0(SALU_CYCLE_1) | instskip(SKIP_4) | instid1(VALU_DEP_3)
	s_or_b32 exec_lo, exec_lo, s10
	v_bfe_u32 v36, v15, 16, 2
	v_dual_lshrrev_b32 v96, 16, v15 :: v_dual_lshlrev_b32 v99, 8, v15
	v_and_b32_e32 v87, 0x7c0000, v15
	s_mov_b32 s13, -1
	v_clz_i32_u32_e32 v86, v36
	s_delay_alu instid0(VALU_DEP_3) | instskip(NEXT) | instid1(VALU_DEP_3)
	v_bfe_i32 v116, v96, 0, 8
	v_cmp_eq_u32_e64 s10, 0x7c0000, v87
	v_and_or_b32 v87, v99, s27, 0x38000000
	s_delay_alu instid0(VALU_DEP_4) | instskip(SKIP_3) | instid1(VALU_DEP_4)
	v_min_u32_e32 v97, 32, v86
	v_lshrrev_b32_e32 v30, 16, v11
	v_cmp_lt_i16_e32 vcc_lo, -1, v116
	v_bfe_u32 v86, v15, 18, 5
	v_subrev_nc_u32_e32 v118, 29, v97
	s_delay_alu instid0(VALU_DEP_2) | instskip(NEXT) | instid1(VALU_DEP_2)
	v_cmp_eq_u32_e64 s11, 0, v86
	v_lshlrev_b64_e32 v[118:119], v118, v[96:97]
	v_cndmask_b32_e32 v96, 0xff800000, v45, vcc_lo
	v_sub_nc_u32_e32 v97, 30, v97
	v_and_b32_e32 v117, 0xff, v30
	v_cmp_eq_u32_e32 vcc_lo, 0, v36
	v_and_b32_e32 v99, 3, v118
	s_delay_alu instid0(VALU_DEP_3)
	v_cmp_ne_u16_e64 s12, 0, v117
	v_cndmask_b32_e32 v96, 0x7f800001, v96, vcc_lo
	s_and_b32 vcc_lo, exec_lo, s43
                                        ; implicit-def: $vgpr118
	s_cbranch_vccz .LBB2_3051
; %bb.3034:                             ;   in Loop: Header=BB2_2709 Depth=2
	v_mov_b32_e32 v118, 0
	s_and_saveexec_b32 s13, s12
	s_cbranch_execz .LBB2_3044
; %bb.3035:                             ;   in Loop: Header=BB2_2709 Depth=2
	v_bfrev_b32_e32 v118, 1
	s_mov_b32 s14, exec_lo
	v_cmpx_ne_u16_e32 0x80, v117
	s_cbranch_execz .LBB2_3043
; %bb.3036:                             ;   in Loop: Header=BB2_2709 Depth=2
	v_and_b32_e32 v118, 0x7c0000, v11
	v_bfe_u32 v119, v11, 16, 2
	s_delay_alu instid0(VALU_DEP_2) | instskip(SKIP_1) | instid1(SALU_CYCLE_1)
	v_cmp_ne_u32_e32 vcc_lo, 0x7c0000, v118
                                        ; implicit-def: $vgpr118
	s_and_saveexec_b32 s44, vcc_lo
	s_xor_b32 s44, exec_lo, s44
	s_cbranch_execz .LBB2_3040
; %bb.3037:                             ;   in Loop: Header=BB2_2709 Depth=2
	v_bfe_u32 v118, v11, 18, 5
	s_mov_b32 s45, exec_lo
	s_delay_alu instid0(VALU_DEP_1)
	v_cmpx_eq_u32_e32 0, v118
; %bb.3038:                             ;   in Loop: Header=BB2_2709 Depth=2
	v_clz_i32_u32_e32 v118, v119
	s_delay_alu instid0(VALU_DEP_1) | instskip(NEXT) | instid1(VALU_DEP_1)
	v_min_u32_e32 v118, 32, v118
	v_subrev_nc_u32_e32 v119, 29, v118
	s_delay_alu instid0(VALU_DEP_1) | instskip(NEXT) | instid1(VALU_DEP_1)
	v_lshlrev_b64_e32 v[40:41], v119, v[30:31]
	v_dual_sub_nc_u32 v118, 30, v118 :: v_dual_bitop2_b32 v119, 3, v40 bitop3:0x40
; %bb.3039:                             ;   in Loop: Header=BB2_2709 Depth=2
	s_or_b32 exec_lo, exec_lo, s45
	v_lshlrev_b32_e32 v40, 24, v30
	s_delay_alu instid0(VALU_DEP_1) | instskip(NEXT) | instid1(VALU_DEP_1)
	v_and_b32_e32 v40, 0x80000000, v40
	v_lshl_add_u32 v118, v118, 23, v40
	s_delay_alu instid0(VALU_DEP_1) | instskip(NEXT) | instid1(VALU_DEP_1)
	v_lshl_or_b32 v118, v119, 21, v118
                                        ; implicit-def: $vgpr119
	v_add_nc_u32_e32 v118, 0x38000000, v118
.LBB2_3040:                             ;   in Loop: Header=BB2_2709 Depth=2
	s_and_not1_saveexec_b32 s44, s44
; %bb.3041:                             ;   in Loop: Header=BB2_2709 Depth=2
	v_bfe_i32 v118, v30, 0, 8
	s_delay_alu instid0(VALU_DEP_1) | instskip(SKIP_2) | instid1(VALU_DEP_2)
	v_cmp_lt_i16_e32 vcc_lo, -1, v118
	v_cndmask_b32_e32 v118, 0xff800000, v45, vcc_lo
	v_cmp_eq_u32_e32 vcc_lo, 0, v119
	v_cndmask_b32_e32 v118, 0x7f800001, v118, vcc_lo
; %bb.3042:                             ;   in Loop: Header=BB2_2709 Depth=2
	s_or_b32 exec_lo, exec_lo, s44
.LBB2_3043:                             ;   in Loop: Header=BB2_2709 Depth=2
	s_delay_alu instid0(SALU_CYCLE_1)
	s_or_b32 exec_lo, exec_lo, s14
.LBB2_3044:                             ;   in Loop: Header=BB2_2709 Depth=2
	s_delay_alu instid0(SALU_CYCLE_1) | instskip(SKIP_3) | instid1(VALU_DEP_1)
	s_or_b32 exec_lo, exec_lo, s13
	v_and_b32_e32 v40, 0xff, v116
	s_mov_b32 s13, 0
	s_mov_b32 s14, exec_lo
	v_cmpx_lt_i16_e32 0x7f, v40
	s_xor_b32 s14, exec_lo, s14
	s_cbranch_execz .LBB2_3576
; %bb.3045:                             ;   in Loop: Header=BB2_2709 Depth=2
	s_mov_b32 s13, -1
	s_mov_b32 s44, exec_lo
	v_cmpx_eq_u16_e32 0x80, v40
; %bb.3046:                             ;   in Loop: Header=BB2_2709 Depth=2
	s_xor_b32 s13, exec_lo, -1
; %bb.3047:                             ;   in Loop: Header=BB2_2709 Depth=2
	s_or_b32 exec_lo, exec_lo, s44
	s_delay_alu instid0(SALU_CYCLE_1)
	s_and_b32 s13, s13, exec_lo
                                        ; implicit-def: $vgpr40
	s_or_saveexec_b32 s14, s14
	v_bfrev_b32_e32 v119, 1
	s_xor_b32 exec_lo, exec_lo, s14
	s_cbranch_execnz .LBB2_3577
.LBB2_3048:                             ;   in Loop: Header=BB2_2709 Depth=2
	s_or_b32 exec_lo, exec_lo, s14
	s_and_saveexec_b32 s14, s13
.LBB2_3049:                             ;   in Loop: Header=BB2_2709 Depth=2
	v_dual_cndmask_b32 v119, v86, v97, s11 :: v_dual_cndmask_b32 v40, v36, v99, s11
	s_delay_alu instid0(VALU_DEP_1) | instskip(NEXT) | instid1(VALU_DEP_1)
	v_lshl_add_u32 v119, v119, 23, v87
	v_lshl_or_b32 v119, v40, 21, v119
	s_delay_alu instid0(VALU_DEP_1)
	v_cndmask_b32_e64 v119, v119, v96, s10
.LBB2_3050:                             ;   in Loop: Header=BB2_2709 Depth=2
	s_or_b32 exec_lo, exec_lo, s14
	s_delay_alu instid0(VALU_DEP_1) | instskip(SKIP_1) | instid1(VALU_DEP_1)
	v_dual_max_num_f32 v119, v119, v119 :: v_dual_max_num_f32 v118, v118, v118
	s_mov_b32 s13, 0
	v_max_num_f32_e32 v118, v118, v119
.LBB2_3051:                             ;   in Loop: Header=BB2_2709 Depth=2
	s_and_b32 vcc_lo, exec_lo, s13
	s_cbranch_vccz .LBB2_3069
; %bb.3052:                             ;   in Loop: Header=BB2_2709 Depth=2
	v_mov_b32_e32 v118, 0
	s_and_saveexec_b32 s13, s12
	s_cbranch_execz .LBB2_3062
; %bb.3053:                             ;   in Loop: Header=BB2_2709 Depth=2
	v_bfrev_b32_e32 v118, 1
	s_mov_b32 s12, exec_lo
	v_cmpx_ne_u16_e32 0x80, v117
	s_cbranch_execz .LBB2_3061
; %bb.3054:                             ;   in Loop: Header=BB2_2709 Depth=2
	v_and_b32_e32 v118, 0x7c0000, v11
	v_bfe_u32 v117, v11, 16, 2
	s_delay_alu instid0(VALU_DEP_2) | instskip(SKIP_1) | instid1(SALU_CYCLE_1)
	v_cmp_ne_u32_e32 vcc_lo, 0x7c0000, v118
                                        ; implicit-def: $vgpr118
	s_and_saveexec_b32 s14, vcc_lo
	s_xor_b32 s14, exec_lo, s14
	s_cbranch_execz .LBB2_3058
; %bb.3055:                             ;   in Loop: Header=BB2_2709 Depth=2
	v_bfe_u32 v118, v11, 18, 5
	s_mov_b32 s44, exec_lo
	s_delay_alu instid0(VALU_DEP_1)
	v_cmpx_eq_u32_e32 0, v118
; %bb.3056:                             ;   in Loop: Header=BB2_2709 Depth=2
	v_clz_i32_u32_e32 v117, v117
	s_delay_alu instid0(VALU_DEP_1) | instskip(NEXT) | instid1(VALU_DEP_1)
	v_min_u32_e32 v117, 32, v117
	v_subrev_nc_u32_e32 v118, 29, v117
	s_delay_alu instid0(VALU_DEP_1) | instskip(NEXT) | instid1(VALU_DEP_1)
	v_lshlrev_b64_e32 v[40:41], v118, v[30:31]
	v_dual_sub_nc_u32 v118, 30, v117 :: v_dual_bitop2_b32 v117, 3, v40 bitop3:0x40
; %bb.3057:                             ;   in Loop: Header=BB2_2709 Depth=2
	s_or_b32 exec_lo, exec_lo, s44
	v_lshlrev_b32_e32 v30, 24, v30
	s_delay_alu instid0(VALU_DEP_1) | instskip(NEXT) | instid1(VALU_DEP_1)
	v_and_b32_e32 v30, 0x80000000, v30
	v_lshl_add_u32 v30, v118, 23, v30
	s_delay_alu instid0(VALU_DEP_1) | instskip(NEXT) | instid1(VALU_DEP_1)
	v_lshl_or_b32 v30, v117, 21, v30
                                        ; implicit-def: $vgpr117
	v_add_nc_u32_e32 v118, 0x38000000, v30
                                        ; implicit-def: $vgpr30
.LBB2_3058:                             ;   in Loop: Header=BB2_2709 Depth=2
	s_and_not1_saveexec_b32 s14, s14
; %bb.3059:                             ;   in Loop: Header=BB2_2709 Depth=2
	v_bfe_i32 v30, v30, 0, 8
	s_delay_alu instid0(VALU_DEP_1) | instskip(SKIP_2) | instid1(VALU_DEP_2)
	v_cmp_lt_i16_e32 vcc_lo, -1, v30
	v_cndmask_b32_e32 v30, 0xff800000, v45, vcc_lo
	v_cmp_eq_u32_e32 vcc_lo, 0, v117
	v_cndmask_b32_e32 v118, 0x7f800001, v30, vcc_lo
; %bb.3060:                             ;   in Loop: Header=BB2_2709 Depth=2
	s_or_b32 exec_lo, exec_lo, s14
.LBB2_3061:                             ;   in Loop: Header=BB2_2709 Depth=2
	s_delay_alu instid0(SALU_CYCLE_1)
	s_or_b32 exec_lo, exec_lo, s12
.LBB2_3062:                             ;   in Loop: Header=BB2_2709 Depth=2
	s_delay_alu instid0(SALU_CYCLE_1) | instskip(SKIP_3) | instid1(VALU_DEP_1)
	s_or_b32 exec_lo, exec_lo, s13
	v_and_b32_e32 v116, 0xff, v116
	s_mov_b32 s12, 0
	s_mov_b32 s13, exec_lo
	v_cmpx_lt_i16_e32 0x7f, v116
	s_xor_b32 s13, exec_lo, s13
	s_cbranch_execz .LBB2_3578
; %bb.3063:                             ;   in Loop: Header=BB2_2709 Depth=2
	s_mov_b32 s12, -1
	s_mov_b32 s14, exec_lo
	v_cmpx_eq_u16_e32 0x80, v116
; %bb.3064:                             ;   in Loop: Header=BB2_2709 Depth=2
	s_xor_b32 s12, exec_lo, -1
; %bb.3065:                             ;   in Loop: Header=BB2_2709 Depth=2
	s_or_b32 exec_lo, exec_lo, s14
	s_delay_alu instid0(SALU_CYCLE_1)
	s_and_b32 s12, s12, exec_lo
                                        ; implicit-def: $vgpr116
	s_or_saveexec_b32 s13, s13
	v_bfrev_b32_e32 v30, 1
	s_xor_b32 exec_lo, exec_lo, s13
	s_cbranch_execnz .LBB2_3579
.LBB2_3066:                             ;   in Loop: Header=BB2_2709 Depth=2
	s_or_b32 exec_lo, exec_lo, s13
	s_and_saveexec_b32 s13, s12
.LBB2_3067:                             ;   in Loop: Header=BB2_2709 Depth=2
	v_dual_cndmask_b32 v30, v86, v97, s11 :: v_dual_cndmask_b32 v36, v36, v99, s11
	s_delay_alu instid0(VALU_DEP_1) | instskip(NEXT) | instid1(VALU_DEP_1)
	v_lshl_add_u32 v30, v30, 23, v87
	v_lshl_or_b32 v30, v36, 21, v30
	s_delay_alu instid0(VALU_DEP_1)
	v_cndmask_b32_e64 v30, v30, v96, s10
.LBB2_3068:                             ;   in Loop: Header=BB2_2709 Depth=2
	s_or_b32 exec_lo, exec_lo, s13
	s_delay_alu instid0(VALU_DEP_1) | instskip(SKIP_1) | instid1(VALU_DEP_1)
	v_max_num_f32_e32 v30, v30, v30
	v_max_num_f32_e32 v36, v118, v118
	v_min_num_f32_e32 v118, v36, v30
.LBB2_3069:                             ;   in Loop: Header=BB2_2709 Depth=2
	s_delay_alu instid0(VALU_DEP_1) | instskip(SKIP_3) | instid1(VALU_DEP_2)
	v_and_b32_e32 v86, 0x7f800000, v118
	v_dual_mov_b32 v87, v37 :: v_dual_lshrrev_b32 v30, 24, v118
	v_and_b32_e32 v36, 0x7fffff, v118
                                        ; implicit-def: $vgpr96
	s_mov_b32 s10, exec_lo
	v_cmpx_ne_u64_e32 0x7f800000, v[86:87]
	s_xor_b32 s11, exec_lo, s10
	s_cbranch_execz .LBB2_3083
; %bb.3070:                             ;   in Loop: Header=BB2_2709 Depth=2
	v_and_b32_e32 v86, 0x7fffffff, v118
	v_mov_b32_e32 v87, v37
	v_and_b32_e32 v30, 0x80, v30
                                        ; implicit-def: $vgpr96
	s_mov_b32 s10, exec_lo
	s_delay_alu instid0(VALU_DEP_2)
	v_cmpx_gt_u64_e32 0x47600001, v[86:87]
	s_xor_b32 s12, exec_lo, s10
	s_cbranch_execz .LBB2_3080
; %bb.3071:                             ;   in Loop: Header=BB2_2709 Depth=2
	v_mov_b32_e32 v96, 0
	s_mov_b32 s13, exec_lo
	v_cmpx_ne_u32_e32 0, v118
	s_cbranch_execz .LBB2_3079
; %bb.3072:                             ;   in Loop: Header=BB2_2709 Depth=2
	v_bfe_u32 v99, v118, 23, 8
	v_or_b32_e32 v96, 0x800000, v36
	s_delay_alu instid0(VALU_DEP_2) | instskip(SKIP_1) | instid1(VALU_DEP_2)
	v_sub_nc_u32_e32 v86, 0x71, v99
	v_cmp_gt_u32_e32 vcc_lo, 0x72, v99
	v_cndmask_b32_e32 v86, 0, v86, vcc_lo
	v_cmp_eq_u32_e32 vcc_lo, 0, v99
	s_delay_alu instid0(VALU_DEP_2) | instskip(SKIP_1) | instid1(VALU_DEP_2)
	v_cndmask_b32_e64 v116, v86, 0x70, vcc_lo
	v_cndmask_b32_e32 v36, v96, v36, vcc_lo
	v_dual_add_nc_u32 v86, 21, v116 :: v_dual_add_nc_u32 v97, 20, v116
	s_delay_alu instid0(VALU_DEP_1) | instskip(NEXT) | instid1(VALU_DEP_2)
	v_lshlrev_b64_e64 v[86:87], v86, -1
	v_lshlrev_b64_e64 v[96:97], v97, 1
	s_delay_alu instid0(VALU_DEP_2) | instskip(NEXT) | instid1(VALU_DEP_3)
	v_bfi_b32 v119, v87, 0, 0
	v_bfi_b32 v118, v86, 0, v36
	v_lshrrev_b64 v[86:87], v116, v[36:37]
	s_delay_alu instid0(VALU_DEP_2) | instskip(NEXT) | instid1(VALU_DEP_2)
	v_cmp_eq_u64_e64 s10, v[118:119], v[96:97]
	v_mov_b64_e32 v[96:97], v[86:87]
	s_and_saveexec_b32 s14, s10
; %bb.3073:                             ;   in Loop: Header=BB2_2709 Depth=2
	v_bfe_u32 v36, v86, 21, 1
	s_delay_alu instid0(VALU_DEP_1) | instskip(NEXT) | instid1(VALU_DEP_1)
	v_add_nc_u64_e32 v[96:97], v[86:87], v[36:37]
	v_add_nc_u64_e32 v[96:97], -1, v[96:97]
; %bb.3074:                             ;   in Loop: Header=BB2_2709 Depth=2
	s_or_b32 exec_lo, exec_lo, s14
	v_add_nc_u32_e32 v36, 0xffffff81, v99
	v_lshrrev_b32_e32 v87, 23, v86
	s_mov_b32 s10, exec_lo
	s_delay_alu instid0(VALU_DEP_2) | instskip(NEXT) | instid1(VALU_DEP_1)
	v_cndmask_b32_e64 v36, v36, 0xffffff82, vcc_lo
	v_add3_u32 v97, v116, v36, v87
	v_and_b32_e32 v36, 0x1fffff, v96
                                        ; implicit-def: $vgpr96
	s_delay_alu instid0(VALU_DEP_1) | instskip(NEXT) | instid1(VALU_DEP_1)
	v_dual_add_nc_u32 v99, 14, v97 :: v_dual_add_nc_u32 v36, v36, v86
                                        ; implicit-def: $vgpr86_vgpr87
	v_cmpx_ne_u32_e32 0, v99
	s_xor_b32 s10, exec_lo, s10
; %bb.3075:                             ;   in Loop: Header=BB2_2709 Depth=2
	s_delay_alu instid0(VALU_DEP_2) | instskip(SKIP_1) | instid1(VALU_DEP_1)
	v_cmp_lt_u64_e32 vcc_lo, 0xffffff, v[36:37]
	v_add_nc_u32_e32 v86, 15, v97
	v_cndmask_b32_e32 v96, v99, v86, vcc_lo
	v_cndmask_b32_e64 v86, 0, 1, vcc_lo
	s_delay_alu instid0(VALU_DEP_1)
	v_lshrrev_b64 v[86:87], v86, v[36:37]
; %bb.3076:                             ;   in Loop: Header=BB2_2709 Depth=2
	s_and_not1_saveexec_b32 s10, s10
; %bb.3077:                             ;   in Loop: Header=BB2_2709 Depth=2
	v_mov_b64_e32 v[86:87], v[36:37]
	v_bfe_u32 v96, v36, 23, 1
; %bb.3078:                             ;   in Loop: Header=BB2_2709 Depth=2
	s_or_b32 exec_lo, exec_lo, s10
	s_delay_alu instid0(VALU_DEP_2) | instskip(NEXT) | instid1(VALU_DEP_2)
	v_lshrrev_b64 v[86:87], 21, v[86:87]
	v_cmp_gt_i32_e32 vcc_lo, 32, v96
	v_min_i32_e32 v36, 31, v96
	v_cmp_eq_u32_e64 s10, 0, v96
	s_delay_alu instid0(VALU_DEP_2) | instskip(SKIP_1) | instid1(VALU_DEP_2)
	v_dual_cndmask_b32 v87, 0, v87 :: v_dual_lshlrev_b32 v36, 2, v36
	v_cndmask_b32_e32 v86, 3, v86, vcc_lo
	v_and_b32_e32 v36, 0xfc, v36
	s_delay_alu instid0(VALU_DEP_2) | instskip(NEXT) | instid1(VALU_DEP_2)
	v_cmp_eq_u64_e32 vcc_lo, 0, v[86:87]
	v_and_or_b32 v36, v86, 3, v36
	s_and_b32 s10, s10, vcc_lo
	s_delay_alu instid0(VALU_DEP_1) | instid1(SALU_CYCLE_1)
	v_cndmask_b32_e64 v36, v36, 0, s10
	s_delay_alu instid0(VALU_DEP_1)
	v_or_b32_e32 v96, v36, v30
.LBB2_3079:                             ;   in Loop: Header=BB2_2709 Depth=2
	s_or_b32 exec_lo, exec_lo, s13
                                        ; implicit-def: $vgpr30
.LBB2_3080:                             ;   in Loop: Header=BB2_2709 Depth=2
	s_and_not1_saveexec_b32 s10, s12
; %bb.3081:                             ;   in Loop: Header=BB2_2709 Depth=2
	v_or_b32_e32 v96, 0x7b, v30
; %bb.3082:                             ;   in Loop: Header=BB2_2709 Depth=2
	s_or_b32 exec_lo, exec_lo, s10
                                        ; implicit-def: $vgpr118
                                        ; implicit-def: $vgpr30
.LBB2_3083:                             ;   in Loop: Header=BB2_2709 Depth=2
	s_and_not1_saveexec_b32 s10, s11
	s_cbranch_execz .LBB2_3089
; %bb.3084:                             ;   in Loop: Header=BB2_2709 Depth=2
	s_mov_b32 s11, exec_lo
                                        ; implicit-def: $vgpr96
	v_cmpx_ne_u64_e32 0, v[36:37]
	s_xor_b32 s11, exec_lo, s11
; %bb.3085:                             ;   in Loop: Header=BB2_2709 Depth=2
	v_or_b32_e32 v96, 0x7f, v30
                                        ; implicit-def: $vgpr118
; %bb.3086:                             ;   in Loop: Header=BB2_2709 Depth=2
	s_and_not1_saveexec_b32 s11, s11
; %bb.3087:                             ;   in Loop: Header=BB2_2709 Depth=2
	v_cmp_lt_i32_e32 vcc_lo, -1, v118
	v_cndmask_b32_e32 v96, 0xfc, v46, vcc_lo
; %bb.3088:                             ;   in Loop: Header=BB2_2709 Depth=2
	s_or_b32 exec_lo, exec_lo, s11
.LBB2_3089:                             ;   in Loop: Header=BB2_2709 Depth=2
	s_delay_alu instid0(SALU_CYCLE_1)
	s_or_b32 exec_lo, exec_lo, s10
	v_bfe_u32 v36, v15, 24, 2
	v_lshrrev_b32_e32 v116, 24, v15
	v_cmp_lt_i64_e32 vcc_lo, -1, v[14:15]
	v_cmp_gt_u64_e64 s10, s[16:17], v[14:15]
	v_and_b32_e32 v99, 0x7c000000, v15
	v_clz_i32_u32_e32 v86, v36
	v_cmp_lt_u64_e64 s14, s[18:19], v[10:11]
	v_and_or_b32 v87, v15, s27, 0x38000000
	s_mov_b32 s44, -1
	v_cndmask_b32_e32 v14, 0xff800000, v45, vcc_lo
	v_min_u32_e32 v97, 32, v86
	v_bfe_u32 v86, v15, 26, 5
	v_cmp_eq_u32_e32 vcc_lo, 0, v36
	v_lshrrev_b32_e32 v30, 24, v11
	v_cmp_eq_u32_e64 s12, 0x7c000000, v99
	v_subrev_nc_u32_e32 v117, 29, v97
	v_cmp_eq_u32_e64 s13, 0, v86
	v_dual_cndmask_b32 v14, 0x7f800001, v14 :: v_dual_sub_nc_u32 v15, 30, v97
	s_and_b32 vcc_lo, exec_lo, s43
	v_lshlrev_b64_e32 v[118:119], v117, v[116:117]
                                        ; implicit-def: $vgpr99
	s_delay_alu instid0(VALU_DEP_1)
	v_and_b32_e32 v97, 3, v118
	v_cmp_eq_u32_e64 s11, 0x80, v116
	s_cbranch_vccz .LBB2_3101
; %bb.3090:                             ;   in Loop: Header=BB2_2709 Depth=2
	v_mov_b32_e32 v99, 0
	s_and_saveexec_b32 s44, s14
	s_cbranch_execz .LBB2_3100
; %bb.3091:                             ;   in Loop: Header=BB2_2709 Depth=2
	v_bfrev_b32_e32 v99, 1
	s_mov_b32 s45, exec_lo
	v_cmpx_ne_u32_e32 0x80, v30
	s_cbranch_execz .LBB2_3099
; %bb.3092:                             ;   in Loop: Header=BB2_2709 Depth=2
	v_and_b32_e32 v99, 0x7c000000, v11
	v_bfe_u32 v116, v11, 24, 2
	s_delay_alu instid0(VALU_DEP_2) | instskip(SKIP_1) | instid1(SALU_CYCLE_1)
	v_cmp_ne_u32_e32 vcc_lo, 0x7c000000, v99
                                        ; implicit-def: $vgpr99
	s_and_saveexec_b32 s46, vcc_lo
	s_xor_b32 s46, exec_lo, s46
	s_cbranch_execz .LBB2_3096
; %bb.3093:                             ;   in Loop: Header=BB2_2709 Depth=2
	v_bfe_u32 v99, v11, 26, 5
	s_mov_b32 s47, exec_lo
	s_delay_alu instid0(VALU_DEP_1)
	v_cmpx_eq_u32_e32 0, v99
; %bb.3094:                             ;   in Loop: Header=BB2_2709 Depth=2
	v_clz_i32_u32_e32 v99, v116
	s_delay_alu instid0(VALU_DEP_1) | instskip(NEXT) | instid1(VALU_DEP_1)
	v_min_u32_e32 v99, 32, v99
	v_subrev_nc_u32_e32 v116, 29, v99
	s_delay_alu instid0(VALU_DEP_1) | instskip(NEXT) | instid1(VALU_DEP_1)
	v_lshlrev_b64_e32 v[116:117], v116, v[30:31]
	v_dual_sub_nc_u32 v99, 30, v99 :: v_dual_bitop2_b32 v116, 3, v116 bitop3:0x40
; %bb.3095:                             ;   in Loop: Header=BB2_2709 Depth=2
	s_or_b32 exec_lo, exec_lo, s47
	v_and_b32_e32 v117, 0x80000000, v11
	s_delay_alu instid0(VALU_DEP_1) | instskip(NEXT) | instid1(VALU_DEP_1)
	v_lshl_add_u32 v99, v99, 23, v117
	v_lshl_or_b32 v99, v116, 21, v99
                                        ; implicit-def: $vgpr116
	s_delay_alu instid0(VALU_DEP_1)
	v_add_nc_u32_e32 v99, 0x38000000, v99
.LBB2_3096:                             ;   in Loop: Header=BB2_2709 Depth=2
	s_and_not1_saveexec_b32 s46, s46
; %bb.3097:                             ;   in Loop: Header=BB2_2709 Depth=2
	v_cmp_lt_i64_e32 vcc_lo, -1, v[10:11]
	v_cndmask_b32_e32 v99, 0xff800000, v45, vcc_lo
	v_cmp_eq_u32_e32 vcc_lo, 0, v116
	s_delay_alu instid0(VALU_DEP_2)
	v_cndmask_b32_e32 v99, 0x7f800001, v99, vcc_lo
; %bb.3098:                             ;   in Loop: Header=BB2_2709 Depth=2
	s_or_b32 exec_lo, exec_lo, s46
.LBB2_3099:                             ;   in Loop: Header=BB2_2709 Depth=2
	s_delay_alu instid0(SALU_CYCLE_1)
	s_or_b32 exec_lo, exec_lo, s45
.LBB2_3100:                             ;   in Loop: Header=BB2_2709 Depth=2
	s_delay_alu instid0(SALU_CYCLE_1) | instskip(SKIP_3) | instid1(VALU_DEP_2)
	s_or_b32 exec_lo, exec_lo, s44
	v_dual_cndmask_b32 v116, v86, v15, s13 :: v_dual_cndmask_b32 v117, v36, v97, s13
	s_mov_b32 s44, 0
	v_max_num_f32_e32 v99, v99, v99
	v_lshl_add_u32 v116, v116, 23, v87
	s_delay_alu instid0(VALU_DEP_1) | instskip(NEXT) | instid1(VALU_DEP_1)
	v_lshl_or_b32 v116, v117, 21, v116
	v_cndmask_b32_e64 v116, v116, v14, s12
	s_delay_alu instid0(VALU_DEP_1) | instskip(NEXT) | instid1(VALU_DEP_1)
	v_cndmask_b32_e64 v116, v116, 0x80000000, s11
	v_cndmask_b32_e64 v116, v116, 0, s10
	s_delay_alu instid0(VALU_DEP_1) | instskip(NEXT) | instid1(VALU_DEP_1)
	v_max_num_f32_e32 v116, v116, v116
	v_max_num_f32_e32 v99, v99, v116
.LBB2_3101:                             ;   in Loop: Header=BB2_2709 Depth=2
	s_and_b32 vcc_lo, exec_lo, s44
	s_cbranch_vccz .LBB2_3113
; %bb.3102:                             ;   in Loop: Header=BB2_2709 Depth=2
	v_mov_b32_e32 v99, 0
	s_and_saveexec_b32 s44, s14
	s_cbranch_execz .LBB2_3112
; %bb.3103:                             ;   in Loop: Header=BB2_2709 Depth=2
	v_bfrev_b32_e32 v99, 1
	s_mov_b32 s14, exec_lo
	v_cmpx_ne_u32_e32 0x80, v30
	s_cbranch_execz .LBB2_3111
; %bb.3104:                             ;   in Loop: Header=BB2_2709 Depth=2
	v_and_b32_e32 v99, 0x7c000000, v11
	v_bfe_u32 v116, v11, 24, 2
	s_delay_alu instid0(VALU_DEP_2) | instskip(SKIP_1) | instid1(SALU_CYCLE_1)
	v_cmp_ne_u32_e32 vcc_lo, 0x7c000000, v99
                                        ; implicit-def: $vgpr99
	s_and_saveexec_b32 s45, vcc_lo
	s_xor_b32 s45, exec_lo, s45
	s_cbranch_execz .LBB2_3108
; %bb.3105:                             ;   in Loop: Header=BB2_2709 Depth=2
	v_bfe_u32 v99, v11, 26, 5
	s_mov_b32 s46, exec_lo
	s_delay_alu instid0(VALU_DEP_1)
	v_cmpx_eq_u32_e32 0, v99
; %bb.3106:                             ;   in Loop: Header=BB2_2709 Depth=2
	v_clz_i32_u32_e32 v99, v116
	s_delay_alu instid0(VALU_DEP_1) | instskip(NEXT) | instid1(VALU_DEP_1)
	v_min_u32_e32 v99, 32, v99
	v_subrev_nc_u32_e32 v116, 29, v99
	s_delay_alu instid0(VALU_DEP_1) | instskip(NEXT) | instid1(VALU_DEP_1)
	v_lshlrev_b64_e32 v[116:117], v116, v[30:31]
	v_dual_sub_nc_u32 v99, 30, v99 :: v_dual_bitop2_b32 v116, 3, v116 bitop3:0x40
; %bb.3107:                             ;   in Loop: Header=BB2_2709 Depth=2
	s_or_b32 exec_lo, exec_lo, s46
	v_and_b32_e32 v30, 0x80000000, v11
	s_delay_alu instid0(VALU_DEP_1) | instskip(NEXT) | instid1(VALU_DEP_1)
	v_lshl_add_u32 v30, v99, 23, v30
	v_lshl_or_b32 v30, v116, 21, v30
                                        ; implicit-def: $vgpr116
	s_delay_alu instid0(VALU_DEP_1)
	v_add_nc_u32_e32 v99, 0x38000000, v30
.LBB2_3108:                             ;   in Loop: Header=BB2_2709 Depth=2
	s_and_not1_saveexec_b32 s45, s45
; %bb.3109:                             ;   in Loop: Header=BB2_2709 Depth=2
	v_cmp_lt_i64_e32 vcc_lo, -1, v[10:11]
	v_cndmask_b32_e32 v10, 0xff800000, v45, vcc_lo
	v_cmp_eq_u32_e32 vcc_lo, 0, v116
	s_delay_alu instid0(VALU_DEP_2)
	v_cndmask_b32_e32 v99, 0x7f800001, v10, vcc_lo
; %bb.3110:                             ;   in Loop: Header=BB2_2709 Depth=2
	s_or_b32 exec_lo, exec_lo, s45
.LBB2_3111:                             ;   in Loop: Header=BB2_2709 Depth=2
	s_delay_alu instid0(SALU_CYCLE_1)
	s_or_b32 exec_lo, exec_lo, s14
.LBB2_3112:                             ;   in Loop: Header=BB2_2709 Depth=2
	s_delay_alu instid0(SALU_CYCLE_1) | instskip(SKIP_1) | instid1(VALU_DEP_1)
	s_or_b32 exec_lo, exec_lo, s44
	v_dual_cndmask_b32 v10, v86, v15, s13 :: v_dual_cndmask_b32 v11, v36, v97, s13
	v_lshl_add_u32 v10, v10, 23, v87
	s_delay_alu instid0(VALU_DEP_1) | instskip(NEXT) | instid1(VALU_DEP_1)
	v_lshl_or_b32 v10, v11, 21, v10
	v_dual_max_num_f32 v11, v99, v99 :: v_dual_cndmask_b32 v10, v10, v14, s12
	s_delay_alu instid0(VALU_DEP_1) | instskip(NEXT) | instid1(VALU_DEP_1)
	v_cndmask_b32_e64 v10, v10, 0x80000000, s11
	v_cndmask_b32_e64 v10, v10, 0, s10
	s_delay_alu instid0(VALU_DEP_1) | instskip(NEXT) | instid1(VALU_DEP_1)
	v_max_num_f32_e32 v10, v10, v10
	v_min_num_f32_e32 v99, v11, v10
.LBB2_3113:                             ;   in Loop: Header=BB2_2709 Depth=2
	s_delay_alu instid0(VALU_DEP_1) | instskip(SKIP_2) | instid1(VALU_DEP_2)
	v_and_b32_e32 v10, 0x7f800000, v99
	v_mov_b32_e32 v11, v37
	v_and_b32_e32 v36, 0x7fffff, v99
                                        ; implicit-def: $vgpr30
	v_cmp_ne_u64_e32 vcc_lo, 0x7f800000, v[10:11]
	v_lshrrev_b32_e32 v10, 24, v99
	s_and_saveexec_b32 s10, vcc_lo
	s_delay_alu instid0(SALU_CYCLE_1)
	s_xor_b32 s11, exec_lo, s10
	s_cbranch_execz .LBB2_3127
; %bb.3114:                             ;   in Loop: Header=BB2_2709 Depth=2
	v_and_b32_e32 v14, 0x7fffffff, v99
	v_mov_b32_e32 v15, v37
	v_and_b32_e32 v86, 0x80, v10
                                        ; implicit-def: $vgpr30
	s_mov_b32 s10, exec_lo
	s_delay_alu instid0(VALU_DEP_2)
	v_cmpx_gt_u64_e32 0x47600001, v[14:15]
	s_xor_b32 s12, exec_lo, s10
	s_cbranch_execz .LBB2_3124
; %bb.3115:                             ;   in Loop: Header=BB2_2709 Depth=2
	v_mov_b32_e32 v30, 0
	s_mov_b32 s13, exec_lo
	v_cmpx_ne_u32_e32 0, v99
	s_cbranch_execz .LBB2_3123
; %bb.3116:                             ;   in Loop: Header=BB2_2709 Depth=2
	v_bfe_u32 v30, v99, 23, 8
	v_or_b32_e32 v14, 0x800000, v36
	s_delay_alu instid0(VALU_DEP_2) | instskip(SKIP_1) | instid1(VALU_DEP_2)
	v_sub_nc_u32_e32 v10, 0x71, v30
	v_cmp_gt_u32_e32 vcc_lo, 0x72, v30
	v_cndmask_b32_e32 v10, 0, v10, vcc_lo
	v_cmp_eq_u32_e32 vcc_lo, 0, v30
	s_delay_alu instid0(VALU_DEP_2) | instskip(NEXT) | instid1(VALU_DEP_1)
	v_cndmask_b32_e64 v87, v10, 0x70, vcc_lo
	v_dual_cndmask_b32 v36, v14, v36, vcc_lo :: v_dual_add_nc_u32 v10, 21, v87
	v_add_nc_u32_e32 v15, 20, v87
	s_delay_alu instid0(VALU_DEP_2) | instskip(NEXT) | instid1(VALU_DEP_2)
	v_lshlrev_b64_e64 v[10:11], v10, -1
	v_lshlrev_b64_e64 v[14:15], v15, 1
	s_delay_alu instid0(VALU_DEP_2) | instskip(NEXT) | instid1(VALU_DEP_3)
	v_bfi_b32 v117, v11, 0, 0
	v_bfi_b32 v116, v10, 0, v36
	v_lshrrev_b64 v[10:11], v87, v[36:37]
	s_delay_alu instid0(VALU_DEP_2) | instskip(NEXT) | instid1(VALU_DEP_2)
	v_cmp_eq_u64_e64 s10, v[116:117], v[14:15]
	v_mov_b64_e32 v[14:15], v[10:11]
	s_and_saveexec_b32 s14, s10
; %bb.3117:                             ;   in Loop: Header=BB2_2709 Depth=2
	v_bfe_u32 v36, v10, 21, 1
	s_delay_alu instid0(VALU_DEP_1) | instskip(NEXT) | instid1(VALU_DEP_1)
	v_add_nc_u64_e32 v[14:15], v[10:11], v[36:37]
	v_add_nc_u64_e32 v[14:15], -1, v[14:15]
; %bb.3118:                             ;   in Loop: Header=BB2_2709 Depth=2
	s_or_b32 exec_lo, exec_lo, s14
	v_add_nc_u32_e32 v11, 0xffffff81, v30
	v_lshrrev_b32_e32 v15, 23, v10
	s_mov_b32 s10, exec_lo
	s_delay_alu instid0(VALU_DEP_2) | instskip(NEXT) | instid1(VALU_DEP_1)
	v_cndmask_b32_e64 v11, v11, 0xffffff82, vcc_lo
	v_add3_u32 v15, v87, v11, v15
	v_and_b32_e32 v11, 0x1fffff, v14
                                        ; implicit-def: $vgpr14
	s_delay_alu instid0(VALU_DEP_1) | instskip(NEXT) | instid1(VALU_DEP_1)
	v_dual_add_nc_u32 v30, 14, v15 :: v_dual_add_nc_u32 v36, v11, v10
                                        ; implicit-def: $vgpr10_vgpr11
	v_cmpx_ne_u32_e32 0, v30
	s_xor_b32 s10, exec_lo, s10
; %bb.3119:                             ;   in Loop: Header=BB2_2709 Depth=2
	s_delay_alu instid0(VALU_DEP_2) | instskip(SKIP_1) | instid1(VALU_DEP_1)
	v_cmp_lt_u64_e32 vcc_lo, 0xffffff, v[36:37]
	v_add_nc_u32_e32 v10, 15, v15
	v_cndmask_b32_e32 v14, v30, v10, vcc_lo
	v_cndmask_b32_e64 v10, 0, 1, vcc_lo
	s_delay_alu instid0(VALU_DEP_1)
	v_lshrrev_b64 v[10:11], v10, v[36:37]
; %bb.3120:                             ;   in Loop: Header=BB2_2709 Depth=2
	s_and_not1_saveexec_b32 s10, s10
; %bb.3121:                             ;   in Loop: Header=BB2_2709 Depth=2
	v_mov_b64_e32 v[10:11], v[36:37]
	v_bfe_u32 v14, v36, 23, 1
; %bb.3122:                             ;   in Loop: Header=BB2_2709 Depth=2
	s_or_b32 exec_lo, exec_lo, s10
	s_delay_alu instid0(VALU_DEP_2) | instskip(NEXT) | instid1(VALU_DEP_2)
	v_lshrrev_b64 v[10:11], 21, v[10:11]
	v_cmp_gt_i32_e32 vcc_lo, 32, v14
	v_min_i32_e32 v15, 31, v14
	v_cmp_eq_u32_e64 s10, 0, v14
	s_delay_alu instid0(VALU_DEP_4) | instskip(NEXT) | instid1(VALU_DEP_3)
	v_cndmask_b32_e32 v11, 0, v11, vcc_lo
	v_dual_cndmask_b32 v10, 3, v10 :: v_dual_lshlrev_b32 v15, 2, v15
	s_delay_alu instid0(VALU_DEP_1) | instskip(NEXT) | instid1(VALU_DEP_2)
	v_and_b32_e32 v15, 0xfc, v15
	v_cmp_eq_u64_e32 vcc_lo, 0, v[10:11]
	s_delay_alu instid0(VALU_DEP_2)
	v_and_or_b32 v10, v10, 3, v15
	s_and_b32 s10, s10, vcc_lo
	s_delay_alu instid0(VALU_DEP_1) | instid1(SALU_CYCLE_1)
	v_cndmask_b32_e64 v10, v10, 0, s10
	s_delay_alu instid0(VALU_DEP_1)
	v_or_b32_e32 v30, v10, v86
.LBB2_3123:                             ;   in Loop: Header=BB2_2709 Depth=2
	s_or_b32 exec_lo, exec_lo, s13
                                        ; implicit-def: $vgpr86
.LBB2_3124:                             ;   in Loop: Header=BB2_2709 Depth=2
	s_and_not1_saveexec_b32 s10, s12
; %bb.3125:                             ;   in Loop: Header=BB2_2709 Depth=2
	v_or_b32_e32 v30, 0x7b, v86
; %bb.3126:                             ;   in Loop: Header=BB2_2709 Depth=2
	s_or_b32 exec_lo, exec_lo, s10
                                        ; implicit-def: $vgpr99
                                        ; implicit-def: $vgpr10
.LBB2_3127:                             ;   in Loop: Header=BB2_2709 Depth=2
	s_and_not1_saveexec_b32 s10, s11
	s_cbranch_execz .LBB2_3133
; %bb.3128:                             ;   in Loop: Header=BB2_2709 Depth=2
	s_mov_b32 s11, exec_lo
                                        ; implicit-def: $vgpr30
	v_cmpx_ne_u64_e32 0, v[36:37]
	s_xor_b32 s11, exec_lo, s11
; %bb.3129:                             ;   in Loop: Header=BB2_2709 Depth=2
	v_or_b32_e32 v30, 0x7f, v10
                                        ; implicit-def: $vgpr99
; %bb.3130:                             ;   in Loop: Header=BB2_2709 Depth=2
	s_and_not1_saveexec_b32 s11, s11
; %bb.3131:                             ;   in Loop: Header=BB2_2709 Depth=2
	v_cmp_lt_i32_e32 vcc_lo, -1, v99
	v_cndmask_b32_e32 v30, 0xfc, v46, vcc_lo
; %bb.3132:                             ;   in Loop: Header=BB2_2709 Depth=2
	s_or_b32 exec_lo, exec_lo, s11
.LBB2_3133:                             ;   in Loop: Header=BB2_2709 Depth=2
	s_delay_alu instid0(SALU_CYCLE_1) | instskip(SKIP_4) | instid1(VALU_DEP_4)
	s_or_b32 exec_lo, exec_lo, s10
	v_dual_lshlrev_b32 v15, 24, v16 :: v_dual_bitop2_b32 v10, 3, v16 bitop3:0x40
	v_bfe_i32 v87, v16, 0, 8
	v_and_b32_e32 v14, 0x7c, v16
	v_and_b32_e32 v86, 0xff, v12
	v_clz_i32_u32_e32 v11, v10
	v_bfe_i32 v97, v12, 0, 8
	v_cmp_lt_i16_e32 vcc_lo, -1, v87
	v_cmp_eq_u32_e64 s10, 0x7c, v14
	v_and_or_b32 v14, v15, s27, 0x38000000
	v_min_u32_e32 v36, 32, v11
	v_bfe_u32 v11, v16, 2, 5
	v_cndmask_b32_e32 v118, 0xff800000, v45, vcc_lo
	v_cmp_eq_u32_e32 vcc_lo, 0, v10
	v_cmp_ne_u16_e64 s12, 0, v86
	v_subrev_nc_u32_e32 v99, 29, v36
	v_cmp_eq_u32_e64 s11, 0, v11
	v_dual_cndmask_b32 v15, 0x7f800001, v118 :: v_dual_sub_nc_u32 v36, 30, v36
	s_and_b32 vcc_lo, exec_lo, s43
	v_lshlrev_b64_e32 v[116:117], v99, v[16:17]
	s_mov_b32 s13, -1
                                        ; implicit-def: $vgpr99
	s_delay_alu instid0(VALU_DEP_1)
	v_and_b32_e32 v86, 3, v116
	s_cbranch_vccz .LBB2_3151
; %bb.3134:                             ;   in Loop: Header=BB2_2709 Depth=2
	v_mov_b32_e32 v99, 0
	s_and_saveexec_b32 s13, s12
	s_cbranch_execz .LBB2_3144
; %bb.3135:                             ;   in Loop: Header=BB2_2709 Depth=2
	v_bfrev_b32_e32 v99, 1
	s_mov_b32 s14, exec_lo
	v_cmpx_ne_u16_e32 0xff80, v97
	s_cbranch_execz .LBB2_3143
; %bb.3136:                             ;   in Loop: Header=BB2_2709 Depth=2
	v_and_b32_e32 v99, 0x7c, v12
	v_and_b32_e32 v116, 3, v12
	s_delay_alu instid0(VALU_DEP_2) | instskip(SKIP_1) | instid1(SALU_CYCLE_1)
	v_cmp_ne_u32_e32 vcc_lo, 0x7c, v99
                                        ; implicit-def: $vgpr99
	s_and_saveexec_b32 s44, vcc_lo
	s_xor_b32 s44, exec_lo, s44
	s_cbranch_execz .LBB2_3140
; %bb.3137:                             ;   in Loop: Header=BB2_2709 Depth=2
	v_bfe_u32 v99, v12, 2, 5
	s_mov_b32 s45, exec_lo
	s_delay_alu instid0(VALU_DEP_1)
	v_cmpx_eq_u32_e32 0, v99
; %bb.3138:                             ;   in Loop: Header=BB2_2709 Depth=2
	v_clz_i32_u32_e32 v99, v116
	s_delay_alu instid0(VALU_DEP_1) | instskip(NEXT) | instid1(VALU_DEP_1)
	v_min_u32_e32 v99, 32, v99
	v_subrev_nc_u32_e32 v116, 29, v99
	s_delay_alu instid0(VALU_DEP_1) | instskip(NEXT) | instid1(VALU_DEP_1)
	v_lshlrev_b64_e32 v[116:117], v116, v[12:13]
	v_dual_sub_nc_u32 v99, 30, v99 :: v_dual_bitop2_b32 v116, 3, v116 bitop3:0x40
; %bb.3139:                             ;   in Loop: Header=BB2_2709 Depth=2
	s_or_b32 exec_lo, exec_lo, s45
	v_lshlrev_b32_e32 v117, 24, v12
	s_delay_alu instid0(VALU_DEP_1) | instskip(NEXT) | instid1(VALU_DEP_1)
	v_and_b32_e32 v117, 0x80000000, v117
	v_lshl_add_u32 v99, v99, 23, v117
	s_delay_alu instid0(VALU_DEP_1) | instskip(NEXT) | instid1(VALU_DEP_1)
	v_lshl_or_b32 v99, v116, 21, v99
                                        ; implicit-def: $vgpr116
	v_add_nc_u32_e32 v99, 0x38000000, v99
.LBB2_3140:                             ;   in Loop: Header=BB2_2709 Depth=2
	s_and_not1_saveexec_b32 s44, s44
; %bb.3141:                             ;   in Loop: Header=BB2_2709 Depth=2
	v_cmp_lt_i16_e32 vcc_lo, -1, v97
	v_cndmask_b32_e32 v99, 0xff800000, v45, vcc_lo
	v_cmp_eq_u32_e32 vcc_lo, 0, v116
	s_delay_alu instid0(VALU_DEP_2)
	v_cndmask_b32_e32 v99, 0x7f800001, v99, vcc_lo
; %bb.3142:                             ;   in Loop: Header=BB2_2709 Depth=2
	s_or_b32 exec_lo, exec_lo, s44
.LBB2_3143:                             ;   in Loop: Header=BB2_2709 Depth=2
	s_delay_alu instid0(SALU_CYCLE_1)
	s_or_b32 exec_lo, exec_lo, s14
.LBB2_3144:                             ;   in Loop: Header=BB2_2709 Depth=2
	s_delay_alu instid0(SALU_CYCLE_1) | instskip(SKIP_3) | instid1(VALU_DEP_1)
	s_or_b32 exec_lo, exec_lo, s13
	v_and_b32_e32 v117, 0xff, v87
	s_mov_b32 s13, 0
	s_mov_b32 s14, exec_lo
	v_cmpx_lt_i16_e32 0x7f, v117
	s_xor_b32 s14, exec_lo, s14
	s_cbranch_execz .LBB2_3580
; %bb.3145:                             ;   in Loop: Header=BB2_2709 Depth=2
	s_mov_b32 s13, -1
	s_mov_b32 s44, exec_lo
	v_cmpx_eq_u16_e32 0x80, v117
; %bb.3146:                             ;   in Loop: Header=BB2_2709 Depth=2
	s_xor_b32 s13, exec_lo, -1
; %bb.3147:                             ;   in Loop: Header=BB2_2709 Depth=2
	s_or_b32 exec_lo, exec_lo, s44
	s_delay_alu instid0(SALU_CYCLE_1)
	s_and_b32 s13, s13, exec_lo
                                        ; implicit-def: $vgpr117
	s_or_saveexec_b32 s14, s14
	v_bfrev_b32_e32 v116, 1
	s_xor_b32 exec_lo, exec_lo, s14
	s_cbranch_execnz .LBB2_3581
.LBB2_3148:                             ;   in Loop: Header=BB2_2709 Depth=2
	s_or_b32 exec_lo, exec_lo, s14
	s_and_saveexec_b32 s14, s13
.LBB2_3149:                             ;   in Loop: Header=BB2_2709 Depth=2
	v_dual_cndmask_b32 v116, v11, v36, s11 :: v_dual_cndmask_b32 v117, v10, v86, s11
	s_delay_alu instid0(VALU_DEP_1) | instskip(NEXT) | instid1(VALU_DEP_1)
	v_lshl_add_u32 v116, v116, 23, v14
	v_lshl_or_b32 v116, v117, 21, v116
	s_delay_alu instid0(VALU_DEP_1)
	v_cndmask_b32_e64 v116, v116, v15, s10
.LBB2_3150:                             ;   in Loop: Header=BB2_2709 Depth=2
	s_or_b32 exec_lo, exec_lo, s14
	s_delay_alu instid0(VALU_DEP_1) | instskip(SKIP_1) | instid1(VALU_DEP_1)
	v_dual_max_num_f32 v116, v116, v116 :: v_dual_max_num_f32 v99, v99, v99
	s_mov_b32 s13, 0
	v_max_num_f32_e32 v99, v99, v116
.LBB2_3151:                             ;   in Loop: Header=BB2_2709 Depth=2
	s_and_b32 vcc_lo, exec_lo, s13
	s_cbranch_vccz .LBB2_3169
; %bb.3152:                             ;   in Loop: Header=BB2_2709 Depth=2
	v_mov_b32_e32 v99, 0
	s_and_saveexec_b32 s13, s12
	s_cbranch_execz .LBB2_3162
; %bb.3153:                             ;   in Loop: Header=BB2_2709 Depth=2
	v_bfrev_b32_e32 v99, 1
	s_mov_b32 s12, exec_lo
	v_cmpx_ne_u16_e32 0xff80, v97
	s_cbranch_execz .LBB2_3161
; %bb.3154:                             ;   in Loop: Header=BB2_2709 Depth=2
	v_and_b32_e32 v99, 0x7c, v12
	v_and_b32_e32 v116, 3, v12
	s_delay_alu instid0(VALU_DEP_2) | instskip(SKIP_1) | instid1(SALU_CYCLE_1)
	v_cmp_ne_u32_e32 vcc_lo, 0x7c, v99
                                        ; implicit-def: $vgpr99
	s_and_saveexec_b32 s14, vcc_lo
	s_xor_b32 s14, exec_lo, s14
	s_cbranch_execz .LBB2_3158
; %bb.3155:                             ;   in Loop: Header=BB2_2709 Depth=2
	v_bfe_u32 v97, v12, 2, 5
	s_mov_b32 s44, exec_lo
	s_delay_alu instid0(VALU_DEP_1)
	v_cmpx_eq_u32_e32 0, v97
; %bb.3156:                             ;   in Loop: Header=BB2_2709 Depth=2
	v_clz_i32_u32_e32 v97, v116
	s_delay_alu instid0(VALU_DEP_1) | instskip(NEXT) | instid1(VALU_DEP_1)
	v_min_u32_e32 v97, 32, v97
	v_subrev_nc_u32_e32 v99, 29, v97
	s_delay_alu instid0(VALU_DEP_1) | instskip(NEXT) | instid1(VALU_DEP_1)
	v_lshlrev_b64_e32 v[116:117], v99, v[12:13]
	v_dual_sub_nc_u32 v97, 30, v97 :: v_dual_bitop2_b32 v116, 3, v116 bitop3:0x40
; %bb.3157:                             ;   in Loop: Header=BB2_2709 Depth=2
	s_or_b32 exec_lo, exec_lo, s44
	v_lshlrev_b32_e32 v99, 24, v12
	s_delay_alu instid0(VALU_DEP_1) | instskip(NEXT) | instid1(VALU_DEP_1)
	v_and_b32_e32 v99, 0x80000000, v99
	v_lshl_add_u32 v97, v97, 23, v99
	s_delay_alu instid0(VALU_DEP_1) | instskip(NEXT) | instid1(VALU_DEP_1)
	v_lshl_or_b32 v97, v116, 21, v97
                                        ; implicit-def: $vgpr116
	v_add_nc_u32_e32 v99, 0x38000000, v97
                                        ; implicit-def: $vgpr97
.LBB2_3158:                             ;   in Loop: Header=BB2_2709 Depth=2
	s_and_not1_saveexec_b32 s14, s14
; %bb.3159:                             ;   in Loop: Header=BB2_2709 Depth=2
	v_cmp_lt_i16_e32 vcc_lo, -1, v97
	v_cndmask_b32_e32 v97, 0xff800000, v45, vcc_lo
	v_cmp_eq_u32_e32 vcc_lo, 0, v116
	s_delay_alu instid0(VALU_DEP_2)
	v_cndmask_b32_e32 v99, 0x7f800001, v97, vcc_lo
; %bb.3160:                             ;   in Loop: Header=BB2_2709 Depth=2
	s_or_b32 exec_lo, exec_lo, s14
.LBB2_3161:                             ;   in Loop: Header=BB2_2709 Depth=2
	s_delay_alu instid0(SALU_CYCLE_1)
	s_or_b32 exec_lo, exec_lo, s12
.LBB2_3162:                             ;   in Loop: Header=BB2_2709 Depth=2
	s_delay_alu instid0(SALU_CYCLE_1) | instskip(SKIP_3) | instid1(VALU_DEP_1)
	s_or_b32 exec_lo, exec_lo, s13
	v_and_b32_e32 v97, 0xff, v87
	s_mov_b32 s12, 0
	s_mov_b32 s13, exec_lo
	v_cmpx_lt_i16_e32 0x7f, v97
	s_xor_b32 s13, exec_lo, s13
	s_cbranch_execz .LBB2_3582
; %bb.3163:                             ;   in Loop: Header=BB2_2709 Depth=2
	s_mov_b32 s12, -1
	s_mov_b32 s14, exec_lo
	v_cmpx_eq_u16_e32 0x80, v97
; %bb.3164:                             ;   in Loop: Header=BB2_2709 Depth=2
	s_xor_b32 s12, exec_lo, -1
; %bb.3165:                             ;   in Loop: Header=BB2_2709 Depth=2
	s_or_b32 exec_lo, exec_lo, s14
	s_delay_alu instid0(SALU_CYCLE_1)
	s_and_b32 s12, s12, exec_lo
                                        ; implicit-def: $vgpr97
	s_or_saveexec_b32 s13, s13
	v_bfrev_b32_e32 v87, 1
	s_xor_b32 exec_lo, exec_lo, s13
	s_cbranch_execnz .LBB2_3583
.LBB2_3166:                             ;   in Loop: Header=BB2_2709 Depth=2
	s_or_b32 exec_lo, exec_lo, s13
	s_and_saveexec_b32 s13, s12
.LBB2_3167:                             ;   in Loop: Header=BB2_2709 Depth=2
	v_dual_cndmask_b32 v11, v11, v36, s11 :: v_dual_cndmask_b32 v10, v10, v86, s11
	s_delay_alu instid0(VALU_DEP_1) | instskip(NEXT) | instid1(VALU_DEP_1)
	v_lshl_add_u32 v11, v11, 23, v14
	v_lshl_or_b32 v10, v10, 21, v11
	s_delay_alu instid0(VALU_DEP_1)
	v_cndmask_b32_e64 v87, v10, v15, s10
.LBB2_3168:                             ;   in Loop: Header=BB2_2709 Depth=2
	s_or_b32 exec_lo, exec_lo, s13
	s_delay_alu instid0(VALU_DEP_1) | instskip(SKIP_1) | instid1(VALU_DEP_1)
	v_max_num_f32_e32 v10, v87, v87
	v_max_num_f32_e32 v11, v99, v99
	v_min_num_f32_e32 v99, v11, v10
.LBB2_3169:                             ;   in Loop: Header=BB2_2709 Depth=2
	s_delay_alu instid0(VALU_DEP_1) | instskip(SKIP_2) | instid1(VALU_DEP_2)
	v_and_b32_e32 v10, 0x7f800000, v99
	v_mov_b32_e32 v11, v37
	v_and_b32_e32 v36, 0x7fffff, v99
                                        ; implicit-def: $vgpr97
	v_cmp_ne_u64_e32 vcc_lo, 0x7f800000, v[10:11]
	v_lshrrev_b32_e32 v10, 24, v99
	s_and_saveexec_b32 s10, vcc_lo
	s_delay_alu instid0(SALU_CYCLE_1)
	s_xor_b32 s11, exec_lo, s10
	s_cbranch_execz .LBB2_3183
; %bb.3170:                             ;   in Loop: Header=BB2_2709 Depth=2
	v_and_b32_e32 v14, 0x7fffffff, v99
	v_mov_b32_e32 v15, v37
	v_and_b32_e32 v86, 0x80, v10
                                        ; implicit-def: $vgpr97
	s_mov_b32 s10, exec_lo
	s_delay_alu instid0(VALU_DEP_2)
	v_cmpx_gt_u64_e32 0x47600001, v[14:15]
	s_xor_b32 s12, exec_lo, s10
	s_cbranch_execz .LBB2_3180
; %bb.3171:                             ;   in Loop: Header=BB2_2709 Depth=2
	v_mov_b32_e32 v97, 0
	s_mov_b32 s13, exec_lo
	v_cmpx_ne_u32_e32 0, v99
	s_cbranch_execz .LBB2_3179
; %bb.3172:                             ;   in Loop: Header=BB2_2709 Depth=2
	v_bfe_u32 v87, v99, 23, 8
	v_or_b32_e32 v14, 0x800000, v36
	s_delay_alu instid0(VALU_DEP_2) | instskip(SKIP_1) | instid1(VALU_DEP_2)
	v_sub_nc_u32_e32 v10, 0x71, v87
	v_cmp_gt_u32_e32 vcc_lo, 0x72, v87
	v_cndmask_b32_e32 v10, 0, v10, vcc_lo
	v_cmp_eq_u32_e32 vcc_lo, 0, v87
	s_delay_alu instid0(VALU_DEP_2) | instskip(NEXT) | instid1(VALU_DEP_1)
	v_cndmask_b32_e64 v97, v10, 0x70, vcc_lo
	v_dual_cndmask_b32 v36, v14, v36, vcc_lo :: v_dual_add_nc_u32 v10, 21, v97
	v_add_nc_u32_e32 v15, 20, v97
	s_delay_alu instid0(VALU_DEP_2) | instskip(NEXT) | instid1(VALU_DEP_2)
	v_lshlrev_b64_e64 v[10:11], v10, -1
	v_lshlrev_b64_e64 v[14:15], v15, 1
	s_delay_alu instid0(VALU_DEP_2) | instskip(NEXT) | instid1(VALU_DEP_3)
	v_bfi_b32 v117, v11, 0, 0
	v_bfi_b32 v116, v10, 0, v36
	v_lshrrev_b64 v[10:11], v97, v[36:37]
	s_delay_alu instid0(VALU_DEP_2) | instskip(NEXT) | instid1(VALU_DEP_2)
	v_cmp_eq_u64_e64 s10, v[116:117], v[14:15]
	v_mov_b64_e32 v[14:15], v[10:11]
	s_and_saveexec_b32 s14, s10
; %bb.3173:                             ;   in Loop: Header=BB2_2709 Depth=2
	v_bfe_u32 v36, v10, 21, 1
	s_delay_alu instid0(VALU_DEP_1) | instskip(NEXT) | instid1(VALU_DEP_1)
	v_add_nc_u64_e32 v[14:15], v[10:11], v[36:37]
	v_add_nc_u64_e32 v[14:15], -1, v[14:15]
; %bb.3174:                             ;   in Loop: Header=BB2_2709 Depth=2
	s_or_b32 exec_lo, exec_lo, s14
	v_add_nc_u32_e32 v11, 0xffffff81, v87
	v_lshrrev_b32_e32 v15, 23, v10
	s_mov_b32 s10, exec_lo
	s_delay_alu instid0(VALU_DEP_2) | instskip(NEXT) | instid1(VALU_DEP_1)
	v_cndmask_b32_e64 v11, v11, 0xffffff82, vcc_lo
	v_add3_u32 v15, v97, v11, v15
	v_and_b32_e32 v11, 0x1fffff, v14
                                        ; implicit-def: $vgpr14
	s_delay_alu instid0(VALU_DEP_1) | instskip(NEXT) | instid1(VALU_DEP_1)
	v_dual_add_nc_u32 v87, 14, v15 :: v_dual_add_nc_u32 v36, v11, v10
                                        ; implicit-def: $vgpr10_vgpr11
	v_cmpx_ne_u32_e32 0, v87
	s_xor_b32 s10, exec_lo, s10
; %bb.3175:                             ;   in Loop: Header=BB2_2709 Depth=2
	s_delay_alu instid0(VALU_DEP_2) | instskip(SKIP_1) | instid1(VALU_DEP_1)
	v_cmp_lt_u64_e32 vcc_lo, 0xffffff, v[36:37]
	v_add_nc_u32_e32 v10, 15, v15
	v_cndmask_b32_e32 v14, v87, v10, vcc_lo
	v_cndmask_b32_e64 v10, 0, 1, vcc_lo
	s_delay_alu instid0(VALU_DEP_1)
	v_lshrrev_b64 v[10:11], v10, v[36:37]
; %bb.3176:                             ;   in Loop: Header=BB2_2709 Depth=2
	s_and_not1_saveexec_b32 s10, s10
; %bb.3177:                             ;   in Loop: Header=BB2_2709 Depth=2
	v_mov_b64_e32 v[10:11], v[36:37]
	v_bfe_u32 v14, v36, 23, 1
; %bb.3178:                             ;   in Loop: Header=BB2_2709 Depth=2
	s_or_b32 exec_lo, exec_lo, s10
	s_delay_alu instid0(VALU_DEP_2) | instskip(NEXT) | instid1(VALU_DEP_2)
	v_lshrrev_b64 v[10:11], 21, v[10:11]
	v_cmp_gt_i32_e32 vcc_lo, 32, v14
	v_min_i32_e32 v15, 31, v14
	v_cmp_eq_u32_e64 s10, 0, v14
	s_delay_alu instid0(VALU_DEP_4) | instskip(NEXT) | instid1(VALU_DEP_3)
	v_cndmask_b32_e32 v11, 0, v11, vcc_lo
	v_dual_cndmask_b32 v10, 3, v10 :: v_dual_lshlrev_b32 v15, 2, v15
	s_delay_alu instid0(VALU_DEP_1) | instskip(NEXT) | instid1(VALU_DEP_2)
	v_and_b32_e32 v15, 0xfc, v15
	v_cmp_eq_u64_e32 vcc_lo, 0, v[10:11]
	s_delay_alu instid0(VALU_DEP_2)
	v_and_or_b32 v10, v10, 3, v15
	s_and_b32 s10, s10, vcc_lo
	s_delay_alu instid0(VALU_DEP_1) | instid1(SALU_CYCLE_1)
	v_cndmask_b32_e64 v10, v10, 0, s10
	s_delay_alu instid0(VALU_DEP_1)
	v_or_b32_e32 v97, v10, v86
.LBB2_3179:                             ;   in Loop: Header=BB2_2709 Depth=2
	s_or_b32 exec_lo, exec_lo, s13
                                        ; implicit-def: $vgpr86
.LBB2_3180:                             ;   in Loop: Header=BB2_2709 Depth=2
	s_and_not1_saveexec_b32 s10, s12
; %bb.3181:                             ;   in Loop: Header=BB2_2709 Depth=2
	v_or_b32_e32 v97, 0x7b, v86
; %bb.3182:                             ;   in Loop: Header=BB2_2709 Depth=2
	s_or_b32 exec_lo, exec_lo, s10
                                        ; implicit-def: $vgpr99
                                        ; implicit-def: $vgpr10
.LBB2_3183:                             ;   in Loop: Header=BB2_2709 Depth=2
	s_and_not1_saveexec_b32 s10, s11
	s_cbranch_execz .LBB2_3189
; %bb.3184:                             ;   in Loop: Header=BB2_2709 Depth=2
	s_mov_b32 s11, exec_lo
                                        ; implicit-def: $vgpr97
	v_cmpx_ne_u64_e32 0, v[36:37]
	s_xor_b32 s11, exec_lo, s11
; %bb.3185:                             ;   in Loop: Header=BB2_2709 Depth=2
	v_or_b32_e32 v97, 0x7f, v10
                                        ; implicit-def: $vgpr99
; %bb.3186:                             ;   in Loop: Header=BB2_2709 Depth=2
	s_and_not1_saveexec_b32 s11, s11
; %bb.3187:                             ;   in Loop: Header=BB2_2709 Depth=2
	v_cmp_lt_i32_e32 vcc_lo, -1, v99
	v_cndmask_b32_e32 v97, 0xfc, v46, vcc_lo
; %bb.3188:                             ;   in Loop: Header=BB2_2709 Depth=2
	s_or_b32 exec_lo, exec_lo, s11
.LBB2_3189:                             ;   in Loop: Header=BB2_2709 Depth=2
	s_delay_alu instid0(SALU_CYCLE_1) | instskip(SKIP_3) | instid1(VALU_DEP_2)
	s_or_b32 exec_lo, exec_lo, s10
	v_lshrrev_b16 v36, 8, v16
	v_cmp_lt_i16_e32 vcc_lo, -1, v16
	s_mov_b32 s13, -1
	v_and_b32_e32 v11, 0xffff, v36
	v_dual_cndmask_b32 v87, 0xff800000, v45 :: v_dual_lshlrev_b32 v86, 24, v36
	s_delay_alu instid0(VALU_DEP_2) | instskip(SKIP_2) | instid1(VALU_DEP_4)
	v_and_b32_e32 v14, 3, v11
	v_and_b32_e32 v40, 0x7c, v11
	v_bfe_u32 v15, v11, 2, 5
                                        ; implicit-def: $vgpr11
	v_and_or_b32 v86, v86, s27, 0x38000000
	s_delay_alu instid0(VALU_DEP_4) | instskip(SKIP_3) | instid1(VALU_DEP_4)
	v_clz_i32_u32_e32 v10, v14
	v_cmp_eq_u32_e32 vcc_lo, 0, v14
	v_cmp_eq_u32_e64 s10, 0x7c, v40
	v_cmp_eq_u32_e64 s11, 0, v15
	v_min_u32_e32 v99, 32, v10
	v_lshrrev_b16 v10, 8, v12
	v_cndmask_b32_e32 v87, 0x7f800001, v87, vcc_lo
	s_and_b32 vcc_lo, exec_lo, s43
	s_delay_alu instid0(VALU_DEP_3) | instskip(NEXT) | instid1(VALU_DEP_3)
	v_subrev_nc_u32_e32 v116, 29, v99
	v_and_b32_e32 v117, 0xffff, v10
	v_cmp_ne_u16_e64 s12, 0, v10
	s_delay_alu instid0(VALU_DEP_3) | instskip(NEXT) | instid1(VALU_DEP_1)
	v_lshlrev_b64_e32 v[118:119], v116, v[36:37]
	v_dual_sub_nc_u32 v99, 30, v99 :: v_dual_bitop2_b32 v116, 3, v118 bitop3:0x40
	s_cbranch_vccz .LBB2_3207
; %bb.3190:                             ;   in Loop: Header=BB2_2709 Depth=2
	v_mov_b32_e32 v11, 0
	s_and_saveexec_b32 s13, s12
	s_cbranch_execz .LBB2_3200
; %bb.3191:                             ;   in Loop: Header=BB2_2709 Depth=2
	v_bfrev_b32_e32 v11, 1
	s_mov_b32 s14, exec_lo
	v_cmpx_ne_u16_e32 0x80, v10
	s_cbranch_execz .LBB2_3199
; %bb.3192:                             ;   in Loop: Header=BB2_2709 Depth=2
	v_and_b32_e32 v11, 0x7c, v117
	v_and_b32_e32 v118, 3, v117
	s_delay_alu instid0(VALU_DEP_2) | instskip(SKIP_1) | instid1(SALU_CYCLE_1)
	v_cmp_ne_u32_e32 vcc_lo, 0x7c, v11
                                        ; implicit-def: $vgpr11
	s_and_saveexec_b32 s44, vcc_lo
	s_xor_b32 s44, exec_lo, s44
	s_cbranch_execz .LBB2_3196
; %bb.3193:                             ;   in Loop: Header=BB2_2709 Depth=2
	v_bfe_u32 v11, v117, 2, 5
	s_mov_b32 s45, exec_lo
	s_delay_alu instid0(VALU_DEP_1)
	v_cmpx_eq_u32_e32 0, v11
; %bb.3194:                             ;   in Loop: Header=BB2_2709 Depth=2
	v_clz_i32_u32_e32 v11, v118
	s_delay_alu instid0(VALU_DEP_1) | instskip(SKIP_1) | instid1(VALU_DEP_2)
	v_min_u32_e32 v40, 32, v11
	v_mov_b32_e32 v11, v37
	v_subrev_nc_u32_e32 v118, 29, v40
	s_delay_alu instid0(VALU_DEP_1) | instskip(NEXT) | instid1(VALU_DEP_1)
	v_lshlrev_b64_e32 v[118:119], v118, v[10:11]
	v_dual_sub_nc_u32 v11, 30, v40 :: v_dual_bitop2_b32 v118, 3, v118 bitop3:0x40
; %bb.3195:                             ;   in Loop: Header=BB2_2709 Depth=2
	s_or_b32 exec_lo, exec_lo, s45
	v_lshlrev_b32_e32 v119, 16, v12
	s_delay_alu instid0(VALU_DEP_1) | instskip(NEXT) | instid1(VALU_DEP_1)
	v_and_b32_e32 v119, 0x80000000, v119
	v_lshl_add_u32 v11, v11, 23, v119
	s_delay_alu instid0(VALU_DEP_1) | instskip(NEXT) | instid1(VALU_DEP_1)
	v_lshl_or_b32 v11, v118, 21, v11
                                        ; implicit-def: $vgpr118
	v_add_nc_u32_e32 v11, 0x38000000, v11
.LBB2_3196:                             ;   in Loop: Header=BB2_2709 Depth=2
	s_and_not1_saveexec_b32 s44, s44
; %bb.3197:                             ;   in Loop: Header=BB2_2709 Depth=2
	v_cmp_lt_i16_e32 vcc_lo, -1, v12
	v_cndmask_b32_e32 v11, 0xff800000, v45, vcc_lo
	v_cmp_eq_u32_e32 vcc_lo, 0, v118
	s_delay_alu instid0(VALU_DEP_2)
	v_cndmask_b32_e32 v11, 0x7f800001, v11, vcc_lo
; %bb.3198:                             ;   in Loop: Header=BB2_2709 Depth=2
	s_or_b32 exec_lo, exec_lo, s44
.LBB2_3199:                             ;   in Loop: Header=BB2_2709 Depth=2
	s_delay_alu instid0(SALU_CYCLE_1)
	s_or_b32 exec_lo, exec_lo, s14
.LBB2_3200:                             ;   in Loop: Header=BB2_2709 Depth=2
	s_delay_alu instid0(SALU_CYCLE_1)
	s_or_b32 exec_lo, exec_lo, s13
	s_mov_b32 s13, 0
	s_mov_b32 s14, exec_lo
	v_cmpx_lt_i16_e32 0x7f, v36
	s_xor_b32 s14, exec_lo, s14
	s_cbranch_execz .LBB2_3584
; %bb.3201:                             ;   in Loop: Header=BB2_2709 Depth=2
	s_mov_b32 s13, -1
	s_mov_b32 s44, exec_lo
	v_cmpx_eq_u16_e32 0x80, v36
; %bb.3202:                             ;   in Loop: Header=BB2_2709 Depth=2
	s_xor_b32 s13, exec_lo, -1
; %bb.3203:                             ;   in Loop: Header=BB2_2709 Depth=2
	s_or_b32 exec_lo, exec_lo, s44
	s_delay_alu instid0(SALU_CYCLE_1)
	s_and_b32 s13, s13, exec_lo
	s_or_saveexec_b32 s14, s14
	v_bfrev_b32_e32 v118, 1
	s_xor_b32 exec_lo, exec_lo, s14
	s_cbranch_execnz .LBB2_3585
.LBB2_3204:                             ;   in Loop: Header=BB2_2709 Depth=2
	s_or_b32 exec_lo, exec_lo, s14
	s_and_saveexec_b32 s14, s13
.LBB2_3205:                             ;   in Loop: Header=BB2_2709 Depth=2
	v_dual_cndmask_b32 v118, v15, v99, s11 :: v_dual_cndmask_b32 v119, v14, v116, s11
	s_delay_alu instid0(VALU_DEP_1) | instskip(NEXT) | instid1(VALU_DEP_1)
	v_lshl_add_u32 v118, v118, 23, v86
	v_lshl_or_b32 v118, v119, 21, v118
	s_delay_alu instid0(VALU_DEP_1)
	v_cndmask_b32_e64 v118, v118, v87, s10
.LBB2_3206:                             ;   in Loop: Header=BB2_2709 Depth=2
	s_or_b32 exec_lo, exec_lo, s14
	s_delay_alu instid0(VALU_DEP_1) | instskip(SKIP_1) | instid1(VALU_DEP_1)
	v_dual_max_num_f32 v118, v118, v118 :: v_dual_max_num_f32 v11, v11, v11
	s_mov_b32 s13, 0
	v_max_num_f32_e32 v11, v11, v118
.LBB2_3207:                             ;   in Loop: Header=BB2_2709 Depth=2
	s_and_b32 vcc_lo, exec_lo, s13
	s_cbranch_vccz .LBB2_3225
; %bb.3208:                             ;   in Loop: Header=BB2_2709 Depth=2
	v_mov_b32_e32 v11, 0
	s_and_saveexec_b32 s13, s12
	s_cbranch_execz .LBB2_3218
; %bb.3209:                             ;   in Loop: Header=BB2_2709 Depth=2
	v_bfrev_b32_e32 v11, 1
	s_mov_b32 s12, exec_lo
	v_cmpx_ne_u16_e32 0x80, v10
	s_cbranch_execz .LBB2_3217
; %bb.3210:                             ;   in Loop: Header=BB2_2709 Depth=2
	v_and_b32_e32 v11, 0x7c, v117
	v_and_b32_e32 v118, 3, v117
	s_delay_alu instid0(VALU_DEP_2) | instskip(SKIP_1) | instid1(SALU_CYCLE_1)
	v_cmp_ne_u32_e32 vcc_lo, 0x7c, v11
                                        ; implicit-def: $vgpr11
	s_and_saveexec_b32 s14, vcc_lo
	s_xor_b32 s14, exec_lo, s14
	s_cbranch_execz .LBB2_3214
; %bb.3211:                             ;   in Loop: Header=BB2_2709 Depth=2
	v_bfe_u32 v11, v117, 2, 5
	s_mov_b32 s44, exec_lo
	s_delay_alu instid0(VALU_DEP_1)
	v_cmpx_eq_u32_e32 0, v11
; %bb.3212:                             ;   in Loop: Header=BB2_2709 Depth=2
	v_clz_i32_u32_e32 v11, v118
	s_delay_alu instid0(VALU_DEP_1) | instskip(SKIP_1) | instid1(VALU_DEP_2)
	v_min_u32_e32 v117, 32, v11
	v_mov_b32_e32 v11, v37
	v_subrev_nc_u32_e32 v118, 29, v117
	s_delay_alu instid0(VALU_DEP_1) | instskip(NEXT) | instid1(VALU_DEP_1)
	v_lshlrev_b64_e32 v[10:11], v118, v[10:11]
	v_dual_sub_nc_u32 v11, 30, v117 :: v_dual_bitop2_b32 v118, 3, v10 bitop3:0x40
; %bb.3213:                             ;   in Loop: Header=BB2_2709 Depth=2
	s_or_b32 exec_lo, exec_lo, s44
	v_lshlrev_b32_e32 v10, 16, v12
	s_delay_alu instid0(VALU_DEP_1) | instskip(NEXT) | instid1(VALU_DEP_1)
	v_and_b32_e32 v10, 0x80000000, v10
	v_lshl_add_u32 v10, v11, 23, v10
	s_delay_alu instid0(VALU_DEP_1) | instskip(NEXT) | instid1(VALU_DEP_1)
	v_lshl_or_b32 v10, v118, 21, v10
                                        ; implicit-def: $vgpr118
	v_add_nc_u32_e32 v11, 0x38000000, v10
.LBB2_3214:                             ;   in Loop: Header=BB2_2709 Depth=2
	s_and_not1_saveexec_b32 s14, s14
; %bb.3215:                             ;   in Loop: Header=BB2_2709 Depth=2
	v_cmp_lt_i16_e32 vcc_lo, -1, v12
	v_cndmask_b32_e32 v10, 0xff800000, v45, vcc_lo
	v_cmp_eq_u32_e32 vcc_lo, 0, v118
	s_delay_alu instid0(VALU_DEP_2)
	v_cndmask_b32_e32 v11, 0x7f800001, v10, vcc_lo
; %bb.3216:                             ;   in Loop: Header=BB2_2709 Depth=2
	s_or_b32 exec_lo, exec_lo, s14
.LBB2_3217:                             ;   in Loop: Header=BB2_2709 Depth=2
	s_delay_alu instid0(SALU_CYCLE_1)
	s_or_b32 exec_lo, exec_lo, s12
.LBB2_3218:                             ;   in Loop: Header=BB2_2709 Depth=2
	s_delay_alu instid0(SALU_CYCLE_1)
	s_or_b32 exec_lo, exec_lo, s13
	s_mov_b32 s12, 0
	s_mov_b32 s13, exec_lo
	v_cmpx_lt_i16_e32 0x7f, v36
	s_xor_b32 s13, exec_lo, s13
	s_cbranch_execz .LBB2_3586
; %bb.3219:                             ;   in Loop: Header=BB2_2709 Depth=2
	s_mov_b32 s12, -1
	s_mov_b32 s14, exec_lo
	v_cmpx_eq_u16_e32 0x80, v36
; %bb.3220:                             ;   in Loop: Header=BB2_2709 Depth=2
	s_xor_b32 s12, exec_lo, -1
; %bb.3221:                             ;   in Loop: Header=BB2_2709 Depth=2
	s_or_b32 exec_lo, exec_lo, s14
	s_delay_alu instid0(SALU_CYCLE_1)
	s_and_b32 s12, s12, exec_lo
	s_or_saveexec_b32 s13, s13
	v_bfrev_b32_e32 v10, 1
	s_xor_b32 exec_lo, exec_lo, s13
	s_cbranch_execnz .LBB2_3587
.LBB2_3222:                             ;   in Loop: Header=BB2_2709 Depth=2
	s_or_b32 exec_lo, exec_lo, s13
	s_and_saveexec_b32 s13, s12
.LBB2_3223:                             ;   in Loop: Header=BB2_2709 Depth=2
	v_dual_cndmask_b32 v10, v15, v99, s11 :: v_dual_cndmask_b32 v14, v14, v116, s11
	s_delay_alu instid0(VALU_DEP_1) | instskip(NEXT) | instid1(VALU_DEP_1)
	v_lshl_add_u32 v10, v10, 23, v86
	v_lshl_or_b32 v10, v14, 21, v10
	s_delay_alu instid0(VALU_DEP_1)
	v_cndmask_b32_e64 v10, v10, v87, s10
.LBB2_3224:                             ;   in Loop: Header=BB2_2709 Depth=2
	s_or_b32 exec_lo, exec_lo, s13
	s_delay_alu instid0(VALU_DEP_1) | instskip(NEXT) | instid1(VALU_DEP_1)
	v_dual_max_num_f32 v10, v10, v10 :: v_dual_max_num_f32 v11, v11, v11
	v_min_num_f32_e32 v11, v11, v10
.LBB2_3225:                             ;   in Loop: Header=BB2_2709 Depth=2
	s_delay_alu instid0(VALU_DEP_1) | instskip(SKIP_3) | instid1(VALU_DEP_2)
	v_and_b32_e32 v14, 0x7f800000, v11
	v_dual_mov_b32 v15, v37 :: v_dual_lshrrev_b32 v10, 24, v11
	v_and_b32_e32 v36, 0x7fffff, v11
                                        ; implicit-def: $vgpr99
	s_mov_b32 s10, exec_lo
	v_cmpx_ne_u64_e32 0x7f800000, v[14:15]
	s_xor_b32 s11, exec_lo, s10
	s_cbranch_execz .LBB2_3239
; %bb.3226:                             ;   in Loop: Header=BB2_2709 Depth=2
	v_and_b32_e32 v14, 0x7fffffff, v11
	v_mov_b32_e32 v15, v37
	v_and_b32_e32 v86, 0x80, v10
                                        ; implicit-def: $vgpr99
	s_mov_b32 s10, exec_lo
	s_delay_alu instid0(VALU_DEP_2)
	v_cmpx_gt_u64_e32 0x47600001, v[14:15]
	s_xor_b32 s12, exec_lo, s10
	s_cbranch_execz .LBB2_3236
; %bb.3227:                             ;   in Loop: Header=BB2_2709 Depth=2
	v_mov_b32_e32 v99, 0
	s_mov_b32 s13, exec_lo
	v_cmpx_ne_u32_e32 0, v11
	s_cbranch_execz .LBB2_3235
; %bb.3228:                             ;   in Loop: Header=BB2_2709 Depth=2
	v_bfe_u32 v87, v11, 23, 8
	v_or_b32_e32 v14, 0x800000, v36
	s_delay_alu instid0(VALU_DEP_2) | instskip(SKIP_1) | instid1(VALU_DEP_2)
	v_sub_nc_u32_e32 v10, 0x71, v87
	v_cmp_gt_u32_e32 vcc_lo, 0x72, v87
	v_cndmask_b32_e32 v10, 0, v10, vcc_lo
	v_cmp_eq_u32_e32 vcc_lo, 0, v87
	s_delay_alu instid0(VALU_DEP_2) | instskip(NEXT) | instid1(VALU_DEP_1)
	v_cndmask_b32_e64 v99, v10, 0x70, vcc_lo
	v_dual_cndmask_b32 v36, v14, v36, vcc_lo :: v_dual_add_nc_u32 v10, 21, v99
	v_add_nc_u32_e32 v15, 20, v99
	s_delay_alu instid0(VALU_DEP_2) | instskip(NEXT) | instid1(VALU_DEP_2)
	v_lshlrev_b64_e64 v[10:11], v10, -1
	v_lshlrev_b64_e64 v[14:15], v15, 1
	s_delay_alu instid0(VALU_DEP_2) | instskip(NEXT) | instid1(VALU_DEP_3)
	v_bfi_b32 v117, v11, 0, 0
	v_bfi_b32 v116, v10, 0, v36
	v_lshrrev_b64 v[10:11], v99, v[36:37]
	s_delay_alu instid0(VALU_DEP_2) | instskip(NEXT) | instid1(VALU_DEP_2)
	v_cmp_eq_u64_e64 s10, v[116:117], v[14:15]
	v_mov_b64_e32 v[14:15], v[10:11]
	s_and_saveexec_b32 s14, s10
; %bb.3229:                             ;   in Loop: Header=BB2_2709 Depth=2
	v_bfe_u32 v36, v10, 21, 1
	s_delay_alu instid0(VALU_DEP_1) | instskip(NEXT) | instid1(VALU_DEP_1)
	v_add_nc_u64_e32 v[14:15], v[10:11], v[36:37]
	v_add_nc_u64_e32 v[14:15], -1, v[14:15]
; %bb.3230:                             ;   in Loop: Header=BB2_2709 Depth=2
	s_or_b32 exec_lo, exec_lo, s14
	v_add_nc_u32_e32 v11, 0xffffff81, v87
	v_lshrrev_b32_e32 v15, 23, v10
	s_mov_b32 s10, exec_lo
	s_delay_alu instid0(VALU_DEP_2) | instskip(NEXT) | instid1(VALU_DEP_1)
	v_cndmask_b32_e64 v11, v11, 0xffffff82, vcc_lo
	v_add3_u32 v15, v99, v11, v15
	v_and_b32_e32 v11, 0x1fffff, v14
                                        ; implicit-def: $vgpr14
	s_delay_alu instid0(VALU_DEP_1) | instskip(NEXT) | instid1(VALU_DEP_1)
	v_dual_add_nc_u32 v87, 14, v15 :: v_dual_add_nc_u32 v36, v11, v10
                                        ; implicit-def: $vgpr10_vgpr11
	v_cmpx_ne_u32_e32 0, v87
	s_xor_b32 s10, exec_lo, s10
; %bb.3231:                             ;   in Loop: Header=BB2_2709 Depth=2
	s_delay_alu instid0(VALU_DEP_2) | instskip(SKIP_1) | instid1(VALU_DEP_1)
	v_cmp_lt_u64_e32 vcc_lo, 0xffffff, v[36:37]
	v_add_nc_u32_e32 v10, 15, v15
	v_cndmask_b32_e32 v14, v87, v10, vcc_lo
	v_cndmask_b32_e64 v10, 0, 1, vcc_lo
	s_delay_alu instid0(VALU_DEP_1)
	v_lshrrev_b64 v[10:11], v10, v[36:37]
; %bb.3232:                             ;   in Loop: Header=BB2_2709 Depth=2
	s_and_not1_saveexec_b32 s10, s10
; %bb.3233:                             ;   in Loop: Header=BB2_2709 Depth=2
	v_mov_b64_e32 v[10:11], v[36:37]
	v_bfe_u32 v14, v36, 23, 1
; %bb.3234:                             ;   in Loop: Header=BB2_2709 Depth=2
	s_or_b32 exec_lo, exec_lo, s10
	s_delay_alu instid0(VALU_DEP_2) | instskip(NEXT) | instid1(VALU_DEP_2)
	v_lshrrev_b64 v[10:11], 21, v[10:11]
	v_cmp_gt_i32_e32 vcc_lo, 32, v14
	v_min_i32_e32 v15, 31, v14
	v_cmp_eq_u32_e64 s10, 0, v14
	s_delay_alu instid0(VALU_DEP_4) | instskip(NEXT) | instid1(VALU_DEP_3)
	v_cndmask_b32_e32 v11, 0, v11, vcc_lo
	v_dual_cndmask_b32 v10, 3, v10 :: v_dual_lshlrev_b32 v15, 2, v15
	s_delay_alu instid0(VALU_DEP_1) | instskip(NEXT) | instid1(VALU_DEP_2)
	v_and_b32_e32 v15, 0xfc, v15
	v_cmp_eq_u64_e32 vcc_lo, 0, v[10:11]
	s_delay_alu instid0(VALU_DEP_2)
	v_and_or_b32 v10, v10, 3, v15
	s_and_b32 s10, s10, vcc_lo
	s_delay_alu instid0(VALU_DEP_1) | instid1(SALU_CYCLE_1)
	v_cndmask_b32_e64 v10, v10, 0, s10
	s_delay_alu instid0(VALU_DEP_1)
	v_or_b32_e32 v99, v10, v86
.LBB2_3235:                             ;   in Loop: Header=BB2_2709 Depth=2
	s_or_b32 exec_lo, exec_lo, s13
                                        ; implicit-def: $vgpr86
.LBB2_3236:                             ;   in Loop: Header=BB2_2709 Depth=2
	s_and_not1_saveexec_b32 s10, s12
; %bb.3237:                             ;   in Loop: Header=BB2_2709 Depth=2
	v_or_b32_e32 v99, 0x7b, v86
; %bb.3238:                             ;   in Loop: Header=BB2_2709 Depth=2
	s_or_b32 exec_lo, exec_lo, s10
                                        ; implicit-def: $vgpr11
                                        ; implicit-def: $vgpr10
.LBB2_3239:                             ;   in Loop: Header=BB2_2709 Depth=2
	s_and_not1_saveexec_b32 s10, s11
	s_cbranch_execz .LBB2_3245
; %bb.3240:                             ;   in Loop: Header=BB2_2709 Depth=2
	s_mov_b32 s11, exec_lo
                                        ; implicit-def: $vgpr99
	v_cmpx_ne_u64_e32 0, v[36:37]
	s_xor_b32 s11, exec_lo, s11
; %bb.3241:                             ;   in Loop: Header=BB2_2709 Depth=2
	v_or_b32_e32 v99, 0x7f, v10
                                        ; implicit-def: $vgpr11
; %bb.3242:                             ;   in Loop: Header=BB2_2709 Depth=2
	s_and_not1_saveexec_b32 s11, s11
; %bb.3243:                             ;   in Loop: Header=BB2_2709 Depth=2
	v_cmp_lt_i32_e32 vcc_lo, -1, v11
	v_cndmask_b32_e32 v99, 0xfc, v46, vcc_lo
; %bb.3244:                             ;   in Loop: Header=BB2_2709 Depth=2
	s_or_b32 exec_lo, exec_lo, s11
.LBB2_3245:                             ;   in Loop: Header=BB2_2709 Depth=2
	s_delay_alu instid0(SALU_CYCLE_1) | instskip(SKIP_4) | instid1(VALU_DEP_3)
	s_or_b32 exec_lo, exec_lo, s10
	v_bfe_u32 v11, v16, 16, 2
	v_dual_lshrrev_b32 v36, 16, v16 :: v_dual_lshlrev_b32 v87, 8, v16
	v_and_b32_e32 v15, 0x7c0000, v16
	s_mov_b32 s13, -1
	v_clz_i32_u32_e32 v14, v11
	s_delay_alu instid0(VALU_DEP_3) | instskip(NEXT) | instid1(VALU_DEP_3)
	v_bfe_i32 v116, v36, 0, 8
	v_cmp_eq_u32_e64 s10, 0x7c0000, v15
	v_and_or_b32 v15, v87, s27, 0x38000000
	s_delay_alu instid0(VALU_DEP_4) | instskip(SKIP_3) | instid1(VALU_DEP_4)
	v_min_u32_e32 v86, 32, v14
	v_lshrrev_b32_e32 v10, 16, v12
	v_cmp_lt_i16_e32 vcc_lo, -1, v116
	v_bfe_u32 v14, v16, 18, 5
	v_subrev_nc_u32_e32 v118, 29, v86
	v_sub_nc_u32_e32 v86, 30, v86
	v_and_b32_e32 v117, 0xff, v10
	s_delay_alu instid0(VALU_DEP_4) | instskip(NEXT) | instid1(VALU_DEP_4)
	v_cmp_eq_u32_e64 s11, 0, v14
	v_lshlrev_b64_e32 v[118:119], v118, v[36:37]
	v_cndmask_b32_e32 v36, 0xff800000, v45, vcc_lo
	v_cmp_eq_u32_e32 vcc_lo, 0, v11
	v_cmp_ne_u16_e64 s12, 0, v117
	s_delay_alu instid0(VALU_DEP_3)
	v_cndmask_b32_e32 v36, 0x7f800001, v36, vcc_lo
	v_and_b32_e32 v87, 3, v118
	s_and_b32 vcc_lo, exec_lo, s43
                                        ; implicit-def: $vgpr118
	s_cbranch_vccz .LBB2_3263
; %bb.3246:                             ;   in Loop: Header=BB2_2709 Depth=2
	v_mov_b32_e32 v118, 0
	s_and_saveexec_b32 s13, s12
	s_cbranch_execz .LBB2_3256
; %bb.3247:                             ;   in Loop: Header=BB2_2709 Depth=2
	v_bfrev_b32_e32 v118, 1
	s_mov_b32 s14, exec_lo
	v_cmpx_ne_u16_e32 0x80, v117
	s_cbranch_execz .LBB2_3255
; %bb.3248:                             ;   in Loop: Header=BB2_2709 Depth=2
	v_and_b32_e32 v118, 0x7c0000, v12
	v_bfe_u32 v119, v12, 16, 2
	s_delay_alu instid0(VALU_DEP_2) | instskip(SKIP_1) | instid1(SALU_CYCLE_1)
	v_cmp_ne_u32_e32 vcc_lo, 0x7c0000, v118
                                        ; implicit-def: $vgpr118
	s_and_saveexec_b32 s44, vcc_lo
	s_xor_b32 s44, exec_lo, s44
	s_cbranch_execz .LBB2_3252
; %bb.3249:                             ;   in Loop: Header=BB2_2709 Depth=2
	v_bfe_u32 v118, v12, 18, 5
	s_mov_b32 s45, exec_lo
	s_delay_alu instid0(VALU_DEP_1)
	v_cmpx_eq_u32_e32 0, v118
; %bb.3250:                             ;   in Loop: Header=BB2_2709 Depth=2
	v_clz_i32_u32_e32 v118, v119
	s_delay_alu instid0(VALU_DEP_1) | instskip(NEXT) | instid1(VALU_DEP_1)
	v_min_u32_e32 v118, 32, v118
	v_subrev_nc_u32_e32 v119, 29, v118
	s_delay_alu instid0(VALU_DEP_1) | instskip(NEXT) | instid1(VALU_DEP_1)
	v_lshlrev_b64_e32 v[40:41], v119, v[10:11]
	v_dual_sub_nc_u32 v118, 30, v118 :: v_dual_bitop2_b32 v119, 3, v40 bitop3:0x40
; %bb.3251:                             ;   in Loop: Header=BB2_2709 Depth=2
	s_or_b32 exec_lo, exec_lo, s45
	v_lshlrev_b32_e32 v40, 24, v10
	s_delay_alu instid0(VALU_DEP_1) | instskip(NEXT) | instid1(VALU_DEP_1)
	v_and_b32_e32 v40, 0x80000000, v40
	v_lshl_add_u32 v118, v118, 23, v40
	s_delay_alu instid0(VALU_DEP_1) | instskip(NEXT) | instid1(VALU_DEP_1)
	v_lshl_or_b32 v118, v119, 21, v118
                                        ; implicit-def: $vgpr119
	v_add_nc_u32_e32 v118, 0x38000000, v118
.LBB2_3252:                             ;   in Loop: Header=BB2_2709 Depth=2
	s_and_not1_saveexec_b32 s44, s44
; %bb.3253:                             ;   in Loop: Header=BB2_2709 Depth=2
	v_bfe_i32 v118, v10, 0, 8
	s_delay_alu instid0(VALU_DEP_1) | instskip(SKIP_2) | instid1(VALU_DEP_2)
	v_cmp_lt_i16_e32 vcc_lo, -1, v118
	v_cndmask_b32_e32 v118, 0xff800000, v45, vcc_lo
	v_cmp_eq_u32_e32 vcc_lo, 0, v119
	v_cndmask_b32_e32 v118, 0x7f800001, v118, vcc_lo
; %bb.3254:                             ;   in Loop: Header=BB2_2709 Depth=2
	s_or_b32 exec_lo, exec_lo, s44
.LBB2_3255:                             ;   in Loop: Header=BB2_2709 Depth=2
	s_delay_alu instid0(SALU_CYCLE_1)
	s_or_b32 exec_lo, exec_lo, s14
.LBB2_3256:                             ;   in Loop: Header=BB2_2709 Depth=2
	s_delay_alu instid0(SALU_CYCLE_1) | instskip(SKIP_3) | instid1(VALU_DEP_1)
	s_or_b32 exec_lo, exec_lo, s13
	v_and_b32_e32 v40, 0xff, v116
	s_mov_b32 s13, 0
	s_mov_b32 s14, exec_lo
	v_cmpx_lt_i16_e32 0x7f, v40
	s_xor_b32 s14, exec_lo, s14
	s_cbranch_execz .LBB2_3588
; %bb.3257:                             ;   in Loop: Header=BB2_2709 Depth=2
	s_mov_b32 s13, -1
	s_mov_b32 s44, exec_lo
	v_cmpx_eq_u16_e32 0x80, v40
; %bb.3258:                             ;   in Loop: Header=BB2_2709 Depth=2
	s_xor_b32 s13, exec_lo, -1
; %bb.3259:                             ;   in Loop: Header=BB2_2709 Depth=2
	s_or_b32 exec_lo, exec_lo, s44
	s_delay_alu instid0(SALU_CYCLE_1)
	s_and_b32 s13, s13, exec_lo
                                        ; implicit-def: $vgpr40
	s_or_saveexec_b32 s14, s14
	v_bfrev_b32_e32 v119, 1
	s_xor_b32 exec_lo, exec_lo, s14
	s_cbranch_execnz .LBB2_3589
.LBB2_3260:                             ;   in Loop: Header=BB2_2709 Depth=2
	s_or_b32 exec_lo, exec_lo, s14
	s_and_saveexec_b32 s14, s13
.LBB2_3261:                             ;   in Loop: Header=BB2_2709 Depth=2
	v_dual_cndmask_b32 v119, v14, v86, s11 :: v_dual_cndmask_b32 v40, v11, v87, s11
	s_delay_alu instid0(VALU_DEP_1) | instskip(NEXT) | instid1(VALU_DEP_1)
	v_lshl_add_u32 v119, v119, 23, v15
	v_lshl_or_b32 v119, v40, 21, v119
	s_delay_alu instid0(VALU_DEP_1)
	v_cndmask_b32_e64 v119, v119, v36, s10
.LBB2_3262:                             ;   in Loop: Header=BB2_2709 Depth=2
	s_or_b32 exec_lo, exec_lo, s14
	s_delay_alu instid0(VALU_DEP_1) | instskip(SKIP_1) | instid1(VALU_DEP_1)
	v_dual_max_num_f32 v119, v119, v119 :: v_dual_max_num_f32 v118, v118, v118
	s_mov_b32 s13, 0
	v_max_num_f32_e32 v118, v118, v119
.LBB2_3263:                             ;   in Loop: Header=BB2_2709 Depth=2
	s_and_b32 vcc_lo, exec_lo, s13
	s_cbranch_vccz .LBB2_3281
; %bb.3264:                             ;   in Loop: Header=BB2_2709 Depth=2
	v_mov_b32_e32 v118, 0
	s_and_saveexec_b32 s13, s12
	s_cbranch_execz .LBB2_3274
; %bb.3265:                             ;   in Loop: Header=BB2_2709 Depth=2
	v_bfrev_b32_e32 v118, 1
	s_mov_b32 s12, exec_lo
	v_cmpx_ne_u16_e32 0x80, v117
	s_cbranch_execz .LBB2_3273
; %bb.3266:                             ;   in Loop: Header=BB2_2709 Depth=2
	v_and_b32_e32 v118, 0x7c0000, v12
	v_bfe_u32 v117, v12, 16, 2
	s_delay_alu instid0(VALU_DEP_2) | instskip(SKIP_1) | instid1(SALU_CYCLE_1)
	v_cmp_ne_u32_e32 vcc_lo, 0x7c0000, v118
                                        ; implicit-def: $vgpr118
	s_and_saveexec_b32 s14, vcc_lo
	s_xor_b32 s14, exec_lo, s14
	s_cbranch_execz .LBB2_3270
; %bb.3267:                             ;   in Loop: Header=BB2_2709 Depth=2
	v_bfe_u32 v118, v12, 18, 5
	s_mov_b32 s44, exec_lo
	s_delay_alu instid0(VALU_DEP_1)
	v_cmpx_eq_u32_e32 0, v118
; %bb.3268:                             ;   in Loop: Header=BB2_2709 Depth=2
	v_clz_i32_u32_e32 v117, v117
	s_delay_alu instid0(VALU_DEP_1) | instskip(NEXT) | instid1(VALU_DEP_1)
	v_min_u32_e32 v117, 32, v117
	v_subrev_nc_u32_e32 v118, 29, v117
	s_delay_alu instid0(VALU_DEP_1) | instskip(NEXT) | instid1(VALU_DEP_1)
	v_lshlrev_b64_e32 v[40:41], v118, v[10:11]
	v_dual_sub_nc_u32 v118, 30, v117 :: v_dual_bitop2_b32 v117, 3, v40 bitop3:0x40
; %bb.3269:                             ;   in Loop: Header=BB2_2709 Depth=2
	s_or_b32 exec_lo, exec_lo, s44
	v_lshlrev_b32_e32 v10, 24, v10
	s_delay_alu instid0(VALU_DEP_1) | instskip(NEXT) | instid1(VALU_DEP_1)
	v_and_b32_e32 v10, 0x80000000, v10
	v_lshl_add_u32 v10, v118, 23, v10
	s_delay_alu instid0(VALU_DEP_1) | instskip(NEXT) | instid1(VALU_DEP_1)
	v_lshl_or_b32 v10, v117, 21, v10
                                        ; implicit-def: $vgpr117
	v_add_nc_u32_e32 v118, 0x38000000, v10
                                        ; implicit-def: $vgpr10
.LBB2_3270:                             ;   in Loop: Header=BB2_2709 Depth=2
	s_and_not1_saveexec_b32 s14, s14
; %bb.3271:                             ;   in Loop: Header=BB2_2709 Depth=2
	v_bfe_i32 v10, v10, 0, 8
	s_delay_alu instid0(VALU_DEP_1) | instskip(SKIP_2) | instid1(VALU_DEP_2)
	v_cmp_lt_i16_e32 vcc_lo, -1, v10
	v_cndmask_b32_e32 v10, 0xff800000, v45, vcc_lo
	v_cmp_eq_u32_e32 vcc_lo, 0, v117
	v_cndmask_b32_e32 v118, 0x7f800001, v10, vcc_lo
; %bb.3272:                             ;   in Loop: Header=BB2_2709 Depth=2
	s_or_b32 exec_lo, exec_lo, s14
.LBB2_3273:                             ;   in Loop: Header=BB2_2709 Depth=2
	s_delay_alu instid0(SALU_CYCLE_1)
	s_or_b32 exec_lo, exec_lo, s12
.LBB2_3274:                             ;   in Loop: Header=BB2_2709 Depth=2
	s_delay_alu instid0(SALU_CYCLE_1) | instskip(SKIP_3) | instid1(VALU_DEP_1)
	s_or_b32 exec_lo, exec_lo, s13
	v_and_b32_e32 v116, 0xff, v116
	s_mov_b32 s12, 0
	s_mov_b32 s13, exec_lo
	v_cmpx_lt_i16_e32 0x7f, v116
	s_xor_b32 s13, exec_lo, s13
	s_cbranch_execz .LBB2_3590
; %bb.3275:                             ;   in Loop: Header=BB2_2709 Depth=2
	s_mov_b32 s12, -1
	s_mov_b32 s14, exec_lo
	v_cmpx_eq_u16_e32 0x80, v116
; %bb.3276:                             ;   in Loop: Header=BB2_2709 Depth=2
	s_xor_b32 s12, exec_lo, -1
; %bb.3277:                             ;   in Loop: Header=BB2_2709 Depth=2
	s_or_b32 exec_lo, exec_lo, s14
	s_delay_alu instid0(SALU_CYCLE_1)
	s_and_b32 s12, s12, exec_lo
                                        ; implicit-def: $vgpr116
	s_or_saveexec_b32 s13, s13
	v_bfrev_b32_e32 v10, 1
	s_xor_b32 exec_lo, exec_lo, s13
	s_cbranch_execnz .LBB2_3591
.LBB2_3278:                             ;   in Loop: Header=BB2_2709 Depth=2
	s_or_b32 exec_lo, exec_lo, s13
	s_and_saveexec_b32 s13, s12
.LBB2_3279:                             ;   in Loop: Header=BB2_2709 Depth=2
	v_dual_cndmask_b32 v10, v14, v86, s11 :: v_dual_cndmask_b32 v11, v11, v87, s11
	s_delay_alu instid0(VALU_DEP_1) | instskip(NEXT) | instid1(VALU_DEP_1)
	v_lshl_add_u32 v10, v10, 23, v15
	v_lshl_or_b32 v10, v11, 21, v10
	s_delay_alu instid0(VALU_DEP_1)
	v_cndmask_b32_e64 v10, v10, v36, s10
.LBB2_3280:                             ;   in Loop: Header=BB2_2709 Depth=2
	s_or_b32 exec_lo, exec_lo, s13
	s_delay_alu instid0(VALU_DEP_1) | instskip(SKIP_1) | instid1(VALU_DEP_1)
	v_max_num_f32_e32 v10, v10, v10
	v_max_num_f32_e32 v11, v118, v118
	v_min_num_f32_e32 v118, v11, v10
.LBB2_3281:                             ;   in Loop: Header=BB2_2709 Depth=2
	s_delay_alu instid0(VALU_DEP_1) | instskip(SKIP_2) | instid1(VALU_DEP_2)
	v_and_b32_e32 v10, 0x7f800000, v118
	v_mov_b32_e32 v11, v37
	v_and_b32_e32 v36, 0x7fffff, v118
                                        ; implicit-def: $vgpr116
	v_cmp_ne_u64_e32 vcc_lo, 0x7f800000, v[10:11]
	v_lshrrev_b32_e32 v10, 24, v118
	s_and_saveexec_b32 s10, vcc_lo
	s_delay_alu instid0(SALU_CYCLE_1)
	s_xor_b32 s11, exec_lo, s10
	s_cbranch_execz .LBB2_3295
; %bb.3282:                             ;   in Loop: Header=BB2_2709 Depth=2
	v_and_b32_e32 v14, 0x7fffffff, v118
	v_mov_b32_e32 v15, v37
	v_and_b32_e32 v86, 0x80, v10
                                        ; implicit-def: $vgpr116
	s_mov_b32 s10, exec_lo
	s_delay_alu instid0(VALU_DEP_2)
	v_cmpx_gt_u64_e32 0x47600001, v[14:15]
	s_xor_b32 s12, exec_lo, s10
	s_cbranch_execz .LBB2_3292
; %bb.3283:                             ;   in Loop: Header=BB2_2709 Depth=2
	v_mov_b32_e32 v116, 0
	s_mov_b32 s13, exec_lo
	v_cmpx_ne_u32_e32 0, v118
	s_cbranch_execz .LBB2_3291
; %bb.3284:                             ;   in Loop: Header=BB2_2709 Depth=2
	v_bfe_u32 v87, v118, 23, 8
	v_or_b32_e32 v14, 0x800000, v36
	s_delay_alu instid0(VALU_DEP_2) | instskip(SKIP_1) | instid1(VALU_DEP_2)
	v_sub_nc_u32_e32 v10, 0x71, v87
	v_cmp_gt_u32_e32 vcc_lo, 0x72, v87
	v_cndmask_b32_e32 v10, 0, v10, vcc_lo
	v_cmp_eq_u32_e32 vcc_lo, 0, v87
	s_delay_alu instid0(VALU_DEP_2) | instskip(SKIP_1) | instid1(VALU_DEP_2)
	v_cndmask_b32_e64 v116, v10, 0x70, vcc_lo
	v_cndmask_b32_e32 v36, v14, v36, vcc_lo
	v_dual_add_nc_u32 v10, 21, v116 :: v_dual_add_nc_u32 v15, 20, v116
	s_delay_alu instid0(VALU_DEP_1) | instskip(NEXT) | instid1(VALU_DEP_2)
	v_lshlrev_b64_e64 v[10:11], v10, -1
	v_lshlrev_b64_e64 v[14:15], v15, 1
	s_delay_alu instid0(VALU_DEP_2) | instskip(NEXT) | instid1(VALU_DEP_3)
	v_bfi_b32 v119, v11, 0, 0
	v_bfi_b32 v118, v10, 0, v36
	v_lshrrev_b64 v[10:11], v116, v[36:37]
	s_delay_alu instid0(VALU_DEP_2) | instskip(NEXT) | instid1(VALU_DEP_2)
	v_cmp_eq_u64_e64 s10, v[118:119], v[14:15]
	v_mov_b64_e32 v[14:15], v[10:11]
	s_and_saveexec_b32 s14, s10
; %bb.3285:                             ;   in Loop: Header=BB2_2709 Depth=2
	v_bfe_u32 v36, v10, 21, 1
	s_delay_alu instid0(VALU_DEP_1) | instskip(NEXT) | instid1(VALU_DEP_1)
	v_add_nc_u64_e32 v[14:15], v[10:11], v[36:37]
	v_add_nc_u64_e32 v[14:15], -1, v[14:15]
; %bb.3286:                             ;   in Loop: Header=BB2_2709 Depth=2
	s_or_b32 exec_lo, exec_lo, s14
	v_add_nc_u32_e32 v11, 0xffffff81, v87
	v_lshrrev_b32_e32 v15, 23, v10
	s_mov_b32 s10, exec_lo
	s_delay_alu instid0(VALU_DEP_2) | instskip(NEXT) | instid1(VALU_DEP_1)
	v_cndmask_b32_e64 v11, v11, 0xffffff82, vcc_lo
	v_add3_u32 v15, v116, v11, v15
	v_and_b32_e32 v11, 0x1fffff, v14
                                        ; implicit-def: $vgpr14
	s_delay_alu instid0(VALU_DEP_1) | instskip(NEXT) | instid1(VALU_DEP_1)
	v_dual_add_nc_u32 v87, 14, v15 :: v_dual_add_nc_u32 v36, v11, v10
                                        ; implicit-def: $vgpr10_vgpr11
	v_cmpx_ne_u32_e32 0, v87
	s_xor_b32 s10, exec_lo, s10
; %bb.3287:                             ;   in Loop: Header=BB2_2709 Depth=2
	s_delay_alu instid0(VALU_DEP_2) | instskip(SKIP_1) | instid1(VALU_DEP_1)
	v_cmp_lt_u64_e32 vcc_lo, 0xffffff, v[36:37]
	v_add_nc_u32_e32 v10, 15, v15
	v_cndmask_b32_e32 v14, v87, v10, vcc_lo
	v_cndmask_b32_e64 v10, 0, 1, vcc_lo
	s_delay_alu instid0(VALU_DEP_1)
	v_lshrrev_b64 v[10:11], v10, v[36:37]
; %bb.3288:                             ;   in Loop: Header=BB2_2709 Depth=2
	s_and_not1_saveexec_b32 s10, s10
; %bb.3289:                             ;   in Loop: Header=BB2_2709 Depth=2
	v_mov_b64_e32 v[10:11], v[36:37]
	v_bfe_u32 v14, v36, 23, 1
; %bb.3290:                             ;   in Loop: Header=BB2_2709 Depth=2
	s_or_b32 exec_lo, exec_lo, s10
	s_delay_alu instid0(VALU_DEP_2) | instskip(NEXT) | instid1(VALU_DEP_2)
	v_lshrrev_b64 v[10:11], 21, v[10:11]
	v_cmp_gt_i32_e32 vcc_lo, 32, v14
	v_min_i32_e32 v15, 31, v14
	v_cmp_eq_u32_e64 s10, 0, v14
	s_delay_alu instid0(VALU_DEP_4) | instskip(NEXT) | instid1(VALU_DEP_3)
	v_cndmask_b32_e32 v11, 0, v11, vcc_lo
	v_dual_cndmask_b32 v10, 3, v10 :: v_dual_lshlrev_b32 v15, 2, v15
	s_delay_alu instid0(VALU_DEP_1) | instskip(NEXT) | instid1(VALU_DEP_2)
	v_and_b32_e32 v15, 0xfc, v15
	v_cmp_eq_u64_e32 vcc_lo, 0, v[10:11]
	s_delay_alu instid0(VALU_DEP_2)
	v_and_or_b32 v10, v10, 3, v15
	s_and_b32 s10, s10, vcc_lo
	s_delay_alu instid0(VALU_DEP_1) | instid1(SALU_CYCLE_1)
	v_cndmask_b32_e64 v10, v10, 0, s10
	s_delay_alu instid0(VALU_DEP_1)
	v_or_b32_e32 v116, v10, v86
.LBB2_3291:                             ;   in Loop: Header=BB2_2709 Depth=2
	s_or_b32 exec_lo, exec_lo, s13
                                        ; implicit-def: $vgpr86
.LBB2_3292:                             ;   in Loop: Header=BB2_2709 Depth=2
	s_and_not1_saveexec_b32 s10, s12
; %bb.3293:                             ;   in Loop: Header=BB2_2709 Depth=2
	v_or_b32_e32 v116, 0x7b, v86
; %bb.3294:                             ;   in Loop: Header=BB2_2709 Depth=2
	s_or_b32 exec_lo, exec_lo, s10
                                        ; implicit-def: $vgpr118
                                        ; implicit-def: $vgpr10
.LBB2_3295:                             ;   in Loop: Header=BB2_2709 Depth=2
	s_and_not1_saveexec_b32 s10, s11
	s_cbranch_execz .LBB2_3301
; %bb.3296:                             ;   in Loop: Header=BB2_2709 Depth=2
	s_mov_b32 s11, exec_lo
                                        ; implicit-def: $vgpr116
	v_cmpx_ne_u64_e32 0, v[36:37]
	s_xor_b32 s11, exec_lo, s11
; %bb.3297:                             ;   in Loop: Header=BB2_2709 Depth=2
	v_or_b32_e32 v116, 0x7f, v10
                                        ; implicit-def: $vgpr118
; %bb.3298:                             ;   in Loop: Header=BB2_2709 Depth=2
	s_and_not1_saveexec_b32 s11, s11
; %bb.3299:                             ;   in Loop: Header=BB2_2709 Depth=2
	v_cmp_lt_i32_e32 vcc_lo, -1, v118
	v_cndmask_b32_e32 v116, 0xfc, v46, vcc_lo
; %bb.3300:                             ;   in Loop: Header=BB2_2709 Depth=2
	s_or_b32 exec_lo, exec_lo, s11
.LBB2_3301:                             ;   in Loop: Header=BB2_2709 Depth=2
	s_delay_alu instid0(SALU_CYCLE_1)
	s_or_b32 exec_lo, exec_lo, s10
	v_bfe_u32 v11, v16, 24, 2
	v_lshrrev_b32_e32 v36, 24, v16
	v_cmp_lt_i32_e32 vcc_lo, -1, v16
	v_and_b32_e32 v87, 0x7c000000, v16
	v_cmp_gt_u32_e64 s10, 0x1000000, v16
	v_clz_i32_u32_e32 v14, v11
	v_and_or_b32 v15, v16, s27, 0x38000000
	v_cndmask_b32_e32 v40, 0xff800000, v45, vcc_lo
	v_cmp_eq_u32_e32 vcc_lo, 0, v11
	v_cmp_lt_u32_e64 s14, 0xffffff, v12
	v_min_u32_e32 v86, 32, v14
	v_bfe_u32 v14, v16, 26, 5
	v_lshrrev_b32_e32 v10, 24, v12
	v_cmp_eq_u32_e64 s12, 0x7c000000, v87
	s_mov_b32 s44, -1
	v_subrev_nc_u32_e32 v117, 29, v86
	v_cmp_eq_u32_e64 s13, 0, v14
	v_sub_nc_u32_e32 v86, 30, v86
	s_delay_alu instid0(VALU_DEP_3) | instskip(NEXT) | instid1(VALU_DEP_1)
	v_lshlrev_b64_e32 v[118:119], v117, v[36:37]
	v_and_b32_e32 v87, 3, v118
	v_cmp_eq_u32_e64 s11, 0x80, v36
	v_cndmask_b32_e32 v36, 0x7f800001, v40, vcc_lo
	s_and_b32 vcc_lo, exec_lo, s43
                                        ; implicit-def: $vgpr118
	s_cbranch_vccz .LBB2_3313
; %bb.3302:                             ;   in Loop: Header=BB2_2709 Depth=2
	v_mov_b32_e32 v117, 0
	s_and_saveexec_b32 s44, s14
	s_cbranch_execz .LBB2_3312
; %bb.3303:                             ;   in Loop: Header=BB2_2709 Depth=2
	v_bfrev_b32_e32 v117, 1
	s_mov_b32 s45, exec_lo
	v_cmpx_ne_u32_e32 0x80, v10
	s_cbranch_execz .LBB2_3311
; %bb.3304:                             ;   in Loop: Header=BB2_2709 Depth=2
	v_and_b32_e32 v117, 0x7c000000, v12
	v_bfe_u32 v118, v12, 24, 2
	s_delay_alu instid0(VALU_DEP_2) | instskip(SKIP_1) | instid1(SALU_CYCLE_1)
	v_cmp_ne_u32_e32 vcc_lo, 0x7c000000, v117
                                        ; implicit-def: $vgpr117
	s_and_saveexec_b32 s46, vcc_lo
	s_xor_b32 s46, exec_lo, s46
	s_cbranch_execz .LBB2_3308
; %bb.3305:                             ;   in Loop: Header=BB2_2709 Depth=2
	v_bfe_u32 v117, v12, 26, 5
	s_mov_b32 s47, exec_lo
	s_delay_alu instid0(VALU_DEP_1)
	v_cmpx_eq_u32_e32 0, v117
; %bb.3306:                             ;   in Loop: Header=BB2_2709 Depth=2
	v_clz_i32_u32_e32 v117, v118
	s_delay_alu instid0(VALU_DEP_1) | instskip(NEXT) | instid1(VALU_DEP_1)
	v_min_u32_e32 v117, 32, v117
	v_subrev_nc_u32_e32 v118, 29, v117
	s_delay_alu instid0(VALU_DEP_1) | instskip(NEXT) | instid1(VALU_DEP_1)
	v_lshlrev_b64_e32 v[118:119], v118, v[10:11]
	v_dual_sub_nc_u32 v117, 30, v117 :: v_dual_bitop2_b32 v118, 3, v118 bitop3:0x40
; %bb.3307:                             ;   in Loop: Header=BB2_2709 Depth=2
	s_or_b32 exec_lo, exec_lo, s47
	v_and_b32_e32 v119, 0x80000000, v12
	s_delay_alu instid0(VALU_DEP_1) | instskip(NEXT) | instid1(VALU_DEP_1)
	v_lshl_add_u32 v117, v117, 23, v119
	v_lshl_or_b32 v117, v118, 21, v117
                                        ; implicit-def: $vgpr118
	s_delay_alu instid0(VALU_DEP_1)
	v_add_nc_u32_e32 v117, 0x38000000, v117
.LBB2_3308:                             ;   in Loop: Header=BB2_2709 Depth=2
	s_and_not1_saveexec_b32 s46, s46
; %bb.3309:                             ;   in Loop: Header=BB2_2709 Depth=2
	v_cmp_lt_i32_e32 vcc_lo, -1, v12
	v_cndmask_b32_e32 v117, 0xff800000, v45, vcc_lo
	v_cmp_eq_u32_e32 vcc_lo, 0, v118
	s_delay_alu instid0(VALU_DEP_2)
	v_cndmask_b32_e32 v117, 0x7f800001, v117, vcc_lo
; %bb.3310:                             ;   in Loop: Header=BB2_2709 Depth=2
	s_or_b32 exec_lo, exec_lo, s46
.LBB2_3311:                             ;   in Loop: Header=BB2_2709 Depth=2
	s_delay_alu instid0(SALU_CYCLE_1)
	s_or_b32 exec_lo, exec_lo, s45
.LBB2_3312:                             ;   in Loop: Header=BB2_2709 Depth=2
	s_delay_alu instid0(SALU_CYCLE_1) | instskip(SKIP_3) | instid1(VALU_DEP_2)
	s_or_b32 exec_lo, exec_lo, s44
	v_dual_cndmask_b32 v118, v14, v86, s13 :: v_dual_cndmask_b32 v119, v11, v87, s13
	s_mov_b32 s44, 0
	v_max_num_f32_e32 v117, v117, v117
	v_lshl_add_u32 v118, v118, 23, v15
	s_delay_alu instid0(VALU_DEP_1) | instskip(NEXT) | instid1(VALU_DEP_1)
	v_lshl_or_b32 v118, v119, 21, v118
	v_cndmask_b32_e64 v118, v118, v36, s12
	s_delay_alu instid0(VALU_DEP_1) | instskip(NEXT) | instid1(VALU_DEP_1)
	v_cndmask_b32_e64 v118, v118, 0x80000000, s11
	v_cndmask_b32_e64 v118, v118, 0, s10
	s_delay_alu instid0(VALU_DEP_1) | instskip(NEXT) | instid1(VALU_DEP_1)
	v_max_num_f32_e32 v118, v118, v118
	v_max_num_f32_e32 v118, v117, v118
.LBB2_3313:                             ;   in Loop: Header=BB2_2709 Depth=2
	s_and_b32 vcc_lo, exec_lo, s44
	s_cbranch_vccz .LBB2_3325
; %bb.3314:                             ;   in Loop: Header=BB2_2709 Depth=2
	v_mov_b32_e32 v117, 0
	s_and_saveexec_b32 s44, s14
	s_cbranch_execz .LBB2_3324
; %bb.3315:                             ;   in Loop: Header=BB2_2709 Depth=2
	v_bfrev_b32_e32 v117, 1
	s_mov_b32 s14, exec_lo
	v_cmpx_ne_u32_e32 0x80, v10
	s_cbranch_execz .LBB2_3323
; %bb.3316:                             ;   in Loop: Header=BB2_2709 Depth=2
	v_and_b32_e32 v117, 0x7c000000, v12
	v_bfe_u32 v118, v12, 24, 2
	s_delay_alu instid0(VALU_DEP_2) | instskip(SKIP_1) | instid1(SALU_CYCLE_1)
	v_cmp_ne_u32_e32 vcc_lo, 0x7c000000, v117
                                        ; implicit-def: $vgpr117
	s_and_saveexec_b32 s45, vcc_lo
	s_xor_b32 s45, exec_lo, s45
	s_cbranch_execz .LBB2_3320
; %bb.3317:                             ;   in Loop: Header=BB2_2709 Depth=2
	v_bfe_u32 v117, v12, 26, 5
	s_mov_b32 s46, exec_lo
	s_delay_alu instid0(VALU_DEP_1)
	v_cmpx_eq_u32_e32 0, v117
; %bb.3318:                             ;   in Loop: Header=BB2_2709 Depth=2
	v_clz_i32_u32_e32 v117, v118
	s_delay_alu instid0(VALU_DEP_1) | instskip(NEXT) | instid1(VALU_DEP_1)
	v_min_u32_e32 v117, 32, v117
	v_subrev_nc_u32_e32 v118, 29, v117
	s_delay_alu instid0(VALU_DEP_1) | instskip(NEXT) | instid1(VALU_DEP_1)
	v_lshlrev_b64_e32 v[118:119], v118, v[10:11]
	v_dual_sub_nc_u32 v117, 30, v117 :: v_dual_bitop2_b32 v118, 3, v118 bitop3:0x40
; %bb.3319:                             ;   in Loop: Header=BB2_2709 Depth=2
	s_or_b32 exec_lo, exec_lo, s46
	v_and_b32_e32 v10, 0x80000000, v12
	s_delay_alu instid0(VALU_DEP_1) | instskip(NEXT) | instid1(VALU_DEP_1)
	v_lshl_add_u32 v10, v117, 23, v10
	v_lshl_or_b32 v10, v118, 21, v10
                                        ; implicit-def: $vgpr118
	s_delay_alu instid0(VALU_DEP_1)
	v_add_nc_u32_e32 v117, 0x38000000, v10
.LBB2_3320:                             ;   in Loop: Header=BB2_2709 Depth=2
	s_and_not1_saveexec_b32 s45, s45
; %bb.3321:                             ;   in Loop: Header=BB2_2709 Depth=2
	v_cmp_lt_i32_e32 vcc_lo, -1, v12
	v_cndmask_b32_e32 v10, 0xff800000, v45, vcc_lo
	v_cmp_eq_u32_e32 vcc_lo, 0, v118
	s_delay_alu instid0(VALU_DEP_2)
	v_cndmask_b32_e32 v117, 0x7f800001, v10, vcc_lo
; %bb.3322:                             ;   in Loop: Header=BB2_2709 Depth=2
	s_or_b32 exec_lo, exec_lo, s45
.LBB2_3323:                             ;   in Loop: Header=BB2_2709 Depth=2
	s_delay_alu instid0(SALU_CYCLE_1)
	s_or_b32 exec_lo, exec_lo, s14
.LBB2_3324:                             ;   in Loop: Header=BB2_2709 Depth=2
	s_delay_alu instid0(SALU_CYCLE_1) | instskip(SKIP_1) | instid1(VALU_DEP_1)
	s_or_b32 exec_lo, exec_lo, s44
	v_dual_cndmask_b32 v10, v14, v86, s13 :: v_dual_cndmask_b32 v11, v11, v87, s13
	v_lshl_add_u32 v10, v10, 23, v15
	s_delay_alu instid0(VALU_DEP_1) | instskip(NEXT) | instid1(VALU_DEP_1)
	v_lshl_or_b32 v10, v11, 21, v10
	v_dual_max_num_f32 v11, v117, v117 :: v_dual_cndmask_b32 v10, v10, v36, s12
	s_delay_alu instid0(VALU_DEP_1) | instskip(NEXT) | instid1(VALU_DEP_1)
	v_cndmask_b32_e64 v10, v10, 0x80000000, s11
	v_cndmask_b32_e64 v10, v10, 0, s10
	s_delay_alu instid0(VALU_DEP_1) | instskip(NEXT) | instid1(VALU_DEP_1)
	v_max_num_f32_e32 v10, v10, v10
	v_min_num_f32_e32 v118, v11, v10
.LBB2_3325:                             ;   in Loop: Header=BB2_2709 Depth=2
	s_delay_alu instid0(VALU_DEP_1) | instskip(SKIP_2) | instid1(VALU_DEP_2)
	v_and_b32_e32 v10, 0x7f800000, v118
	v_mov_b32_e32 v11, v37
	v_and_b32_e32 v36, 0x7fffff, v118
                                        ; implicit-def: $vgpr117
	v_cmp_ne_u64_e32 vcc_lo, 0x7f800000, v[10:11]
	v_lshrrev_b32_e32 v10, 24, v118
	s_and_saveexec_b32 s10, vcc_lo
	s_delay_alu instid0(SALU_CYCLE_1)
	s_xor_b32 s11, exec_lo, s10
	s_cbranch_execz .LBB2_3339
; %bb.3326:                             ;   in Loop: Header=BB2_2709 Depth=2
	v_and_b32_e32 v14, 0x7fffffff, v118
	v_mov_b32_e32 v15, v37
	v_and_b32_e32 v86, 0x80, v10
                                        ; implicit-def: $vgpr117
	s_mov_b32 s10, exec_lo
	s_delay_alu instid0(VALU_DEP_2)
	v_cmpx_gt_u64_e32 0x47600001, v[14:15]
	s_xor_b32 s12, exec_lo, s10
	s_cbranch_execz .LBB2_3336
; %bb.3327:                             ;   in Loop: Header=BB2_2709 Depth=2
	v_mov_b32_e32 v117, 0
	s_mov_b32 s13, exec_lo
	v_cmpx_ne_u32_e32 0, v118
	s_cbranch_execz .LBB2_3335
; %bb.3328:                             ;   in Loop: Header=BB2_2709 Depth=2
	v_bfe_u32 v87, v118, 23, 8
	v_or_b32_e32 v14, 0x800000, v36
	s_delay_alu instid0(VALU_DEP_2) | instskip(SKIP_1) | instid1(VALU_DEP_2)
	v_sub_nc_u32_e32 v10, 0x71, v87
	v_cmp_gt_u32_e32 vcc_lo, 0x72, v87
	v_cndmask_b32_e32 v10, 0, v10, vcc_lo
	v_cmp_eq_u32_e32 vcc_lo, 0, v87
	s_delay_alu instid0(VALU_DEP_2) | instskip(NEXT) | instid1(VALU_DEP_1)
	v_cndmask_b32_e64 v117, v10, 0x70, vcc_lo
	v_dual_cndmask_b32 v36, v14, v36, vcc_lo :: v_dual_add_nc_u32 v10, 21, v117
	v_add_nc_u32_e32 v15, 20, v117
	s_delay_alu instid0(VALU_DEP_2) | instskip(NEXT) | instid1(VALU_DEP_2)
	v_lshlrev_b64_e64 v[10:11], v10, -1
	v_lshlrev_b64_e64 v[14:15], v15, 1
	s_delay_alu instid0(VALU_DEP_2) | instskip(NEXT) | instid1(VALU_DEP_3)
	v_bfi_b32 v119, v11, 0, 0
	v_bfi_b32 v118, v10, 0, v36
	v_lshrrev_b64 v[10:11], v117, v[36:37]
	s_delay_alu instid0(VALU_DEP_2) | instskip(NEXT) | instid1(VALU_DEP_2)
	v_cmp_eq_u64_e64 s10, v[118:119], v[14:15]
	v_mov_b64_e32 v[14:15], v[10:11]
	s_and_saveexec_b32 s14, s10
; %bb.3329:                             ;   in Loop: Header=BB2_2709 Depth=2
	v_bfe_u32 v36, v10, 21, 1
	s_delay_alu instid0(VALU_DEP_1) | instskip(NEXT) | instid1(VALU_DEP_1)
	v_add_nc_u64_e32 v[14:15], v[10:11], v[36:37]
	v_add_nc_u64_e32 v[14:15], -1, v[14:15]
; %bb.3330:                             ;   in Loop: Header=BB2_2709 Depth=2
	s_or_b32 exec_lo, exec_lo, s14
	v_add_nc_u32_e32 v11, 0xffffff81, v87
	v_lshrrev_b32_e32 v15, 23, v10
	s_mov_b32 s10, exec_lo
	s_delay_alu instid0(VALU_DEP_2) | instskip(NEXT) | instid1(VALU_DEP_1)
	v_cndmask_b32_e64 v11, v11, 0xffffff82, vcc_lo
	v_add3_u32 v15, v117, v11, v15
	v_and_b32_e32 v11, 0x1fffff, v14
                                        ; implicit-def: $vgpr14
	s_delay_alu instid0(VALU_DEP_1) | instskip(NEXT) | instid1(VALU_DEP_1)
	v_dual_add_nc_u32 v87, 14, v15 :: v_dual_add_nc_u32 v36, v11, v10
                                        ; implicit-def: $vgpr10_vgpr11
	v_cmpx_ne_u32_e32 0, v87
	s_xor_b32 s10, exec_lo, s10
; %bb.3331:                             ;   in Loop: Header=BB2_2709 Depth=2
	s_delay_alu instid0(VALU_DEP_2) | instskip(SKIP_1) | instid1(VALU_DEP_1)
	v_cmp_lt_u64_e32 vcc_lo, 0xffffff, v[36:37]
	v_add_nc_u32_e32 v10, 15, v15
	v_cndmask_b32_e32 v14, v87, v10, vcc_lo
	v_cndmask_b32_e64 v10, 0, 1, vcc_lo
	s_delay_alu instid0(VALU_DEP_1)
	v_lshrrev_b64 v[10:11], v10, v[36:37]
; %bb.3332:                             ;   in Loop: Header=BB2_2709 Depth=2
	s_and_not1_saveexec_b32 s10, s10
; %bb.3333:                             ;   in Loop: Header=BB2_2709 Depth=2
	v_mov_b64_e32 v[10:11], v[36:37]
	v_bfe_u32 v14, v36, 23, 1
; %bb.3334:                             ;   in Loop: Header=BB2_2709 Depth=2
	s_or_b32 exec_lo, exec_lo, s10
	s_delay_alu instid0(VALU_DEP_2) | instskip(NEXT) | instid1(VALU_DEP_2)
	v_lshrrev_b64 v[10:11], 21, v[10:11]
	v_cmp_gt_i32_e32 vcc_lo, 32, v14
	v_min_i32_e32 v15, 31, v14
	v_cmp_eq_u32_e64 s10, 0, v14
	s_delay_alu instid0(VALU_DEP_4) | instskip(NEXT) | instid1(VALU_DEP_3)
	v_cndmask_b32_e32 v11, 0, v11, vcc_lo
	v_dual_cndmask_b32 v10, 3, v10 :: v_dual_lshlrev_b32 v15, 2, v15
	s_delay_alu instid0(VALU_DEP_1) | instskip(NEXT) | instid1(VALU_DEP_2)
	v_and_b32_e32 v15, 0xfc, v15
	v_cmp_eq_u64_e32 vcc_lo, 0, v[10:11]
	s_delay_alu instid0(VALU_DEP_2)
	v_and_or_b32 v10, v10, 3, v15
	s_and_b32 s10, s10, vcc_lo
	s_delay_alu instid0(VALU_DEP_1) | instid1(SALU_CYCLE_1)
	v_cndmask_b32_e64 v10, v10, 0, s10
	s_delay_alu instid0(VALU_DEP_1)
	v_or_b32_e32 v117, v10, v86
.LBB2_3335:                             ;   in Loop: Header=BB2_2709 Depth=2
	s_or_b32 exec_lo, exec_lo, s13
                                        ; implicit-def: $vgpr86
.LBB2_3336:                             ;   in Loop: Header=BB2_2709 Depth=2
	s_and_not1_saveexec_b32 s10, s12
; %bb.3337:                             ;   in Loop: Header=BB2_2709 Depth=2
	v_or_b32_e32 v117, 0x7b, v86
; %bb.3338:                             ;   in Loop: Header=BB2_2709 Depth=2
	s_or_b32 exec_lo, exec_lo, s10
                                        ; implicit-def: $vgpr118
                                        ; implicit-def: $vgpr10
.LBB2_3339:                             ;   in Loop: Header=BB2_2709 Depth=2
	s_and_not1_saveexec_b32 s10, s11
	s_cbranch_execz .LBB2_3345
; %bb.3340:                             ;   in Loop: Header=BB2_2709 Depth=2
	s_mov_b32 s11, exec_lo
                                        ; implicit-def: $vgpr117
	v_cmpx_ne_u64_e32 0, v[36:37]
	s_xor_b32 s11, exec_lo, s11
; %bb.3341:                             ;   in Loop: Header=BB2_2709 Depth=2
	v_or_b32_e32 v117, 0x7f, v10
                                        ; implicit-def: $vgpr118
; %bb.3342:                             ;   in Loop: Header=BB2_2709 Depth=2
	s_and_not1_saveexec_b32 s11, s11
; %bb.3343:                             ;   in Loop: Header=BB2_2709 Depth=2
	v_cmp_lt_i32_e32 vcc_lo, -1, v118
	v_cndmask_b32_e32 v117, 0xfc, v46, vcc_lo
; %bb.3344:                             ;   in Loop: Header=BB2_2709 Depth=2
	s_or_b32 exec_lo, exec_lo, s11
.LBB2_3345:                             ;   in Loop: Header=BB2_2709 Depth=2
	s_delay_alu instid0(SALU_CYCLE_1) | instskip(SKIP_3) | instid1(VALU_DEP_3)
	s_or_b32 exec_lo, exec_lo, s10
	v_dual_mov_b32 v36, v13 :: v_dual_bitop2_b32 v14, 3, v17 bitop3:0x40
	v_bfe_i32 v119, v17, 0, 8
	v_dual_mov_b32 v10, v17 :: v_dual_mov_b32 v11, v37
	v_clz_i32_u32_e32 v15, v14
	v_and_b32_e32 v86, 0x7c, v17
	s_delay_alu instid0(VALU_DEP_4)
	v_cmp_lt_i16_e32 vcc_lo, -1, v119
	v_and_b32_e32 v40, 0xff, v13
	s_mov_b32 s13, -1
	v_min_u32_e32 v87, 32, v15
	v_bfe_u32 v15, v17, 2, 5
	v_lshlrev_b32_e32 v118, 24, v17
	v_cmp_eq_u32_e64 s10, 0x7c, v86
	v_cndmask_b32_e32 v86, 0xff800000, v45, vcc_lo
	v_subrev_nc_u32_e32 v41, 29, v87
	v_cmp_eq_u32_e32 vcc_lo, 0, v14
	v_cmp_eq_u32_e64 s11, 0, v15
	v_cmp_ne_u16_e64 s12, 0, v40
	v_sub_nc_u32_e32 v87, 30, v87
	v_lshlrev_b64_e32 v[58:59], v41, v[10:11]
	v_and_or_b32 v11, v118, s27, 0x38000000
	v_cndmask_b32_e32 v86, 0x7f800001, v86, vcc_lo
	s_and_b32 vcc_lo, exec_lo, s43
                                        ; implicit-def: $vgpr41
	s_delay_alu instid0(VALU_DEP_3)
	v_and_b32_e32 v118, 3, v58
	s_cbranch_vccz .LBB2_3363
; %bb.3346:                             ;   in Loop: Header=BB2_2709 Depth=2
	v_mov_b32_e32 v41, 0
	s_and_saveexec_b32 s13, s12
	s_cbranch_execz .LBB2_3356
; %bb.3347:                             ;   in Loop: Header=BB2_2709 Depth=2
	v_bfrev_b32_e32 v41, 1
	s_mov_b32 s14, exec_lo
	v_cmpx_ne_u16_e32 0x80, v40
	s_cbranch_execz .LBB2_3355
; %bb.3348:                             ;   in Loop: Header=BB2_2709 Depth=2
	v_and_b32_e32 v41, 0x7c, v13
	v_and_b32_e32 v58, 3, v13
	s_delay_alu instid0(VALU_DEP_2) | instskip(SKIP_1) | instid1(SALU_CYCLE_1)
	v_cmp_ne_u32_e32 vcc_lo, 0x7c, v41
                                        ; implicit-def: $vgpr41
	s_and_saveexec_b32 s44, vcc_lo
	s_xor_b32 s44, exec_lo, s44
	s_cbranch_execz .LBB2_3352
; %bb.3349:                             ;   in Loop: Header=BB2_2709 Depth=2
	v_bfe_u32 v41, v13, 2, 5
	s_mov_b32 s45, exec_lo
	s_delay_alu instid0(VALU_DEP_1)
	v_cmpx_eq_u32_e32 0, v41
; %bb.3350:                             ;   in Loop: Header=BB2_2709 Depth=2
	v_clz_i32_u32_e32 v41, v58
	s_delay_alu instid0(VALU_DEP_1) | instskip(NEXT) | instid1(VALU_DEP_1)
	v_min_u32_e32 v41, 32, v41
	v_subrev_nc_u32_e32 v58, 29, v41
	s_delay_alu instid0(VALU_DEP_1) | instskip(NEXT) | instid1(VALU_DEP_1)
	v_lshlrev_b64_e32 v[58:59], v58, v[36:37]
	v_dual_sub_nc_u32 v41, 30, v41 :: v_dual_bitop2_b32 v58, 3, v58 bitop3:0x40
; %bb.3351:                             ;   in Loop: Header=BB2_2709 Depth=2
	s_or_b32 exec_lo, exec_lo, s45
	v_lshlrev_b32_e32 v59, 24, v13
	s_delay_alu instid0(VALU_DEP_1) | instskip(NEXT) | instid1(VALU_DEP_1)
	v_and_b32_e32 v59, 0x80000000, v59
	v_lshl_add_u32 v41, v41, 23, v59
	s_delay_alu instid0(VALU_DEP_1) | instskip(NEXT) | instid1(VALU_DEP_1)
	v_lshl_or_b32 v41, v58, 21, v41
                                        ; implicit-def: $vgpr58
	v_add_nc_u32_e32 v41, 0x38000000, v41
.LBB2_3352:                             ;   in Loop: Header=BB2_2709 Depth=2
	s_and_not1_saveexec_b32 s44, s44
; %bb.3353:                             ;   in Loop: Header=BB2_2709 Depth=2
	v_bfe_i32 v41, v13, 0, 8
	s_delay_alu instid0(VALU_DEP_1) | instskip(SKIP_2) | instid1(VALU_DEP_2)
	v_cmp_lt_i16_e32 vcc_lo, -1, v41
	v_cndmask_b32_e32 v41, 0xff800000, v45, vcc_lo
	v_cmp_eq_u32_e32 vcc_lo, 0, v58
	v_cndmask_b32_e32 v41, 0x7f800001, v41, vcc_lo
; %bb.3354:                             ;   in Loop: Header=BB2_2709 Depth=2
	s_or_b32 exec_lo, exec_lo, s44
.LBB2_3355:                             ;   in Loop: Header=BB2_2709 Depth=2
	s_delay_alu instid0(SALU_CYCLE_1)
	s_or_b32 exec_lo, exec_lo, s14
.LBB2_3356:                             ;   in Loop: Header=BB2_2709 Depth=2
	s_delay_alu instid0(SALU_CYCLE_1) | instskip(SKIP_3) | instid1(VALU_DEP_1)
	s_or_b32 exec_lo, exec_lo, s13
	v_and_b32_e32 v59, 0xff, v119
	s_mov_b32 s13, 0
	s_mov_b32 s14, exec_lo
	v_cmpx_lt_i16_e32 0x7f, v59
	s_xor_b32 s14, exec_lo, s14
	s_cbranch_execz .LBB2_3592
; %bb.3357:                             ;   in Loop: Header=BB2_2709 Depth=2
	s_mov_b32 s13, -1
	s_mov_b32 s44, exec_lo
	v_cmpx_eq_u16_e32 0x80, v59
; %bb.3358:                             ;   in Loop: Header=BB2_2709 Depth=2
	s_xor_b32 s13, exec_lo, -1
; %bb.3359:                             ;   in Loop: Header=BB2_2709 Depth=2
	s_or_b32 exec_lo, exec_lo, s44
	s_delay_alu instid0(SALU_CYCLE_1)
	s_and_b32 s13, s13, exec_lo
                                        ; implicit-def: $vgpr59
	s_or_saveexec_b32 s14, s14
	v_bfrev_b32_e32 v58, 1
	s_xor_b32 exec_lo, exec_lo, s14
	s_cbranch_execnz .LBB2_3593
.LBB2_3360:                             ;   in Loop: Header=BB2_2709 Depth=2
	s_or_b32 exec_lo, exec_lo, s14
	s_and_saveexec_b32 s14, s13
.LBB2_3361:                             ;   in Loop: Header=BB2_2709 Depth=2
	v_dual_cndmask_b32 v58, v15, v87, s11 :: v_dual_cndmask_b32 v59, v14, v118, s11
	s_delay_alu instid0(VALU_DEP_1) | instskip(NEXT) | instid1(VALU_DEP_1)
	v_lshl_add_u32 v58, v58, 23, v11
	v_lshl_or_b32 v58, v59, 21, v58
	s_delay_alu instid0(VALU_DEP_1)
	v_cndmask_b32_e64 v58, v58, v86, s10
.LBB2_3362:                             ;   in Loop: Header=BB2_2709 Depth=2
	s_or_b32 exec_lo, exec_lo, s14
	s_delay_alu instid0(VALU_DEP_1) | instskip(SKIP_1) | instid1(VALU_DEP_1)
	v_dual_max_num_f32 v58, v58, v58 :: v_dual_max_num_f32 v41, v41, v41
	s_mov_b32 s13, 0
	v_max_num_f32_e32 v41, v41, v58
.LBB2_3363:                             ;   in Loop: Header=BB2_2709 Depth=2
	s_and_b32 vcc_lo, exec_lo, s13
	s_cbranch_vccz .LBB2_3381
; %bb.3364:                             ;   in Loop: Header=BB2_2709 Depth=2
	v_mov_b32_e32 v41, 0
	s_and_saveexec_b32 s13, s12
	s_cbranch_execz .LBB2_3374
; %bb.3365:                             ;   in Loop: Header=BB2_2709 Depth=2
	v_bfrev_b32_e32 v41, 1
	s_mov_b32 s12, exec_lo
	v_cmpx_ne_u16_e32 0x80, v40
	s_cbranch_execz .LBB2_3373
; %bb.3366:                             ;   in Loop: Header=BB2_2709 Depth=2
	v_and_b32_e32 v41, 0x7c, v13
	v_and_b32_e32 v40, 3, v13
	s_delay_alu instid0(VALU_DEP_2) | instskip(SKIP_1) | instid1(SALU_CYCLE_1)
	v_cmp_ne_u32_e32 vcc_lo, 0x7c, v41
                                        ; implicit-def: $vgpr41
	s_and_saveexec_b32 s14, vcc_lo
	s_xor_b32 s14, exec_lo, s14
	s_cbranch_execz .LBB2_3370
; %bb.3367:                             ;   in Loop: Header=BB2_2709 Depth=2
	v_bfe_u32 v41, v13, 2, 5
	s_mov_b32 s44, exec_lo
	s_delay_alu instid0(VALU_DEP_1)
	v_cmpx_eq_u32_e32 0, v41
; %bb.3368:                             ;   in Loop: Header=BB2_2709 Depth=2
	v_clz_i32_u32_e32 v40, v40
	s_delay_alu instid0(VALU_DEP_1) | instskip(NEXT) | instid1(VALU_DEP_1)
	v_min_u32_e32 v58, 32, v40
	v_subrev_nc_u32_e32 v40, 29, v58
	s_delay_alu instid0(VALU_DEP_1) | instskip(NEXT) | instid1(VALU_DEP_1)
	v_lshlrev_b64_e32 v[40:41], v40, v[36:37]
	v_dual_sub_nc_u32 v41, 30, v58 :: v_dual_bitop2_b32 v40, 3, v40 bitop3:0x40
; %bb.3369:                             ;   in Loop: Header=BB2_2709 Depth=2
	s_or_b32 exec_lo, exec_lo, s44
	v_lshlrev_b32_e32 v58, 24, v13
	s_delay_alu instid0(VALU_DEP_1) | instskip(NEXT) | instid1(VALU_DEP_1)
	v_and_b32_e32 v58, 0x80000000, v58
	v_lshl_add_u32 v41, v41, 23, v58
	s_delay_alu instid0(VALU_DEP_1) | instskip(NEXT) | instid1(VALU_DEP_1)
	v_lshl_or_b32 v40, v40, 21, v41
	v_add_nc_u32_e32 v41, 0x38000000, v40
                                        ; implicit-def: $vgpr40
.LBB2_3370:                             ;   in Loop: Header=BB2_2709 Depth=2
	s_and_not1_saveexec_b32 s14, s14
; %bb.3371:                             ;   in Loop: Header=BB2_2709 Depth=2
	v_bfe_i32 v41, v13, 0, 8
	s_delay_alu instid0(VALU_DEP_1) | instskip(SKIP_2) | instid1(VALU_DEP_2)
	v_cmp_lt_i16_e32 vcc_lo, -1, v41
	v_cndmask_b32_e32 v41, 0xff800000, v45, vcc_lo
	v_cmp_eq_u32_e32 vcc_lo, 0, v40
	v_cndmask_b32_e32 v41, 0x7f800001, v41, vcc_lo
; %bb.3372:                             ;   in Loop: Header=BB2_2709 Depth=2
	s_or_b32 exec_lo, exec_lo, s14
.LBB2_3373:                             ;   in Loop: Header=BB2_2709 Depth=2
	s_delay_alu instid0(SALU_CYCLE_1)
	s_or_b32 exec_lo, exec_lo, s12
.LBB2_3374:                             ;   in Loop: Header=BB2_2709 Depth=2
	s_delay_alu instid0(SALU_CYCLE_1) | instskip(SKIP_3) | instid1(VALU_DEP_1)
	s_or_b32 exec_lo, exec_lo, s13
	v_and_b32_e32 v40, 0xff, v119
	s_mov_b32 s12, 0
	s_mov_b32 s13, exec_lo
	v_cmpx_lt_i16_e32 0x7f, v40
	s_xor_b32 s13, exec_lo, s13
	s_cbranch_execz .LBB2_3594
; %bb.3375:                             ;   in Loop: Header=BB2_2709 Depth=2
	s_mov_b32 s12, -1
	s_mov_b32 s14, exec_lo
	v_cmpx_eq_u16_e32 0x80, v40
; %bb.3376:                             ;   in Loop: Header=BB2_2709 Depth=2
	s_xor_b32 s12, exec_lo, -1
; %bb.3377:                             ;   in Loop: Header=BB2_2709 Depth=2
	s_or_b32 exec_lo, exec_lo, s14
	s_delay_alu instid0(SALU_CYCLE_1)
	s_and_b32 s12, s12, exec_lo
                                        ; implicit-def: $vgpr40
	s_or_saveexec_b32 s13, s13
	v_bfrev_b32_e32 v119, 1
	s_xor_b32 exec_lo, exec_lo, s13
	s_cbranch_execnz .LBB2_3595
.LBB2_3378:                             ;   in Loop: Header=BB2_2709 Depth=2
	s_or_b32 exec_lo, exec_lo, s13
	s_and_saveexec_b32 s13, s12
.LBB2_3379:                             ;   in Loop: Header=BB2_2709 Depth=2
	v_dual_cndmask_b32 v15, v15, v87, s11 :: v_dual_cndmask_b32 v14, v14, v118, s11
	s_delay_alu instid0(VALU_DEP_1) | instskip(NEXT) | instid1(VALU_DEP_1)
	v_lshl_add_u32 v11, v15, 23, v11
	v_lshl_or_b32 v11, v14, 21, v11
	s_delay_alu instid0(VALU_DEP_1)
	v_cndmask_b32_e64 v119, v11, v86, s10
.LBB2_3380:                             ;   in Loop: Header=BB2_2709 Depth=2
	s_or_b32 exec_lo, exec_lo, s13
	s_delay_alu instid0(VALU_DEP_1) | instskip(NEXT) | instid1(VALU_DEP_1)
	v_dual_max_num_f32 v11, v119, v119 :: v_dual_max_num_f32 v14, v41, v41
	v_min_num_f32_e32 v41, v14, v11
.LBB2_3381:                             ;   in Loop: Header=BB2_2709 Depth=2
	s_delay_alu instid0(VALU_DEP_1) | instskip(SKIP_4) | instid1(VALU_DEP_3)
	v_and_b32_e32 v86, 0x7f800000, v41
	v_dual_mov_b32 v87, v37 :: v_dual_mov_b32 v15, v37
	v_and_b32_e32 v14, 0x7fffff, v41
	v_lshrrev_b32_e32 v11, 24, v41
                                        ; implicit-def: $vgpr118
	s_mov_b32 s10, exec_lo
	v_cmpx_ne_u64_e32 0x7f800000, v[86:87]
	s_xor_b32 s11, exec_lo, s10
	s_cbranch_execz .LBB2_3395
; %bb.3382:                             ;   in Loop: Header=BB2_2709 Depth=2
	v_and_b32_e32 v86, 0x7fffffff, v41
	v_mov_b32_e32 v87, v37
	v_and_b32_e32 v11, 0x80, v11
                                        ; implicit-def: $vgpr118
	s_mov_b32 s10, exec_lo
	s_delay_alu instid0(VALU_DEP_2)
	v_cmpx_gt_u64_e32 0x47600001, v[86:87]
	s_xor_b32 s12, exec_lo, s10
	s_cbranch_execz .LBB2_3392
; %bb.3383:                             ;   in Loop: Header=BB2_2709 Depth=2
	v_mov_b32_e32 v118, 0
	s_mov_b32 s13, exec_lo
	v_cmpx_ne_u32_e32 0, v41
	s_cbranch_execz .LBB2_3391
; %bb.3384:                             ;   in Loop: Header=BB2_2709 Depth=2
	v_bfe_u32 v118, v41, 23, 8
	v_or_b32_e32 v40, 0x800000, v14
	s_delay_alu instid0(VALU_DEP_2) | instskip(SKIP_1) | instid1(VALU_DEP_2)
	v_sub_nc_u32_e32 v86, 0x71, v118
	v_cmp_gt_u32_e32 vcc_lo, 0x72, v118
	v_cndmask_b32_e32 v86, 0, v86, vcc_lo
	v_cmp_eq_u32_e32 vcc_lo, 0, v118
	s_delay_alu instid0(VALU_DEP_2) | instskip(NEXT) | instid1(VALU_DEP_1)
	v_cndmask_b32_e64 v119, v86, 0x70, vcc_lo
	v_dual_cndmask_b32 v14, v40, v14, vcc_lo :: v_dual_add_nc_u32 v86, 21, v119
	v_add_nc_u32_e32 v41, 20, v119
	s_delay_alu instid0(VALU_DEP_2) | instskip(NEXT) | instid1(VALU_DEP_2)
	v_lshlrev_b64_e64 v[86:87], v86, -1
	v_lshlrev_b64_e64 v[40:41], v41, 1
	s_delay_alu instid0(VALU_DEP_2) | instskip(SKIP_1) | instid1(VALU_DEP_4)
	v_bfi_b32 v86, v86, 0, v14
	v_lshrrev_b64 v[14:15], v119, v[14:15]
	v_bfi_b32 v87, v87, 0, 0
	s_delay_alu instid0(VALU_DEP_1) | instskip(NEXT) | instid1(VALU_DEP_3)
	v_cmp_eq_u64_e64 s10, v[86:87], v[40:41]
	v_mov_b64_e32 v[86:87], v[14:15]
	s_and_saveexec_b32 s14, s10
; %bb.3385:                             ;   in Loop: Header=BB2_2709 Depth=2
	v_bfe_u32 v86, v14, 21, 1
	v_mov_b32_e32 v87, v37
	s_delay_alu instid0(VALU_DEP_1) | instskip(NEXT) | instid1(VALU_DEP_1)
	v_add_nc_u64_e32 v[86:87], v[14:15], v[86:87]
	v_add_nc_u64_e32 v[86:87], -1, v[86:87]
; %bb.3386:                             ;   in Loop: Header=BB2_2709 Depth=2
	s_or_b32 exec_lo, exec_lo, s14
	v_add_nc_u32_e32 v15, 0xffffff81, v118
	v_lshrrev_b32_e32 v87, 23, v14
	s_mov_b32 s10, exec_lo
	s_delay_alu instid0(VALU_DEP_2) | instskip(NEXT) | instid1(VALU_DEP_1)
	v_cndmask_b32_e64 v15, v15, 0xffffff82, vcc_lo
	v_add3_u32 v87, v119, v15, v87
	v_and_b32_e32 v15, 0x1fffff, v86
                                        ; implicit-def: $vgpr86
	s_delay_alu instid0(VALU_DEP_1) | instskip(SKIP_1) | instid1(VALU_DEP_2)
	v_dual_add_nc_u32 v118, 14, v87 :: v_dual_add_nc_u32 v14, v15, v14
	v_mov_b32_e32 v15, v37
	v_cmpx_ne_u32_e32 0, v118
	s_xor_b32 s10, exec_lo, s10
; %bb.3387:                             ;   in Loop: Header=BB2_2709 Depth=2
	s_delay_alu instid0(VALU_DEP_2) | instskip(SKIP_2) | instid1(VALU_DEP_2)
	v_cmp_lt_u64_e32 vcc_lo, 0xffffff, v[14:15]
	v_add_nc_u32_e32 v86, 15, v87
	v_cndmask_b32_e64 v87, 0, 1, vcc_lo
	v_cndmask_b32_e32 v86, v118, v86, vcc_lo
	s_delay_alu instid0(VALU_DEP_2)
	v_lshrrev_b64 v[14:15], v87, v[14:15]
; %bb.3388:                             ;   in Loop: Header=BB2_2709 Depth=2
	s_and_not1_saveexec_b32 s10, s10
; %bb.3389:                             ;   in Loop: Header=BB2_2709 Depth=2
	s_delay_alu instid0(VALU_DEP_1)
	v_bfe_u32 v86, v14, 23, 1
; %bb.3390:                             ;   in Loop: Header=BB2_2709 Depth=2
	s_or_b32 exec_lo, exec_lo, s10
	s_delay_alu instid0(VALU_DEP_2) | instskip(NEXT) | instid1(VALU_DEP_2)
	v_lshrrev_b64 v[14:15], 21, v[14:15]
	v_cmp_gt_i32_e32 vcc_lo, 32, v86
	v_min_i32_e32 v87, 31, v86
	v_cmp_eq_u32_e64 s10, 0, v86
	s_delay_alu instid0(VALU_DEP_4) | instskip(NEXT) | instid1(VALU_DEP_3)
	v_cndmask_b32_e32 v15, 0, v15, vcc_lo
	v_dual_cndmask_b32 v14, 3, v14 :: v_dual_lshlrev_b32 v87, 2, v87
	s_delay_alu instid0(VALU_DEP_1) | instskip(NEXT) | instid1(VALU_DEP_2)
	v_and_b32_e32 v87, 0xfc, v87
	v_cmp_eq_u64_e32 vcc_lo, 0, v[14:15]
	s_delay_alu instid0(VALU_DEP_2)
	v_and_or_b32 v14, v14, 3, v87
	s_and_b32 s10, s10, vcc_lo
	s_delay_alu instid0(VALU_DEP_1) | instid1(SALU_CYCLE_1)
	v_cndmask_b32_e64 v14, v14, 0, s10
	s_delay_alu instid0(VALU_DEP_1)
	v_or_b32_e32 v118, v14, v11
.LBB2_3391:                             ;   in Loop: Header=BB2_2709 Depth=2
	s_or_b32 exec_lo, exec_lo, s13
                                        ; implicit-def: $vgpr11
.LBB2_3392:                             ;   in Loop: Header=BB2_2709 Depth=2
	s_and_not1_saveexec_b32 s10, s12
; %bb.3393:                             ;   in Loop: Header=BB2_2709 Depth=2
	v_or_b32_e32 v118, 0x7b, v11
; %bb.3394:                             ;   in Loop: Header=BB2_2709 Depth=2
	s_or_b32 exec_lo, exec_lo, s10
                                        ; implicit-def: $vgpr41
                                        ; implicit-def: $vgpr14_vgpr15
                                        ; implicit-def: $vgpr11
.LBB2_3395:                             ;   in Loop: Header=BB2_2709 Depth=2
	s_and_not1_saveexec_b32 s10, s11
	s_cbranch_execz .LBB2_3401
; %bb.3396:                             ;   in Loop: Header=BB2_2709 Depth=2
	s_mov_b32 s11, exec_lo
                                        ; implicit-def: $vgpr118
	v_cmpx_ne_u64_e32 0, v[14:15]
	s_xor_b32 s11, exec_lo, s11
; %bb.3397:                             ;   in Loop: Header=BB2_2709 Depth=2
	v_or_b32_e32 v118, 0x7f, v11
                                        ; implicit-def: $vgpr41
; %bb.3398:                             ;   in Loop: Header=BB2_2709 Depth=2
	s_and_not1_saveexec_b32 s11, s11
; %bb.3399:                             ;   in Loop: Header=BB2_2709 Depth=2
	v_cmp_lt_i32_e32 vcc_lo, -1, v41
	v_cndmask_b32_e32 v118, 0xfc, v46, vcc_lo
; %bb.3400:                             ;   in Loop: Header=BB2_2709 Depth=2
	s_or_b32 exec_lo, exec_lo, s11
.LBB2_3401:                             ;   in Loop: Header=BB2_2709 Depth=2
	s_delay_alu instid0(SALU_CYCLE_1) | instskip(SKIP_4) | instid1(VALU_DEP_3)
	s_or_b32 exec_lo, exec_lo, s10
	v_lshrrev_b16 v14, 8, v10
	v_cmp_lt_i16_e32 vcc_lo, -1, v10
	v_lshrrev_b16 v86, 8, v36
	s_mov_b32 s13, -1
	v_and_b32_e32 v87, 0xffff, v14
	v_lshlrev_b32_e32 v41, 24, v14
	s_delay_alu instid0(VALU_DEP_3) | instskip(SKIP_1) | instid1(VALU_DEP_4)
	v_and_b32_e32 v58, 0xffff, v86
	v_cmp_ne_u16_e64 s12, 0, v86
	v_and_b32_e32 v11, 3, v87
	v_and_b32_e32 v62, 0x7c, v87
	v_bfe_u32 v10, v87, 2, 5
	s_delay_alu instid0(VALU_DEP_3) | instskip(NEXT) | instid1(VALU_DEP_3)
	v_clz_i32_u32_e32 v15, v11
	v_cmp_eq_u32_e64 s10, 0x7c, v62
	s_delay_alu instid0(VALU_DEP_3) | instskip(NEXT) | instid1(VALU_DEP_3)
	v_cmp_eq_u32_e64 s11, 0, v10
	v_min_u32_e32 v40, 32, v15
	v_mov_b32_e32 v15, v37
	v_cndmask_b32_e32 v119, 0xff800000, v45, vcc_lo
	v_cmp_eq_u32_e32 vcc_lo, 0, v11
	s_delay_alu instid0(VALU_DEP_4) | instskip(NEXT) | instid1(VALU_DEP_3)
	v_subrev_nc_u32_e32 v59, 29, v40
	v_dual_cndmask_b32 v119, 0x7f800001, v119 :: v_dual_sub_nc_u32 v40, 30, v40
	s_and_b32 vcc_lo, exec_lo, s43
	s_delay_alu instid0(VALU_DEP_2) | instskip(SKIP_1) | instid1(VALU_DEP_2)
	v_lshlrev_b64_e32 v[60:61], v59, v[14:15]
	v_and_or_b32 v15, v41, s27, 0x38000000
                                        ; implicit-def: $vgpr59
	v_and_b32_e32 v41, 3, v60
	s_cbranch_vccz .LBB2_3419
; %bb.3402:                             ;   in Loop: Header=BB2_2709 Depth=2
	v_mov_b32_e32 v87, 0
	s_and_saveexec_b32 s13, s12
	s_cbranch_execz .LBB2_3412
; %bb.3403:                             ;   in Loop: Header=BB2_2709 Depth=2
	v_bfrev_b32_e32 v87, 1
	s_mov_b32 s14, exec_lo
	v_cmpx_ne_u16_e32 0x80, v86
	s_cbranch_execz .LBB2_3411
; %bb.3404:                             ;   in Loop: Header=BB2_2709 Depth=2
	v_and_b32_e32 v87, 0x7c, v58
	v_and_b32_e32 v59, 3, v58
	s_delay_alu instid0(VALU_DEP_2) | instskip(SKIP_1) | instid1(SALU_CYCLE_1)
	v_cmp_ne_u32_e32 vcc_lo, 0x7c, v87
                                        ; implicit-def: $vgpr87
	s_and_saveexec_b32 s44, vcc_lo
	s_xor_b32 s44, exec_lo, s44
	s_cbranch_execz .LBB2_3408
; %bb.3405:                             ;   in Loop: Header=BB2_2709 Depth=2
	v_bfe_u32 v87, v58, 2, 5
	s_mov_b32 s45, exec_lo
	s_delay_alu instid0(VALU_DEP_1)
	v_cmpx_eq_u32_e32 0, v87
; %bb.3406:                             ;   in Loop: Header=BB2_2709 Depth=2
	v_clz_i32_u32_e32 v87, v59
	s_delay_alu instid0(VALU_DEP_1) | instskip(SKIP_1) | instid1(VALU_DEP_2)
	v_min_u32_e32 v59, 32, v87
	v_mov_b32_e32 v87, v37
	v_subrev_nc_u32_e32 v60, 29, v59
	s_delay_alu instid0(VALU_DEP_1) | instskip(NEXT) | instid1(VALU_DEP_1)
	v_lshlrev_b64_e32 v[60:61], v60, v[86:87]
	v_dual_sub_nc_u32 v87, 30, v59 :: v_dual_bitop2_b32 v59, 3, v60 bitop3:0x40
; %bb.3407:                             ;   in Loop: Header=BB2_2709 Depth=2
	s_or_b32 exec_lo, exec_lo, s45
	v_lshlrev_b32_e32 v60, 16, v36
	s_delay_alu instid0(VALU_DEP_1) | instskip(NEXT) | instid1(VALU_DEP_1)
	v_and_b32_e32 v60, 0x80000000, v60
	v_lshl_add_u32 v87, v87, 23, v60
	s_delay_alu instid0(VALU_DEP_1) | instskip(NEXT) | instid1(VALU_DEP_1)
	v_lshl_or_b32 v87, v59, 21, v87
                                        ; implicit-def: $vgpr59
	v_add_nc_u32_e32 v87, 0x38000000, v87
.LBB2_3408:                             ;   in Loop: Header=BB2_2709 Depth=2
	s_and_not1_saveexec_b32 s44, s44
; %bb.3409:                             ;   in Loop: Header=BB2_2709 Depth=2
	v_cmp_lt_i16_e32 vcc_lo, -1, v36
	v_cndmask_b32_e32 v87, 0xff800000, v45, vcc_lo
	v_cmp_eq_u32_e32 vcc_lo, 0, v59
	s_delay_alu instid0(VALU_DEP_2)
	v_cndmask_b32_e32 v87, 0x7f800001, v87, vcc_lo
; %bb.3410:                             ;   in Loop: Header=BB2_2709 Depth=2
	s_or_b32 exec_lo, exec_lo, s44
.LBB2_3411:                             ;   in Loop: Header=BB2_2709 Depth=2
	s_delay_alu instid0(SALU_CYCLE_1)
	s_or_b32 exec_lo, exec_lo, s14
.LBB2_3412:                             ;   in Loop: Header=BB2_2709 Depth=2
	s_delay_alu instid0(SALU_CYCLE_1)
	s_or_b32 exec_lo, exec_lo, s13
	s_mov_b32 s13, 0
	s_mov_b32 s14, exec_lo
	v_cmpx_lt_i16_e32 0x7f, v14
	s_xor_b32 s14, exec_lo, s14
	s_cbranch_execz .LBB2_3596
; %bb.3413:                             ;   in Loop: Header=BB2_2709 Depth=2
	s_mov_b32 s13, -1
	s_mov_b32 s44, exec_lo
	v_cmpx_eq_u16_e32 0x80, v14
; %bb.3414:                             ;   in Loop: Header=BB2_2709 Depth=2
	s_xor_b32 s13, exec_lo, -1
; %bb.3415:                             ;   in Loop: Header=BB2_2709 Depth=2
	s_or_b32 exec_lo, exec_lo, s44
	s_delay_alu instid0(SALU_CYCLE_1)
	s_and_b32 s13, s13, exec_lo
	s_or_saveexec_b32 s14, s14
	v_bfrev_b32_e32 v59, 1
	s_xor_b32 exec_lo, exec_lo, s14
	s_cbranch_execnz .LBB2_3597
.LBB2_3416:                             ;   in Loop: Header=BB2_2709 Depth=2
	s_or_b32 exec_lo, exec_lo, s14
	s_and_saveexec_b32 s14, s13
.LBB2_3417:                             ;   in Loop: Header=BB2_2709 Depth=2
	v_dual_cndmask_b32 v59, v10, v40, s11 :: v_dual_cndmask_b32 v60, v11, v41, s11
	s_delay_alu instid0(VALU_DEP_1) | instskip(NEXT) | instid1(VALU_DEP_1)
	v_lshl_add_u32 v59, v59, 23, v15
	v_lshl_or_b32 v59, v60, 21, v59
	s_delay_alu instid0(VALU_DEP_1)
	v_cndmask_b32_e64 v59, v59, v119, s10
.LBB2_3418:                             ;   in Loop: Header=BB2_2709 Depth=2
	s_or_b32 exec_lo, exec_lo, s14
	s_delay_alu instid0(VALU_DEP_1) | instskip(SKIP_2) | instid1(VALU_DEP_1)
	v_max_num_f32_e32 v59, v59, v59
	v_max_num_f32_e32 v87, v87, v87
	s_mov_b32 s13, 0
	v_max_num_f32_e32 v59, v87, v59
.LBB2_3419:                             ;   in Loop: Header=BB2_2709 Depth=2
	s_and_b32 vcc_lo, exec_lo, s13
	s_cbranch_vccz .LBB2_3437
; %bb.3420:                             ;   in Loop: Header=BB2_2709 Depth=2
	v_mov_b32_e32 v87, 0
	s_and_saveexec_b32 s13, s12
	s_cbranch_execz .LBB2_3430
; %bb.3421:                             ;   in Loop: Header=BB2_2709 Depth=2
	v_bfrev_b32_e32 v87, 1
	s_mov_b32 s12, exec_lo
	v_cmpx_ne_u16_e32 0x80, v86
	s_cbranch_execz .LBB2_3429
; %bb.3422:                             ;   in Loop: Header=BB2_2709 Depth=2
	v_and_b32_e32 v87, 0x7c, v58
	v_and_b32_e32 v59, 3, v58
	s_delay_alu instid0(VALU_DEP_2) | instskip(SKIP_1) | instid1(SALU_CYCLE_1)
	v_cmp_ne_u32_e32 vcc_lo, 0x7c, v87
                                        ; implicit-def: $vgpr87
	s_and_saveexec_b32 s14, vcc_lo
	s_xor_b32 s14, exec_lo, s14
	s_cbranch_execz .LBB2_3426
; %bb.3423:                             ;   in Loop: Header=BB2_2709 Depth=2
	v_bfe_u32 v87, v58, 2, 5
	s_mov_b32 s44, exec_lo
	s_delay_alu instid0(VALU_DEP_1)
	v_cmpx_eq_u32_e32 0, v87
	s_cbranch_execz .LBB2_3425
; %bb.3424:                             ;   in Loop: Header=BB2_2709 Depth=2
	v_clz_i32_u32_e32 v87, v59
	s_delay_alu instid0(VALU_DEP_1) | instskip(SKIP_1) | instid1(VALU_DEP_2)
	v_min_u32_e32 v58, 32, v87
	v_mov_b32_e32 v87, v37
	v_subrev_nc_u32_e32 v59, 29, v58
	s_delay_alu instid0(VALU_DEP_1) | instskip(SKIP_1) | instid1(VALU_DEP_2)
	v_lshlrev_b64_e32 v[86:87], v59, v[86:87]
	v_sub_nc_u32_e32 v87, 30, v58
	v_and_b32_e32 v59, 3, v86
.LBB2_3425:                             ;   in Loop: Header=BB2_2709 Depth=2
	s_or_b32 exec_lo, exec_lo, s44
	v_lshlrev_b32_e32 v36, 16, v36
	s_delay_alu instid0(VALU_DEP_1) | instskip(NEXT) | instid1(VALU_DEP_1)
	v_and_b32_e32 v36, 0x80000000, v36
	v_lshl_add_u32 v36, v87, 23, v36
	s_delay_alu instid0(VALU_DEP_1) | instskip(NEXT) | instid1(VALU_DEP_1)
	v_lshl_or_b32 v36, v59, 21, v36
                                        ; implicit-def: $vgpr59
	v_add_nc_u32_e32 v87, 0x38000000, v36
.LBB2_3426:                             ;   in Loop: Header=BB2_2709 Depth=2
	s_and_not1_saveexec_b32 s14, s14
; %bb.3427:                             ;   in Loop: Header=BB2_2709 Depth=2
	v_cmp_lt_i16_e32 vcc_lo, -1, v36
	v_cndmask_b32_e32 v36, 0xff800000, v45, vcc_lo
	v_cmp_eq_u32_e32 vcc_lo, 0, v59
	s_delay_alu instid0(VALU_DEP_2)
	v_cndmask_b32_e32 v87, 0x7f800001, v36, vcc_lo
; %bb.3428:                             ;   in Loop: Header=BB2_2709 Depth=2
	s_or_b32 exec_lo, exec_lo, s14
.LBB2_3429:                             ;   in Loop: Header=BB2_2709 Depth=2
	s_delay_alu instid0(SALU_CYCLE_1)
	s_or_b32 exec_lo, exec_lo, s12
.LBB2_3430:                             ;   in Loop: Header=BB2_2709 Depth=2
	s_delay_alu instid0(SALU_CYCLE_1)
	s_or_b32 exec_lo, exec_lo, s13
	s_mov_b32 s12, 0
	s_mov_b32 s13, exec_lo
	v_cmpx_lt_i16_e32 0x7f, v14
	s_xor_b32 s13, exec_lo, s13
	s_cbranch_execz .LBB2_3598
; %bb.3431:                             ;   in Loop: Header=BB2_2709 Depth=2
	s_mov_b32 s12, -1
	s_mov_b32 s14, exec_lo
	v_cmpx_eq_u16_e32 0x80, v14
; %bb.3432:                             ;   in Loop: Header=BB2_2709 Depth=2
	s_xor_b32 s12, exec_lo, -1
; %bb.3433:                             ;   in Loop: Header=BB2_2709 Depth=2
	s_or_b32 exec_lo, exec_lo, s14
	s_delay_alu instid0(SALU_CYCLE_1)
	s_and_b32 s12, s12, exec_lo
                                        ; implicit-def: $vgpr14
	s_or_saveexec_b32 s13, s13
	v_bfrev_b32_e32 v36, 1
	s_xor_b32 exec_lo, exec_lo, s13
	s_cbranch_execnz .LBB2_3599
.LBB2_3434:                             ;   in Loop: Header=BB2_2709 Depth=2
	s_or_b32 exec_lo, exec_lo, s13
	s_and_saveexec_b32 s13, s12
.LBB2_3435:                             ;   in Loop: Header=BB2_2709 Depth=2
	v_dual_cndmask_b32 v10, v10, v40, s11 :: v_dual_cndmask_b32 v11, v11, v41, s11
	s_delay_alu instid0(VALU_DEP_1) | instskip(NEXT) | instid1(VALU_DEP_1)
	v_lshl_add_u32 v10, v10, 23, v15
	v_lshl_or_b32 v10, v11, 21, v10
	s_delay_alu instid0(VALU_DEP_1)
	v_cndmask_b32_e64 v36, v10, v119, s10
.LBB2_3436:                             ;   in Loop: Header=BB2_2709 Depth=2
	s_or_b32 exec_lo, exec_lo, s13
	s_delay_alu instid0(VALU_DEP_1) | instskip(NEXT) | instid1(VALU_DEP_1)
	v_dual_max_num_f32 v10, v36, v36 :: v_dual_max_num_f32 v11, v87, v87
	v_min_num_f32_e32 v59, v11, v10
.LBB2_3437:                             ;   in Loop: Header=BB2_2709 Depth=2
	s_delay_alu instid0(VALU_DEP_1) | instskip(SKIP_2) | instid1(VALU_DEP_2)
	v_and_b32_e32 v10, 0x7f800000, v59
	v_mov_b32_e32 v11, v37
	v_and_b32_e32 v36, 0x7fffff, v59
                                        ; implicit-def: $vgpr86
	v_cmp_ne_u64_e32 vcc_lo, 0x7f800000, v[10:11]
	v_lshrrev_b32_e32 v10, 24, v59
	s_and_saveexec_b32 s10, vcc_lo
	s_delay_alu instid0(SALU_CYCLE_1)
	s_xor_b32 s11, exec_lo, s10
	s_cbranch_execz .LBB2_3451
; %bb.3438:                             ;   in Loop: Header=BB2_2709 Depth=2
	v_and_b32_e32 v14, 0x7fffffff, v59
	v_mov_b32_e32 v15, v37
	v_and_b32_e32 v87, 0x80, v10
                                        ; implicit-def: $vgpr86
	s_mov_b32 s10, exec_lo
	s_delay_alu instid0(VALU_DEP_2)
	v_cmpx_gt_u64_e32 0x47600001, v[14:15]
	s_xor_b32 s12, exec_lo, s10
	s_cbranch_execz .LBB2_3448
; %bb.3439:                             ;   in Loop: Header=BB2_2709 Depth=2
	v_mov_b32_e32 v86, 0
	s_mov_b32 s13, exec_lo
	v_cmpx_ne_u32_e32 0, v59
	s_cbranch_execz .LBB2_3447
; %bb.3440:                             ;   in Loop: Header=BB2_2709 Depth=2
	v_bfe_u32 v86, v59, 23, 8
	v_or_b32_e32 v14, 0x800000, v36
	s_delay_alu instid0(VALU_DEP_2) | instskip(SKIP_1) | instid1(VALU_DEP_2)
	v_sub_nc_u32_e32 v10, 0x71, v86
	v_cmp_gt_u32_e32 vcc_lo, 0x72, v86
	v_cndmask_b32_e32 v10, 0, v10, vcc_lo
	v_cmp_eq_u32_e32 vcc_lo, 0, v86
	s_delay_alu instid0(VALU_DEP_2) | instskip(NEXT) | instid1(VALU_DEP_1)
	v_cndmask_b32_e64 v119, v10, 0x70, vcc_lo
	v_dual_cndmask_b32 v36, v14, v36, vcc_lo :: v_dual_add_nc_u32 v10, 21, v119
	v_add_nc_u32_e32 v15, 20, v119
	s_delay_alu instid0(VALU_DEP_2) | instskip(NEXT) | instid1(VALU_DEP_2)
	v_lshlrev_b64_e64 v[10:11], v10, -1
	v_lshlrev_b64_e64 v[14:15], v15, 1
	s_delay_alu instid0(VALU_DEP_2) | instskip(NEXT) | instid1(VALU_DEP_3)
	v_bfi_b32 v41, v11, 0, 0
	v_bfi_b32 v40, v10, 0, v36
	v_lshrrev_b64 v[10:11], v119, v[36:37]
	s_delay_alu instid0(VALU_DEP_2) | instskip(NEXT) | instid1(VALU_DEP_2)
	v_cmp_eq_u64_e64 s10, v[40:41], v[14:15]
	v_mov_b64_e32 v[14:15], v[10:11]
	s_and_saveexec_b32 s14, s10
; %bb.3441:                             ;   in Loop: Header=BB2_2709 Depth=2
	v_bfe_u32 v36, v10, 21, 1
	s_delay_alu instid0(VALU_DEP_1) | instskip(NEXT) | instid1(VALU_DEP_1)
	v_add_nc_u64_e32 v[14:15], v[10:11], v[36:37]
	v_add_nc_u64_e32 v[14:15], -1, v[14:15]
; %bb.3442:                             ;   in Loop: Header=BB2_2709 Depth=2
	s_or_b32 exec_lo, exec_lo, s14
	v_add_nc_u32_e32 v11, 0xffffff81, v86
	v_lshrrev_b32_e32 v15, 23, v10
	s_mov_b32 s10, exec_lo
	s_delay_alu instid0(VALU_DEP_2) | instskip(NEXT) | instid1(VALU_DEP_1)
	v_cndmask_b32_e64 v11, v11, 0xffffff82, vcc_lo
	v_add3_u32 v15, v119, v11, v15
	v_and_b32_e32 v11, 0x1fffff, v14
                                        ; implicit-def: $vgpr14
	s_delay_alu instid0(VALU_DEP_1) | instskip(NEXT) | instid1(VALU_DEP_1)
	v_dual_add_nc_u32 v86, 14, v15 :: v_dual_add_nc_u32 v36, v11, v10
                                        ; implicit-def: $vgpr10_vgpr11
	v_cmpx_ne_u32_e32 0, v86
	s_xor_b32 s10, exec_lo, s10
; %bb.3443:                             ;   in Loop: Header=BB2_2709 Depth=2
	s_delay_alu instid0(VALU_DEP_2) | instskip(SKIP_1) | instid1(VALU_DEP_1)
	v_cmp_lt_u64_e32 vcc_lo, 0xffffff, v[36:37]
	v_add_nc_u32_e32 v10, 15, v15
	v_cndmask_b32_e32 v14, v86, v10, vcc_lo
	v_cndmask_b32_e64 v10, 0, 1, vcc_lo
	s_delay_alu instid0(VALU_DEP_1)
	v_lshrrev_b64 v[10:11], v10, v[36:37]
; %bb.3444:                             ;   in Loop: Header=BB2_2709 Depth=2
	s_and_not1_saveexec_b32 s10, s10
; %bb.3445:                             ;   in Loop: Header=BB2_2709 Depth=2
	v_mov_b64_e32 v[10:11], v[36:37]
	v_bfe_u32 v14, v36, 23, 1
; %bb.3446:                             ;   in Loop: Header=BB2_2709 Depth=2
	s_or_b32 exec_lo, exec_lo, s10
	s_delay_alu instid0(VALU_DEP_2) | instskip(NEXT) | instid1(VALU_DEP_2)
	v_lshrrev_b64 v[10:11], 21, v[10:11]
	v_cmp_gt_i32_e32 vcc_lo, 32, v14
	v_min_i32_e32 v15, 31, v14
	v_cmp_eq_u32_e64 s10, 0, v14
	s_delay_alu instid0(VALU_DEP_4) | instskip(NEXT) | instid1(VALU_DEP_3)
	v_cndmask_b32_e32 v11, 0, v11, vcc_lo
	v_dual_cndmask_b32 v10, 3, v10 :: v_dual_lshlrev_b32 v15, 2, v15
	s_delay_alu instid0(VALU_DEP_1) | instskip(NEXT) | instid1(VALU_DEP_2)
	v_and_b32_e32 v15, 0xfc, v15
	v_cmp_eq_u64_e32 vcc_lo, 0, v[10:11]
	s_delay_alu instid0(VALU_DEP_2)
	v_and_or_b32 v10, v10, 3, v15
	s_and_b32 s10, s10, vcc_lo
	s_delay_alu instid0(VALU_DEP_1) | instid1(SALU_CYCLE_1)
	v_cndmask_b32_e64 v10, v10, 0, s10
	s_delay_alu instid0(VALU_DEP_1)
	v_or_b32_e32 v86, v10, v87
.LBB2_3447:                             ;   in Loop: Header=BB2_2709 Depth=2
	s_or_b32 exec_lo, exec_lo, s13
                                        ; implicit-def: $vgpr87
.LBB2_3448:                             ;   in Loop: Header=BB2_2709 Depth=2
	s_and_not1_saveexec_b32 s10, s12
; %bb.3449:                             ;   in Loop: Header=BB2_2709 Depth=2
	v_or_b32_e32 v86, 0x7b, v87
; %bb.3450:                             ;   in Loop: Header=BB2_2709 Depth=2
	s_or_b32 exec_lo, exec_lo, s10
                                        ; implicit-def: $vgpr59
                                        ; implicit-def: $vgpr10
.LBB2_3451:                             ;   in Loop: Header=BB2_2709 Depth=2
	s_and_not1_saveexec_b32 s10, s11
	s_cbranch_execz .LBB2_3457
; %bb.3452:                             ;   in Loop: Header=BB2_2709 Depth=2
	s_mov_b32 s11, exec_lo
                                        ; implicit-def: $vgpr86
	v_cmpx_ne_u64_e32 0, v[36:37]
	s_xor_b32 s11, exec_lo, s11
; %bb.3453:                             ;   in Loop: Header=BB2_2709 Depth=2
	v_or_b32_e32 v86, 0x7f, v10
                                        ; implicit-def: $vgpr59
; %bb.3454:                             ;   in Loop: Header=BB2_2709 Depth=2
	s_and_not1_saveexec_b32 s11, s11
; %bb.3455:                             ;   in Loop: Header=BB2_2709 Depth=2
	v_cmp_lt_i32_e32 vcc_lo, -1, v59
	v_cndmask_b32_e32 v86, 0xfc, v46, vcc_lo
; %bb.3456:                             ;   in Loop: Header=BB2_2709 Depth=2
	s_or_b32 exec_lo, exec_lo, s11
.LBB2_3457:                             ;   in Loop: Header=BB2_2709 Depth=2
	s_delay_alu instid0(SALU_CYCLE_1) | instskip(SKIP_4) | instid1(VALU_DEP_3)
	s_or_b32 exec_lo, exec_lo, s10
	v_bfe_u32 v11, v17, 16, 2
	v_dual_lshrrev_b32 v36, 16, v17 :: v_dual_lshlrev_b32 v119, 8, v17
	v_and_b32_e32 v15, 0x7c0000, v17
	s_mov_b32 s13, -1
	v_clz_i32_u32_e32 v14, v11
	s_delay_alu instid0(VALU_DEP_3) | instskip(NEXT) | instid1(VALU_DEP_3)
	v_bfe_i32 v40, v36, 0, 8
	v_cmp_eq_u32_e64 s10, 0x7c0000, v15
	v_and_or_b32 v15, v119, s27, 0x38000000
	s_delay_alu instid0(VALU_DEP_4) | instskip(SKIP_3) | instid1(VALU_DEP_4)
	v_min_u32_e32 v87, 32, v14
	v_lshrrev_b32_e32 v10, 16, v13
	v_cmp_lt_i16_e32 vcc_lo, -1, v40
	v_bfe_u32 v14, v17, 18, 5
	v_subrev_nc_u32_e32 v58, 29, v87
	v_sub_nc_u32_e32 v87, 30, v87
	v_and_b32_e32 v41, 0xff, v10
	s_delay_alu instid0(VALU_DEP_4) | instskip(NEXT) | instid1(VALU_DEP_4)
	v_cmp_eq_u32_e64 s11, 0, v14
	v_lshlrev_b64_e32 v[58:59], v58, v[36:37]
	v_cndmask_b32_e32 v36, 0xff800000, v45, vcc_lo
	v_cmp_eq_u32_e32 vcc_lo, 0, v11
	v_cmp_ne_u16_e64 s12, 0, v41
	s_delay_alu instid0(VALU_DEP_3)
	v_cndmask_b32_e32 v36, 0x7f800001, v36, vcc_lo
	v_and_b32_e32 v119, 3, v58
	s_and_b32 vcc_lo, exec_lo, s43
                                        ; implicit-def: $vgpr58
	s_cbranch_vccz .LBB2_3475
; %bb.3458:                             ;   in Loop: Header=BB2_2709 Depth=2
	v_mov_b32_e32 v58, 0
	s_and_saveexec_b32 s13, s12
	s_cbranch_execz .LBB2_3468
; %bb.3459:                             ;   in Loop: Header=BB2_2709 Depth=2
	v_bfrev_b32_e32 v58, 1
	s_mov_b32 s14, exec_lo
	v_cmpx_ne_u16_e32 0x80, v41
	s_cbranch_execz .LBB2_3467
; %bb.3460:                             ;   in Loop: Header=BB2_2709 Depth=2
	v_and_b32_e32 v58, 0x7c0000, v13
	v_bfe_u32 v59, v13, 16, 2
	s_delay_alu instid0(VALU_DEP_2) | instskip(SKIP_1) | instid1(SALU_CYCLE_1)
	v_cmp_ne_u32_e32 vcc_lo, 0x7c0000, v58
                                        ; implicit-def: $vgpr58
	s_and_saveexec_b32 s44, vcc_lo
	s_xor_b32 s44, exec_lo, s44
	s_cbranch_execz .LBB2_3464
; %bb.3461:                             ;   in Loop: Header=BB2_2709 Depth=2
	v_bfe_u32 v58, v13, 18, 5
	s_mov_b32 s45, exec_lo
	s_delay_alu instid0(VALU_DEP_1)
	v_cmpx_eq_u32_e32 0, v58
; %bb.3462:                             ;   in Loop: Header=BB2_2709 Depth=2
	v_clz_i32_u32_e32 v58, v59
	s_delay_alu instid0(VALU_DEP_1) | instskip(NEXT) | instid1(VALU_DEP_1)
	v_min_u32_e32 v58, 32, v58
	v_subrev_nc_u32_e32 v59, 29, v58
	s_delay_alu instid0(VALU_DEP_1) | instskip(NEXT) | instid1(VALU_DEP_1)
	v_lshlrev_b64_e32 v[60:61], v59, v[10:11]
	v_dual_sub_nc_u32 v58, 30, v58 :: v_dual_bitop2_b32 v59, 3, v60 bitop3:0x40
; %bb.3463:                             ;   in Loop: Header=BB2_2709 Depth=2
	s_or_b32 exec_lo, exec_lo, s45
	v_lshlrev_b32_e32 v60, 24, v10
	s_delay_alu instid0(VALU_DEP_1) | instskip(NEXT) | instid1(VALU_DEP_1)
	v_and_b32_e32 v60, 0x80000000, v60
	v_lshl_add_u32 v58, v58, 23, v60
	s_delay_alu instid0(VALU_DEP_1) | instskip(NEXT) | instid1(VALU_DEP_1)
	v_lshl_or_b32 v58, v59, 21, v58
                                        ; implicit-def: $vgpr59
	v_add_nc_u32_e32 v58, 0x38000000, v58
.LBB2_3464:                             ;   in Loop: Header=BB2_2709 Depth=2
	s_and_not1_saveexec_b32 s44, s44
; %bb.3465:                             ;   in Loop: Header=BB2_2709 Depth=2
	v_bfe_i32 v58, v10, 0, 8
	s_delay_alu instid0(VALU_DEP_1) | instskip(SKIP_2) | instid1(VALU_DEP_2)
	v_cmp_lt_i16_e32 vcc_lo, -1, v58
	v_cndmask_b32_e32 v58, 0xff800000, v45, vcc_lo
	v_cmp_eq_u32_e32 vcc_lo, 0, v59
	v_cndmask_b32_e32 v58, 0x7f800001, v58, vcc_lo
; %bb.3466:                             ;   in Loop: Header=BB2_2709 Depth=2
	s_or_b32 exec_lo, exec_lo, s44
.LBB2_3467:                             ;   in Loop: Header=BB2_2709 Depth=2
	s_delay_alu instid0(SALU_CYCLE_1)
	s_or_b32 exec_lo, exec_lo, s14
.LBB2_3468:                             ;   in Loop: Header=BB2_2709 Depth=2
	s_delay_alu instid0(SALU_CYCLE_1) | instskip(SKIP_3) | instid1(VALU_DEP_1)
	s_or_b32 exec_lo, exec_lo, s13
	v_and_b32_e32 v60, 0xff, v40
	s_mov_b32 s13, 0
	s_mov_b32 s14, exec_lo
	v_cmpx_lt_i16_e32 0x7f, v60
	s_xor_b32 s14, exec_lo, s14
	s_cbranch_execz .LBB2_3600
; %bb.3469:                             ;   in Loop: Header=BB2_2709 Depth=2
	s_mov_b32 s13, -1
	s_mov_b32 s44, exec_lo
	v_cmpx_eq_u16_e32 0x80, v60
; %bb.3470:                             ;   in Loop: Header=BB2_2709 Depth=2
	s_xor_b32 s13, exec_lo, -1
; %bb.3471:                             ;   in Loop: Header=BB2_2709 Depth=2
	s_or_b32 exec_lo, exec_lo, s44
	s_delay_alu instid0(SALU_CYCLE_1)
	s_and_b32 s13, s13, exec_lo
                                        ; implicit-def: $vgpr60
	s_or_saveexec_b32 s14, s14
	v_bfrev_b32_e32 v59, 1
	s_xor_b32 exec_lo, exec_lo, s14
	s_cbranch_execnz .LBB2_3601
.LBB2_3472:                             ;   in Loop: Header=BB2_2709 Depth=2
	s_or_b32 exec_lo, exec_lo, s14
	s_and_saveexec_b32 s14, s13
.LBB2_3473:                             ;   in Loop: Header=BB2_2709 Depth=2
	v_cndmask_b32_e64 v59, v14, v87, s11
	v_cndmask_b32_e64 v60, v11, v119, s11
	s_delay_alu instid0(VALU_DEP_2) | instskip(NEXT) | instid1(VALU_DEP_1)
	v_lshl_add_u32 v59, v59, 23, v15
	v_lshl_or_b32 v59, v60, 21, v59
	s_delay_alu instid0(VALU_DEP_1)
	v_cndmask_b32_e64 v59, v59, v36, s10
.LBB2_3474:                             ;   in Loop: Header=BB2_2709 Depth=2
	s_or_b32 exec_lo, exec_lo, s14
	s_delay_alu instid0(VALU_DEP_1) | instskip(SKIP_1) | instid1(VALU_DEP_1)
	v_dual_max_num_f32 v59, v59, v59 :: v_dual_max_num_f32 v58, v58, v58
	s_mov_b32 s13, 0
	v_max_num_f32_e32 v58, v58, v59
.LBB2_3475:                             ;   in Loop: Header=BB2_2709 Depth=2
	s_and_b32 vcc_lo, exec_lo, s13
	s_cbranch_vccz .LBB2_3493
; %bb.3476:                             ;   in Loop: Header=BB2_2709 Depth=2
	v_mov_b32_e32 v58, 0
	s_and_saveexec_b32 s13, s12
	s_cbranch_execz .LBB2_3486
; %bb.3477:                             ;   in Loop: Header=BB2_2709 Depth=2
	v_bfrev_b32_e32 v58, 1
	s_mov_b32 s12, exec_lo
	v_cmpx_ne_u16_e32 0x80, v41
	s_cbranch_execz .LBB2_3485
; %bb.3478:                             ;   in Loop: Header=BB2_2709 Depth=2
	v_and_b32_e32 v58, 0x7c0000, v13
	v_bfe_u32 v41, v13, 16, 2
	s_delay_alu instid0(VALU_DEP_2) | instskip(SKIP_1) | instid1(SALU_CYCLE_1)
	v_cmp_ne_u32_e32 vcc_lo, 0x7c0000, v58
                                        ; implicit-def: $vgpr58
	s_and_saveexec_b32 s14, vcc_lo
	s_xor_b32 s14, exec_lo, s14
	s_cbranch_execz .LBB2_3482
; %bb.3479:                             ;   in Loop: Header=BB2_2709 Depth=2
	v_bfe_u32 v58, v13, 18, 5
	s_mov_b32 s44, exec_lo
	s_delay_alu instid0(VALU_DEP_1)
	v_cmpx_eq_u32_e32 0, v58
; %bb.3480:                             ;   in Loop: Header=BB2_2709 Depth=2
	v_clz_i32_u32_e32 v41, v41
	s_delay_alu instid0(VALU_DEP_1) | instskip(NEXT) | instid1(VALU_DEP_1)
	v_min_u32_e32 v41, 32, v41
	v_subrev_nc_u32_e32 v58, 29, v41
	s_delay_alu instid0(VALU_DEP_1) | instskip(NEXT) | instid1(VALU_DEP_1)
	v_lshlrev_b64_e32 v[60:61], v58, v[10:11]
	v_dual_sub_nc_u32 v58, 30, v41 :: v_dual_bitop2_b32 v41, 3, v60 bitop3:0x40
; %bb.3481:                             ;   in Loop: Header=BB2_2709 Depth=2
	s_or_b32 exec_lo, exec_lo, s44
	v_lshlrev_b32_e32 v10, 24, v10
	s_delay_alu instid0(VALU_DEP_1) | instskip(NEXT) | instid1(VALU_DEP_1)
	v_and_b32_e32 v10, 0x80000000, v10
	v_lshl_add_u32 v10, v58, 23, v10
	s_delay_alu instid0(VALU_DEP_1) | instskip(NEXT) | instid1(VALU_DEP_1)
	v_lshl_or_b32 v10, v41, 21, v10
                                        ; implicit-def: $vgpr41
	v_add_nc_u32_e32 v58, 0x38000000, v10
                                        ; implicit-def: $vgpr10
.LBB2_3482:                             ;   in Loop: Header=BB2_2709 Depth=2
	s_and_not1_saveexec_b32 s14, s14
; %bb.3483:                             ;   in Loop: Header=BB2_2709 Depth=2
	v_bfe_i32 v10, v10, 0, 8
	s_delay_alu instid0(VALU_DEP_1) | instskip(SKIP_2) | instid1(VALU_DEP_2)
	v_cmp_lt_i16_e32 vcc_lo, -1, v10
	v_cndmask_b32_e32 v10, 0xff800000, v45, vcc_lo
	v_cmp_eq_u32_e32 vcc_lo, 0, v41
	v_cndmask_b32_e32 v58, 0x7f800001, v10, vcc_lo
; %bb.3484:                             ;   in Loop: Header=BB2_2709 Depth=2
	s_or_b32 exec_lo, exec_lo, s14
.LBB2_3485:                             ;   in Loop: Header=BB2_2709 Depth=2
	s_delay_alu instid0(SALU_CYCLE_1)
	s_or_b32 exec_lo, exec_lo, s12
.LBB2_3486:                             ;   in Loop: Header=BB2_2709 Depth=2
	s_delay_alu instid0(SALU_CYCLE_1) | instskip(SKIP_3) | instid1(VALU_DEP_1)
	s_or_b32 exec_lo, exec_lo, s13
	v_and_b32_e32 v40, 0xff, v40
	s_mov_b32 s12, 0
	s_mov_b32 s13, exec_lo
	v_cmpx_lt_i16_e32 0x7f, v40
	s_xor_b32 s13, exec_lo, s13
	s_cbranch_execz .LBB2_3602
; %bb.3487:                             ;   in Loop: Header=BB2_2709 Depth=2
	s_mov_b32 s12, -1
	s_mov_b32 s14, exec_lo
	v_cmpx_eq_u16_e32 0x80, v40
; %bb.3488:                             ;   in Loop: Header=BB2_2709 Depth=2
	s_xor_b32 s12, exec_lo, -1
; %bb.3489:                             ;   in Loop: Header=BB2_2709 Depth=2
	s_or_b32 exec_lo, exec_lo, s14
	s_delay_alu instid0(SALU_CYCLE_1)
	s_and_b32 s12, s12, exec_lo
                                        ; implicit-def: $vgpr40
	s_or_saveexec_b32 s13, s13
	v_bfrev_b32_e32 v10, 1
	s_xor_b32 exec_lo, exec_lo, s13
	s_cbranch_execnz .LBB2_3603
.LBB2_3490:                             ;   in Loop: Header=BB2_2709 Depth=2
	s_or_b32 exec_lo, exec_lo, s13
	s_and_saveexec_b32 s13, s12
.LBB2_3491:                             ;   in Loop: Header=BB2_2709 Depth=2
	v_cndmask_b32_e64 v10, v14, v87, s11
	v_cndmask_b32_e64 v11, v11, v119, s11
	s_delay_alu instid0(VALU_DEP_2) | instskip(NEXT) | instid1(VALU_DEP_1)
	v_lshl_add_u32 v10, v10, 23, v15
	v_lshl_or_b32 v10, v11, 21, v10
	s_delay_alu instid0(VALU_DEP_1)
	v_cndmask_b32_e64 v10, v10, v36, s10
.LBB2_3492:                             ;   in Loop: Header=BB2_2709 Depth=2
	s_or_b32 exec_lo, exec_lo, s13
	s_delay_alu instid0(VALU_DEP_1) | instskip(SKIP_1) | instid1(VALU_DEP_1)
	v_max_num_f32_e32 v10, v10, v10
	v_max_num_f32_e32 v11, v58, v58
	v_min_num_f32_e32 v58, v11, v10
.LBB2_3493:                             ;   in Loop: Header=BB2_2709 Depth=2
	s_delay_alu instid0(VALU_DEP_1) | instskip(SKIP_2) | instid1(VALU_DEP_2)
	v_and_b32_e32 v10, 0x7f800000, v58
	v_mov_b32_e32 v11, v37
	v_and_b32_e32 v36, 0x7fffff, v58
                                        ; implicit-def: $vgpr14
	v_cmp_ne_u64_e32 vcc_lo, 0x7f800000, v[10:11]
	v_lshrrev_b32_e32 v10, 24, v58
	s_and_saveexec_b32 s10, vcc_lo
	s_delay_alu instid0(SALU_CYCLE_1)
	s_xor_b32 s11, exec_lo, s10
	s_cbranch_execz .LBB2_3507
; %bb.3494:                             ;   in Loop: Header=BB2_2709 Depth=2
	v_and_b32_e32 v14, 0x7fffffff, v58
	v_mov_b32_e32 v15, v37
	v_and_b32_e32 v87, 0x80, v10
	s_delay_alu instid0(VALU_DEP_2) | instskip(SKIP_1) | instid1(SALU_CYCLE_1)
	v_cmp_gt_u64_e32 vcc_lo, 0x47600001, v[14:15]
                                        ; implicit-def: $vgpr14
	s_and_saveexec_b32 s10, vcc_lo
	s_xor_b32 s12, exec_lo, s10
	s_cbranch_execz .LBB2_3504
; %bb.3495:                             ;   in Loop: Header=BB2_2709 Depth=2
	v_mov_b32_e32 v14, 0
	s_mov_b32 s13, exec_lo
	v_cmpx_ne_u32_e32 0, v58
	s_cbranch_execz .LBB2_3503
; %bb.3496:                             ;   in Loop: Header=BB2_2709 Depth=2
	v_bfe_u32 v119, v58, 23, 8
	v_or_b32_e32 v14, 0x800000, v36
	s_delay_alu instid0(VALU_DEP_2) | instskip(SKIP_1) | instid1(VALU_DEP_2)
	v_sub_nc_u32_e32 v10, 0x71, v119
	v_cmp_gt_u32_e32 vcc_lo, 0x72, v119
	v_cndmask_b32_e32 v10, 0, v10, vcc_lo
	v_cmp_eq_u32_e32 vcc_lo, 0, v119
	s_delay_alu instid0(VALU_DEP_2) | instskip(SKIP_1) | instid1(VALU_DEP_2)
	v_cndmask_b32_e64 v40, v10, 0x70, vcc_lo
	v_cndmask_b32_e32 v36, v14, v36, vcc_lo
	v_dual_add_nc_u32 v10, 21, v40 :: v_dual_add_nc_u32 v15, 20, v40
	s_delay_alu instid0(VALU_DEP_1) | instskip(NEXT) | instid1(VALU_DEP_2)
	v_lshlrev_b64_e64 v[10:11], v10, -1
	v_lshlrev_b64_e64 v[14:15], v15, 1
	s_delay_alu instid0(VALU_DEP_2) | instskip(NEXT) | instid1(VALU_DEP_3)
	v_bfi_b32 v59, v11, 0, 0
	v_bfi_b32 v58, v10, 0, v36
	v_lshrrev_b64 v[10:11], v40, v[36:37]
	s_delay_alu instid0(VALU_DEP_2) | instskip(NEXT) | instid1(VALU_DEP_2)
	v_cmp_eq_u64_e64 s10, v[58:59], v[14:15]
	v_mov_b64_e32 v[14:15], v[10:11]
	s_and_saveexec_b32 s14, s10
; %bb.3497:                             ;   in Loop: Header=BB2_2709 Depth=2
	v_bfe_u32 v36, v10, 21, 1
	s_delay_alu instid0(VALU_DEP_1) | instskip(NEXT) | instid1(VALU_DEP_1)
	v_add_nc_u64_e32 v[14:15], v[10:11], v[36:37]
	v_add_nc_u64_e32 v[14:15], -1, v[14:15]
; %bb.3498:                             ;   in Loop: Header=BB2_2709 Depth=2
	s_or_b32 exec_lo, exec_lo, s14
	v_add_nc_u32_e32 v11, 0xffffff81, v119
	v_lshrrev_b32_e32 v15, 23, v10
	s_mov_b32 s10, exec_lo
	s_delay_alu instid0(VALU_DEP_2) | instskip(NEXT) | instid1(VALU_DEP_1)
	v_cndmask_b32_e64 v11, v11, 0xffffff82, vcc_lo
	v_add3_u32 v15, v40, v11, v15
	v_and_b32_e32 v11, 0x1fffff, v14
                                        ; implicit-def: $vgpr14
	s_delay_alu instid0(VALU_DEP_1) | instskip(NEXT) | instid1(VALU_DEP_1)
	v_dual_add_nc_u32 v119, 14, v15 :: v_dual_add_nc_u32 v36, v11, v10
                                        ; implicit-def: $vgpr10_vgpr11
	v_cmpx_ne_u32_e32 0, v119
	s_xor_b32 s10, exec_lo, s10
; %bb.3499:                             ;   in Loop: Header=BB2_2709 Depth=2
	s_delay_alu instid0(VALU_DEP_2) | instskip(SKIP_1) | instid1(VALU_DEP_1)
	v_cmp_lt_u64_e32 vcc_lo, 0xffffff, v[36:37]
	v_add_nc_u32_e32 v10, 15, v15
	v_cndmask_b32_e32 v14, v119, v10, vcc_lo
	v_cndmask_b32_e64 v10, 0, 1, vcc_lo
	s_delay_alu instid0(VALU_DEP_1)
	v_lshrrev_b64 v[10:11], v10, v[36:37]
; %bb.3500:                             ;   in Loop: Header=BB2_2709 Depth=2
	s_and_not1_saveexec_b32 s10, s10
; %bb.3501:                             ;   in Loop: Header=BB2_2709 Depth=2
	v_mov_b64_e32 v[10:11], v[36:37]
	v_bfe_u32 v14, v36, 23, 1
; %bb.3502:                             ;   in Loop: Header=BB2_2709 Depth=2
	s_or_b32 exec_lo, exec_lo, s10
	s_delay_alu instid0(VALU_DEP_2) | instskip(NEXT) | instid1(VALU_DEP_2)
	v_lshrrev_b64 v[10:11], 21, v[10:11]
	v_cmp_gt_i32_e32 vcc_lo, 32, v14
	v_min_i32_e32 v15, 31, v14
	v_cmp_eq_u32_e64 s10, 0, v14
	s_delay_alu instid0(VALU_DEP_4) | instskip(NEXT) | instid1(VALU_DEP_3)
	v_cndmask_b32_e32 v11, 0, v11, vcc_lo
	v_dual_cndmask_b32 v10, 3, v10 :: v_dual_lshlrev_b32 v15, 2, v15
	s_delay_alu instid0(VALU_DEP_1) | instskip(NEXT) | instid1(VALU_DEP_2)
	v_and_b32_e32 v15, 0xfc, v15
	v_cmp_eq_u64_e32 vcc_lo, 0, v[10:11]
	s_delay_alu instid0(VALU_DEP_2)
	v_and_or_b32 v10, v10, 3, v15
	s_and_b32 s10, s10, vcc_lo
	s_delay_alu instid0(VALU_DEP_1) | instid1(SALU_CYCLE_1)
	v_cndmask_b32_e64 v10, v10, 0, s10
	s_delay_alu instid0(VALU_DEP_1)
	v_or_b32_e32 v14, v10, v87
.LBB2_3503:                             ;   in Loop: Header=BB2_2709 Depth=2
	s_or_b32 exec_lo, exec_lo, s13
                                        ; implicit-def: $vgpr87
.LBB2_3504:                             ;   in Loop: Header=BB2_2709 Depth=2
	s_and_not1_saveexec_b32 s10, s12
; %bb.3505:                             ;   in Loop: Header=BB2_2709 Depth=2
	v_or_b32_e32 v14, 0x7b, v87
; %bb.3506:                             ;   in Loop: Header=BB2_2709 Depth=2
	s_or_b32 exec_lo, exec_lo, s10
                                        ; implicit-def: $vgpr58
                                        ; implicit-def: $vgpr10
.LBB2_3507:                             ;   in Loop: Header=BB2_2709 Depth=2
	s_and_not1_saveexec_b32 s10, s11
	s_cbranch_execz .LBB2_3513
; %bb.3508:                             ;   in Loop: Header=BB2_2709 Depth=2
	s_mov_b32 s11, exec_lo
                                        ; implicit-def: $vgpr14
	v_cmpx_ne_u64_e32 0, v[36:37]
	s_xor_b32 s11, exec_lo, s11
; %bb.3509:                             ;   in Loop: Header=BB2_2709 Depth=2
	v_or_b32_e32 v14, 0x7f, v10
                                        ; implicit-def: $vgpr58
; %bb.3510:                             ;   in Loop: Header=BB2_2709 Depth=2
	s_and_not1_saveexec_b32 s11, s11
; %bb.3511:                             ;   in Loop: Header=BB2_2709 Depth=2
	v_cmp_lt_i32_e32 vcc_lo, -1, v58
	v_cndmask_b32_e32 v14, 0xfc, v46, vcc_lo
; %bb.3512:                             ;   in Loop: Header=BB2_2709 Depth=2
	s_or_b32 exec_lo, exec_lo, s11
.LBB2_3513:                             ;   in Loop: Header=BB2_2709 Depth=2
	s_delay_alu instid0(SALU_CYCLE_1)
	s_or_b32 exec_lo, exec_lo, s10
	v_bfe_u32 v11, v17, 24, 2
	v_lshrrev_b32_e32 v40, 24, v17
	v_cmp_lt_i64_e32 vcc_lo, -1, v[16:17]
	v_cmp_gt_u64_e64 s10, s[16:17], v[16:17]
	v_and_b32_e32 v119, 0x7c000000, v17
	v_clz_i32_u32_e32 v15, v11
	v_cmp_lt_u64_e64 s14, s[18:19], v[12:13]
	v_and_or_b32 v36, v17, s27, 0x38000000
	s_mov_b32 s44, -1
	v_cndmask_b32_e32 v16, 0xff800000, v45, vcc_lo
	v_min_u32_e32 v87, 32, v15
	v_bfe_u32 v15, v17, 26, 5
	v_cmp_eq_u32_e32 vcc_lo, 0, v11
	v_lshrrev_b32_e32 v10, 24, v13
	v_cmp_eq_u32_e64 s12, 0x7c000000, v119
	v_subrev_nc_u32_e32 v41, 29, v87
	v_cmp_eq_u32_e64 s13, 0, v15
	v_dual_cndmask_b32 v16, 0x7f800001, v16 :: v_dual_sub_nc_u32 v17, 30, v87
	s_and_b32 vcc_lo, exec_lo, s43
	v_lshlrev_b64_e32 v[58:59], v41, v[40:41]
                                        ; implicit-def: $vgpr119
	s_delay_alu instid0(VALU_DEP_1)
	v_and_b32_e32 v87, 3, v58
	v_cmp_eq_u32_e64 s11, 0x80, v40
	s_cbranch_vccz .LBB2_3525
; %bb.3514:                             ;   in Loop: Header=BB2_2709 Depth=2
	v_mov_b32_e32 v119, 0
	s_and_saveexec_b32 s44, s14
	s_cbranch_execz .LBB2_3524
; %bb.3515:                             ;   in Loop: Header=BB2_2709 Depth=2
	v_bfrev_b32_e32 v119, 1
	s_mov_b32 s45, exec_lo
	v_cmpx_ne_u32_e32 0x80, v10
	s_cbranch_execz .LBB2_3523
; %bb.3516:                             ;   in Loop: Header=BB2_2709 Depth=2
	v_and_b32_e32 v119, 0x7c000000, v13
	v_bfe_u32 v40, v13, 24, 2
	s_delay_alu instid0(VALU_DEP_2) | instskip(SKIP_1) | instid1(SALU_CYCLE_1)
	v_cmp_ne_u32_e32 vcc_lo, 0x7c000000, v119
                                        ; implicit-def: $vgpr119
	s_and_saveexec_b32 s46, vcc_lo
	s_xor_b32 s46, exec_lo, s46
	s_cbranch_execz .LBB2_3520
; %bb.3517:                             ;   in Loop: Header=BB2_2709 Depth=2
	v_bfe_u32 v119, v13, 26, 5
	s_mov_b32 s47, exec_lo
	s_delay_alu instid0(VALU_DEP_1)
	v_cmpx_eq_u32_e32 0, v119
; %bb.3518:                             ;   in Loop: Header=BB2_2709 Depth=2
	v_clz_i32_u32_e32 v119, v40
	s_delay_alu instid0(VALU_DEP_1) | instskip(NEXT) | instid1(VALU_DEP_1)
	v_min_u32_e32 v119, 32, v119
	v_subrev_nc_u32_e32 v40, 29, v119
	s_delay_alu instid0(VALU_DEP_1) | instskip(NEXT) | instid1(VALU_DEP_1)
	v_lshlrev_b64_e32 v[40:41], v40, v[10:11]
	v_dual_sub_nc_u32 v119, 30, v119 :: v_dual_bitop2_b32 v40, 3, v40 bitop3:0x40
; %bb.3519:                             ;   in Loop: Header=BB2_2709 Depth=2
	s_or_b32 exec_lo, exec_lo, s47
	v_and_b32_e32 v41, 0x80000000, v13
	s_delay_alu instid0(VALU_DEP_1) | instskip(NEXT) | instid1(VALU_DEP_1)
	v_lshl_add_u32 v119, v119, 23, v41
	v_lshl_or_b32 v119, v40, 21, v119
                                        ; implicit-def: $vgpr40
	s_delay_alu instid0(VALU_DEP_1)
	v_add_nc_u32_e32 v119, 0x38000000, v119
.LBB2_3520:                             ;   in Loop: Header=BB2_2709 Depth=2
	s_and_not1_saveexec_b32 s46, s46
; %bb.3521:                             ;   in Loop: Header=BB2_2709 Depth=2
	v_cmp_lt_i64_e32 vcc_lo, -1, v[12:13]
	v_cndmask_b32_e32 v119, 0xff800000, v45, vcc_lo
	v_cmp_eq_u32_e32 vcc_lo, 0, v40
	s_delay_alu instid0(VALU_DEP_2)
	v_cndmask_b32_e32 v119, 0x7f800001, v119, vcc_lo
; %bb.3522:                             ;   in Loop: Header=BB2_2709 Depth=2
	s_or_b32 exec_lo, exec_lo, s46
.LBB2_3523:                             ;   in Loop: Header=BB2_2709 Depth=2
	s_delay_alu instid0(SALU_CYCLE_1)
	s_or_b32 exec_lo, exec_lo, s45
.LBB2_3524:                             ;   in Loop: Header=BB2_2709 Depth=2
	s_delay_alu instid0(SALU_CYCLE_1) | instskip(SKIP_4) | instid1(VALU_DEP_3)
	s_or_b32 exec_lo, exec_lo, s44
	v_cndmask_b32_e64 v40, v15, v17, s13
	v_cndmask_b32_e64 v41, v11, v87, s13
	s_mov_b32 s44, 0
	v_max_num_f32_e32 v119, v119, v119
	v_lshl_add_u32 v40, v40, 23, v36
	s_delay_alu instid0(VALU_DEP_1) | instskip(NEXT) | instid1(VALU_DEP_1)
	v_lshl_or_b32 v40, v41, 21, v40
	v_cndmask_b32_e64 v40, v40, v16, s12
	s_delay_alu instid0(VALU_DEP_1) | instskip(NEXT) | instid1(VALU_DEP_1)
	v_cndmask_b32_e64 v40, v40, 0x80000000, s11
	v_cndmask_b32_e64 v40, v40, 0, s10
	s_delay_alu instid0(VALU_DEP_1) | instskip(NEXT) | instid1(VALU_DEP_1)
	v_max_num_f32_e32 v40, v40, v40
	v_max_num_f32_e32 v119, v119, v40
.LBB2_3525:                             ;   in Loop: Header=BB2_2709 Depth=2
	s_and_b32 vcc_lo, exec_lo, s44
	s_cbranch_vccz .LBB2_3537
; %bb.3526:                             ;   in Loop: Header=BB2_2709 Depth=2
	v_mov_b32_e32 v119, 0
	s_and_saveexec_b32 s44, s14
	s_cbranch_execz .LBB2_3536
; %bb.3527:                             ;   in Loop: Header=BB2_2709 Depth=2
	v_bfrev_b32_e32 v119, 1
	s_mov_b32 s14, exec_lo
	v_cmpx_ne_u32_e32 0x80, v10
	s_cbranch_execz .LBB2_3535
; %bb.3528:                             ;   in Loop: Header=BB2_2709 Depth=2
	v_and_b32_e32 v119, 0x7c000000, v13
	v_bfe_u32 v40, v13, 24, 2
	s_delay_alu instid0(VALU_DEP_2) | instskip(SKIP_1) | instid1(SALU_CYCLE_1)
	v_cmp_ne_u32_e32 vcc_lo, 0x7c000000, v119
                                        ; implicit-def: $vgpr119
	s_and_saveexec_b32 s45, vcc_lo
	s_xor_b32 s45, exec_lo, s45
	s_cbranch_execz .LBB2_3532
; %bb.3529:                             ;   in Loop: Header=BB2_2709 Depth=2
	v_bfe_u32 v12, v13, 26, 5
	s_mov_b32 s46, exec_lo
	s_delay_alu instid0(VALU_DEP_1)
	v_cmpx_eq_u32_e32 0, v12
; %bb.3530:                             ;   in Loop: Header=BB2_2709 Depth=2
	v_clz_i32_u32_e32 v12, v40
	s_delay_alu instid0(VALU_DEP_1) | instskip(NEXT) | instid1(VALU_DEP_1)
	v_min_u32_e32 v12, 32, v12
	v_subrev_nc_u32_e32 v119, 29, v12
	v_sub_nc_u32_e32 v12, 30, v12
	s_delay_alu instid0(VALU_DEP_2) | instskip(NEXT) | instid1(VALU_DEP_1)
	v_lshlrev_b64_e32 v[40:41], v119, v[10:11]
	v_and_b32_e32 v40, 3, v40
; %bb.3531:                             ;   in Loop: Header=BB2_2709 Depth=2
	s_or_b32 exec_lo, exec_lo, s46
	v_and_b32_e32 v10, 0x80000000, v13
	s_delay_alu instid0(VALU_DEP_1) | instskip(NEXT) | instid1(VALU_DEP_1)
	v_lshl_add_u32 v10, v12, 23, v10
                                        ; implicit-def: $vgpr12_vgpr13
	v_lshl_or_b32 v10, v40, 21, v10
                                        ; implicit-def: $vgpr40
	s_delay_alu instid0(VALU_DEP_1)
	v_add_nc_u32_e32 v119, 0x38000000, v10
.LBB2_3532:                             ;   in Loop: Header=BB2_2709 Depth=2
	s_and_not1_saveexec_b32 s45, s45
; %bb.3533:                             ;   in Loop: Header=BB2_2709 Depth=2
	v_cmp_lt_i64_e32 vcc_lo, -1, v[12:13]
	v_cndmask_b32_e32 v10, 0xff800000, v45, vcc_lo
	v_cmp_eq_u32_e32 vcc_lo, 0, v40
	s_delay_alu instid0(VALU_DEP_2)
	v_cndmask_b32_e32 v119, 0x7f800001, v10, vcc_lo
; %bb.3534:                             ;   in Loop: Header=BB2_2709 Depth=2
	s_or_b32 exec_lo, exec_lo, s45
.LBB2_3535:                             ;   in Loop: Header=BB2_2709 Depth=2
	s_delay_alu instid0(SALU_CYCLE_1)
	s_or_b32 exec_lo, exec_lo, s14
.LBB2_3536:                             ;   in Loop: Header=BB2_2709 Depth=2
	s_delay_alu instid0(SALU_CYCLE_1) | instskip(SKIP_2) | instid1(VALU_DEP_2)
	s_or_b32 exec_lo, exec_lo, s44
	v_cndmask_b32_e64 v10, v15, v17, s13
	v_cndmask_b32_e64 v11, v11, v87, s13
	v_lshl_add_u32 v10, v10, 23, v36
	s_delay_alu instid0(VALU_DEP_1) | instskip(NEXT) | instid1(VALU_DEP_1)
	v_lshl_or_b32 v10, v11, 21, v10
	v_dual_max_num_f32 v11, v119, v119 :: v_dual_cndmask_b32 v10, v10, v16, s12
	s_delay_alu instid0(VALU_DEP_1) | instskip(NEXT) | instid1(VALU_DEP_1)
	v_cndmask_b32_e64 v10, v10, 0x80000000, s11
	v_cndmask_b32_e64 v10, v10, 0, s10
	s_delay_alu instid0(VALU_DEP_1) | instskip(NEXT) | instid1(VALU_DEP_1)
	v_max_num_f32_e32 v10, v10, v10
	v_min_num_f32_e32 v119, v11, v10
.LBB2_3537:                             ;   in Loop: Header=BB2_2709 Depth=2
	s_delay_alu instid0(VALU_DEP_1) | instskip(SKIP_2) | instid1(VALU_DEP_2)
	v_and_b32_e32 v10, 0x7f800000, v119
	v_mov_b32_e32 v11, v37
	v_and_b32_e32 v36, 0x7fffff, v119
	v_cmp_ne_u64_e32 vcc_lo, 0x7f800000, v[10:11]
	v_lshrrev_b32_e32 v11, 24, v119
                                        ; implicit-def: $vgpr10
	s_and_saveexec_b32 s10, vcc_lo
	s_delay_alu instid0(SALU_CYCLE_1)
	s_xor_b32 s11, exec_lo, s10
	s_cbranch_execz .LBB2_3551
; %bb.3538:                             ;   in Loop: Header=BB2_2709 Depth=2
	v_and_b32_e32 v12, 0x7fffffff, v119
	v_mov_b32_e32 v13, v37
	v_and_b32_e32 v15, 0x80, v11
                                        ; implicit-def: $vgpr10
	s_mov_b32 s10, exec_lo
	s_delay_alu instid0(VALU_DEP_2)
	v_cmpx_gt_u64_e32 0x47600001, v[12:13]
	s_xor_b32 s12, exec_lo, s10
	s_cbranch_execz .LBB2_3548
; %bb.3539:                             ;   in Loop: Header=BB2_2709 Depth=2
	v_mov_b32_e32 v10, 0
	s_mov_b32 s13, exec_lo
	v_cmpx_ne_u32_e32 0, v119
	s_cbranch_execz .LBB2_3547
; %bb.3540:                             ;   in Loop: Header=BB2_2709 Depth=2
	v_bfe_u32 v16, v119, 23, 8
	v_or_b32_e32 v12, 0x800000, v36
	s_delay_alu instid0(VALU_DEP_2) | instskip(SKIP_1) | instid1(VALU_DEP_2)
	v_sub_nc_u32_e32 v10, 0x71, v16
	v_cmp_gt_u32_e32 vcc_lo, 0x72, v16
	v_cndmask_b32_e32 v10, 0, v10, vcc_lo
	v_cmp_eq_u32_e32 vcc_lo, 0, v16
	s_delay_alu instid0(VALU_DEP_2) | instskip(NEXT) | instid1(VALU_DEP_1)
	v_cndmask_b32_e64 v17, v10, 0x70, vcc_lo
	v_dual_cndmask_b32 v36, v12, v36, vcc_lo :: v_dual_add_nc_u32 v10, 21, v17
	v_add_nc_u32_e32 v13, 20, v17
	s_delay_alu instid0(VALU_DEP_2) | instskip(NEXT) | instid1(VALU_DEP_2)
	v_lshlrev_b64_e64 v[10:11], v10, -1
	v_lshlrev_b64_e64 v[12:13], v13, 1
	s_delay_alu instid0(VALU_DEP_2) | instskip(NEXT) | instid1(VALU_DEP_3)
	v_bfi_b32 v41, v11, 0, 0
	v_bfi_b32 v40, v10, 0, v36
	v_lshrrev_b64 v[10:11], v17, v[36:37]
	s_delay_alu instid0(VALU_DEP_2) | instskip(NEXT) | instid1(VALU_DEP_2)
	v_cmp_eq_u64_e64 s10, v[40:41], v[12:13]
	v_mov_b64_e32 v[12:13], v[10:11]
	s_and_saveexec_b32 s14, s10
; %bb.3541:                             ;   in Loop: Header=BB2_2709 Depth=2
	v_bfe_u32 v36, v10, 21, 1
	s_delay_alu instid0(VALU_DEP_1) | instskip(NEXT) | instid1(VALU_DEP_1)
	v_add_nc_u64_e32 v[12:13], v[10:11], v[36:37]
	v_add_nc_u64_e32 v[12:13], -1, v[12:13]
; %bb.3542:                             ;   in Loop: Header=BB2_2709 Depth=2
	s_or_b32 exec_lo, exec_lo, s14
	v_add_nc_u32_e32 v11, 0xffffff81, v16
	v_lshrrev_b32_e32 v13, 23, v10
	s_mov_b32 s10, exec_lo
	s_delay_alu instid0(VALU_DEP_2) | instskip(NEXT) | instid1(VALU_DEP_1)
	v_cndmask_b32_e64 v11, v11, 0xffffff82, vcc_lo
	v_add3_u32 v13, v17, v11, v13
	v_and_b32_e32 v11, 0x1fffff, v12
                                        ; implicit-def: $vgpr12
	s_delay_alu instid0(VALU_DEP_1) | instskip(NEXT) | instid1(VALU_DEP_1)
	v_dual_add_nc_u32 v16, 14, v13 :: v_dual_add_nc_u32 v36, v11, v10
                                        ; implicit-def: $vgpr10_vgpr11
	v_cmpx_ne_u32_e32 0, v16
	s_xor_b32 s10, exec_lo, s10
; %bb.3543:                             ;   in Loop: Header=BB2_2709 Depth=2
	s_delay_alu instid0(VALU_DEP_2) | instskip(SKIP_1) | instid1(VALU_DEP_1)
	v_cmp_lt_u64_e32 vcc_lo, 0xffffff, v[36:37]
	v_add_nc_u32_e32 v10, 15, v13
	v_cndmask_b32_e32 v12, v16, v10, vcc_lo
	v_cndmask_b32_e64 v10, 0, 1, vcc_lo
	s_delay_alu instid0(VALU_DEP_1)
	v_lshrrev_b64 v[10:11], v10, v[36:37]
; %bb.3544:                             ;   in Loop: Header=BB2_2709 Depth=2
	s_and_not1_saveexec_b32 s10, s10
; %bb.3545:                             ;   in Loop: Header=BB2_2709 Depth=2
	v_mov_b64_e32 v[10:11], v[36:37]
	v_bfe_u32 v12, v36, 23, 1
; %bb.3546:                             ;   in Loop: Header=BB2_2709 Depth=2
	s_or_b32 exec_lo, exec_lo, s10
	s_delay_alu instid0(VALU_DEP_2) | instskip(NEXT) | instid1(VALU_DEP_2)
	v_lshrrev_b64 v[10:11], 21, v[10:11]
	v_cmp_gt_i32_e32 vcc_lo, 32, v12
	v_min_i32_e32 v13, 31, v12
	v_cmp_eq_u32_e64 s10, 0, v12
	s_delay_alu instid0(VALU_DEP_2) | instskip(SKIP_1) | instid1(VALU_DEP_2)
	v_dual_cndmask_b32 v11, 0, v11, vcc_lo :: v_dual_lshlrev_b32 v13, 2, v13
	v_cndmask_b32_e32 v10, 3, v10, vcc_lo
	v_and_b32_e32 v13, 0xfc, v13
	s_delay_alu instid0(VALU_DEP_2) | instskip(NEXT) | instid1(VALU_DEP_2)
	v_cmp_eq_u64_e32 vcc_lo, 0, v[10:11]
	v_and_or_b32 v10, v10, 3, v13
	s_and_b32 s10, s10, vcc_lo
	s_delay_alu instid0(VALU_DEP_1) | instid1(SALU_CYCLE_1)
	v_cndmask_b32_e64 v10, v10, 0, s10
	s_delay_alu instid0(VALU_DEP_1)
	v_or_b32_e32 v10, v10, v15
.LBB2_3547:                             ;   in Loop: Header=BB2_2709 Depth=2
	s_or_b32 exec_lo, exec_lo, s13
                                        ; implicit-def: $vgpr15
.LBB2_3548:                             ;   in Loop: Header=BB2_2709 Depth=2
	s_and_not1_saveexec_b32 s10, s12
; %bb.3549:                             ;   in Loop: Header=BB2_2709 Depth=2
	v_or_b32_e32 v10, 0x7b, v15
; %bb.3550:                             ;   in Loop: Header=BB2_2709 Depth=2
	s_or_b32 exec_lo, exec_lo, s10
                                        ; implicit-def: $vgpr119
                                        ; implicit-def: $vgpr11
.LBB2_3551:                             ;   in Loop: Header=BB2_2709 Depth=2
	s_and_not1_saveexec_b32 s10, s11
	s_cbranch_execz .LBB2_2708
; %bb.3552:                             ;   in Loop: Header=BB2_2709 Depth=2
	s_mov_b32 s11, exec_lo
                                        ; implicit-def: $vgpr10
	v_cmpx_ne_u64_e32 0, v[36:37]
	s_xor_b32 s11, exec_lo, s11
; %bb.3553:                             ;   in Loop: Header=BB2_2709 Depth=2
	v_or_b32_e32 v10, 0x7f, v11
                                        ; implicit-def: $vgpr119
; %bb.3554:                             ;   in Loop: Header=BB2_2709 Depth=2
	s_and_not1_saveexec_b32 s11, s11
	s_cbranch_execz .LBB2_2707
; %bb.3555:                             ;   in Loop: Header=BB2_2709 Depth=2
	v_cmp_lt_i32_e32 vcc_lo, -1, v119
	v_cndmask_b32_e32 v10, 0xfc, v46, vcc_lo
	s_branch .LBB2_2707
.LBB2_3556:                             ;   in Loop: Header=BB2_2709 Depth=2
	s_or_saveexec_b32 s14, s14
	v_bfrev_b32_e32 v112, 1
	s_xor_b32 exec_lo, exec_lo, s14
	s_cbranch_execz .LBB2_2724
.LBB2_3557:                             ;   in Loop: Header=BB2_2709 Depth=2
	v_cmp_ne_u16_e32 vcc_lo, 0, v113
	v_mov_b32_e32 v112, 0
	s_and_not1_b32 s13, s13, exec_lo
	s_and_b32 s44, vcc_lo, exec_lo
	s_delay_alu instid0(SALU_CYCLE_1)
	s_or_b32 s13, s13, s44
	s_or_b32 exec_lo, exec_lo, s14
	s_and_saveexec_b32 s14, s13
	s_cbranch_execnz .LBB2_2725
	s_branch .LBB2_2726
.LBB2_3558:                             ;   in Loop: Header=BB2_2709 Depth=2
	s_or_saveexec_b32 s13, s13
	v_bfrev_b32_e32 v98, 1
	s_xor_b32 exec_lo, exec_lo, s13
	s_cbranch_execz .LBB2_2742
.LBB2_3559:                             ;   in Loop: Header=BB2_2709 Depth=2
	v_cmp_ne_u16_e32 vcc_lo, 0, v99
	v_mov_b32_e32 v98, 0
	s_and_not1_b32 s12, s12, exec_lo
	s_and_b32 s14, vcc_lo, exec_lo
	s_delay_alu instid0(SALU_CYCLE_1)
	s_or_b32 s12, s12, s14
	s_or_b32 exec_lo, exec_lo, s13
	s_and_saveexec_b32 s13, s12
	s_cbranch_execnz .LBB2_2743
	s_branch .LBB2_2744
.LBB2_3560:                             ;   in Loop: Header=BB2_2709 Depth=2
	s_or_saveexec_b32 s14, s14
	v_bfrev_b32_e32 v114, 1
	s_xor_b32 exec_lo, exec_lo, s14
	s_cbranch_execz .LBB2_2780
.LBB2_3561:                             ;   in Loop: Header=BB2_2709 Depth=2
	v_cmp_ne_u16_e32 vcc_lo, 0, v36
	v_mov_b32_e32 v114, 0
	s_and_not1_b32 s13, s13, exec_lo
	s_and_b32 s44, vcc_lo, exec_lo
	s_delay_alu instid0(SALU_CYCLE_1)
	s_or_b32 s13, s13, s44
	s_or_b32 exec_lo, exec_lo, s14
	s_and_saveexec_b32 s14, s13
	s_cbranch_execnz .LBB2_2781
	s_branch .LBB2_2782
.LBB2_3562:                             ;   in Loop: Header=BB2_2709 Depth=2
	s_or_saveexec_b32 s13, s13
	v_bfrev_b32_e32 v86, 1
	s_xor_b32 exec_lo, exec_lo, s13
	s_cbranch_execz .LBB2_2798
.LBB2_3563:                             ;   in Loop: Header=BB2_2709 Depth=2
	v_cmp_ne_u16_e32 vcc_lo, 0, v36
	v_mov_b32_e32 v86, 0
	s_and_not1_b32 s12, s12, exec_lo
	s_and_b32 s14, vcc_lo, exec_lo
	s_delay_alu instid0(SALU_CYCLE_1)
	s_or_b32 s12, s12, s14
	s_or_b32 exec_lo, exec_lo, s13
	s_and_saveexec_b32 s13, s12
	s_cbranch_execnz .LBB2_2799
	s_branch .LBB2_2800
.LBB2_3564:                             ;   in Loop: Header=BB2_2709 Depth=2
	s_or_saveexec_b32 s14, s14
	v_bfrev_b32_e32 v115, 1
	s_xor_b32 exec_lo, exec_lo, s14
	s_cbranch_execz .LBB2_2836
.LBB2_3565:                             ;   in Loop: Header=BB2_2709 Depth=2
	v_cmp_ne_u16_e32 vcc_lo, 0, v116
	v_mov_b32_e32 v115, 0
	s_and_not1_b32 s13, s13, exec_lo
	s_and_b32 s44, vcc_lo, exec_lo
	s_delay_alu instid0(SALU_CYCLE_1)
	s_or_b32 s13, s13, s44
	s_or_b32 exec_lo, exec_lo, s14
	s_and_saveexec_b32 s14, s13
	s_cbranch_execnz .LBB2_2837
	s_branch .LBB2_2838
.LBB2_3566:                             ;   in Loop: Header=BB2_2709 Depth=2
	s_or_saveexec_b32 s13, s13
	v_bfrev_b32_e32 v30, 1
	s_xor_b32 exec_lo, exec_lo, s13
	s_cbranch_execz .LBB2_2854
.LBB2_3567:                             ;   in Loop: Header=BB2_2709 Depth=2
	v_cmp_ne_u16_e32 vcc_lo, 0, v99
	v_mov_b32_e32 v30, 0
	s_and_not1_b32 s12, s12, exec_lo
	s_and_b32 s14, vcc_lo, exec_lo
	s_delay_alu instid0(SALU_CYCLE_1)
	s_or_b32 s12, s12, s14
	s_or_b32 exec_lo, exec_lo, s13
	s_and_saveexec_b32 s13, s12
	s_cbranch_execnz .LBB2_2855
	s_branch .LBB2_2856
.LBB2_3568:                             ;   in Loop: Header=BB2_2709 Depth=2
	s_or_saveexec_b32 s14, s14
	v_bfrev_b32_e32 v119, 1
	s_xor_b32 exec_lo, exec_lo, s14
	s_cbranch_execz .LBB2_2936
.LBB2_3569:                             ;   in Loop: Header=BB2_2709 Depth=2
	v_cmp_ne_u16_e32 vcc_lo, 0, v40
	v_mov_b32_e32 v119, 0
	s_and_not1_b32 s13, s13, exec_lo
	s_and_b32 s44, vcc_lo, exec_lo
	s_delay_alu instid0(SALU_CYCLE_1)
	s_or_b32 s13, s13, s44
	s_or_b32 exec_lo, exec_lo, s14
	s_and_saveexec_b32 s14, s13
	s_cbranch_execnz .LBB2_2937
	s_branch .LBB2_2938
.LBB2_3570:                             ;   in Loop: Header=BB2_2709 Depth=2
	s_or_saveexec_b32 s13, s13
	v_bfrev_b32_e32 v87, 1
	s_xor_b32 exec_lo, exec_lo, s13
	s_cbranch_execz .LBB2_2954
.LBB2_3571:                             ;   in Loop: Header=BB2_2709 Depth=2
	v_cmp_ne_u16_e32 vcc_lo, 0, v116
	v_mov_b32_e32 v87, 0
	s_and_not1_b32 s12, s12, exec_lo
	s_and_b32 s14, vcc_lo, exec_lo
	s_delay_alu instid0(SALU_CYCLE_1)
	s_or_b32 s12, s12, s14
	s_or_b32 exec_lo, exec_lo, s13
	s_and_saveexec_b32 s13, s12
	s_cbranch_execnz .LBB2_2955
	s_branch .LBB2_2956
.LBB2_3572:                             ;   in Loop: Header=BB2_2709 Depth=2
	s_or_saveexec_b32 s14, s14
	v_bfrev_b32_e32 v119, 1
	s_xor_b32 exec_lo, exec_lo, s14
	s_cbranch_execz .LBB2_2992
.LBB2_3573:                             ;   in Loop: Header=BB2_2709 Depth=2
	v_cmp_ne_u16_e32 vcc_lo, 0, v96
	v_mov_b32_e32 v119, 0
	s_and_not1_b32 s13, s13, exec_lo
	s_and_b32 s44, vcc_lo, exec_lo
	s_delay_alu instid0(SALU_CYCLE_1)
	s_or_b32 s13, s13, s44
	s_or_b32 exec_lo, exec_lo, s14
	s_and_saveexec_b32 s14, s13
	s_cbranch_execnz .LBB2_2993
	s_branch .LBB2_2994
.LBB2_3574:                             ;   in Loop: Header=BB2_2709 Depth=2
	s_or_saveexec_b32 s13, s13
	v_bfrev_b32_e32 v86, 1
	s_xor_b32 exec_lo, exec_lo, s13
	s_cbranch_execz .LBB2_3010
.LBB2_3575:                             ;   in Loop: Header=BB2_2709 Depth=2
	v_cmp_ne_u16_e32 vcc_lo, 0, v96
	v_mov_b32_e32 v86, 0
	s_and_not1_b32 s12, s12, exec_lo
	s_and_b32 s14, vcc_lo, exec_lo
	s_delay_alu instid0(SALU_CYCLE_1)
	s_or_b32 s12, s12, s14
	s_or_b32 exec_lo, exec_lo, s13
	s_and_saveexec_b32 s13, s12
	s_cbranch_execnz .LBB2_3011
	s_branch .LBB2_3012
.LBB2_3576:                             ;   in Loop: Header=BB2_2709 Depth=2
	s_or_saveexec_b32 s14, s14
	v_bfrev_b32_e32 v119, 1
	s_xor_b32 exec_lo, exec_lo, s14
	s_cbranch_execz .LBB2_3048
.LBB2_3577:                             ;   in Loop: Header=BB2_2709 Depth=2
	v_cmp_ne_u16_e32 vcc_lo, 0, v40
	v_mov_b32_e32 v119, 0
	s_and_not1_b32 s13, s13, exec_lo
	s_and_b32 s44, vcc_lo, exec_lo
	s_delay_alu instid0(SALU_CYCLE_1)
	s_or_b32 s13, s13, s44
	s_or_b32 exec_lo, exec_lo, s14
	s_and_saveexec_b32 s14, s13
	s_cbranch_execnz .LBB2_3049
	s_branch .LBB2_3050
.LBB2_3578:                             ;   in Loop: Header=BB2_2709 Depth=2
	s_or_saveexec_b32 s13, s13
	v_bfrev_b32_e32 v30, 1
	s_xor_b32 exec_lo, exec_lo, s13
	s_cbranch_execz .LBB2_3066
.LBB2_3579:                             ;   in Loop: Header=BB2_2709 Depth=2
	v_cmp_ne_u16_e32 vcc_lo, 0, v116
	v_mov_b32_e32 v30, 0
	s_and_not1_b32 s12, s12, exec_lo
	s_and_b32 s14, vcc_lo, exec_lo
	s_delay_alu instid0(SALU_CYCLE_1)
	s_or_b32 s12, s12, s14
	s_or_b32 exec_lo, exec_lo, s13
	s_and_saveexec_b32 s13, s12
	s_cbranch_execnz .LBB2_3067
	s_branch .LBB2_3068
.LBB2_3580:                             ;   in Loop: Header=BB2_2709 Depth=2
	s_or_saveexec_b32 s14, s14
	v_bfrev_b32_e32 v116, 1
	s_xor_b32 exec_lo, exec_lo, s14
	s_cbranch_execz .LBB2_3148
.LBB2_3581:                             ;   in Loop: Header=BB2_2709 Depth=2
	v_cmp_ne_u16_e32 vcc_lo, 0, v117
	v_mov_b32_e32 v116, 0
	s_and_not1_b32 s13, s13, exec_lo
	s_and_b32 s44, vcc_lo, exec_lo
	s_delay_alu instid0(SALU_CYCLE_1)
	s_or_b32 s13, s13, s44
	s_or_b32 exec_lo, exec_lo, s14
	s_and_saveexec_b32 s14, s13
	s_cbranch_execnz .LBB2_3149
	s_branch .LBB2_3150
.LBB2_3582:                             ;   in Loop: Header=BB2_2709 Depth=2
	s_or_saveexec_b32 s13, s13
	v_bfrev_b32_e32 v87, 1
	s_xor_b32 exec_lo, exec_lo, s13
	s_cbranch_execz .LBB2_3166
.LBB2_3583:                             ;   in Loop: Header=BB2_2709 Depth=2
	v_cmp_ne_u16_e32 vcc_lo, 0, v97
	v_mov_b32_e32 v87, 0
	s_and_not1_b32 s12, s12, exec_lo
	s_and_b32 s14, vcc_lo, exec_lo
	s_delay_alu instid0(SALU_CYCLE_1)
	s_or_b32 s12, s12, s14
	s_or_b32 exec_lo, exec_lo, s13
	s_and_saveexec_b32 s13, s12
	s_cbranch_execnz .LBB2_3167
	s_branch .LBB2_3168
.LBB2_3584:                             ;   in Loop: Header=BB2_2709 Depth=2
	s_or_saveexec_b32 s14, s14
	v_bfrev_b32_e32 v118, 1
	s_xor_b32 exec_lo, exec_lo, s14
	s_cbranch_execz .LBB2_3204
.LBB2_3585:                             ;   in Loop: Header=BB2_2709 Depth=2
	v_cmp_ne_u16_e32 vcc_lo, 0, v36
	v_mov_b32_e32 v118, 0
	s_and_not1_b32 s13, s13, exec_lo
	s_and_b32 s44, vcc_lo, exec_lo
	s_delay_alu instid0(SALU_CYCLE_1)
	s_or_b32 s13, s13, s44
	s_or_b32 exec_lo, exec_lo, s14
	s_and_saveexec_b32 s14, s13
	s_cbranch_execnz .LBB2_3205
	s_branch .LBB2_3206
.LBB2_3586:                             ;   in Loop: Header=BB2_2709 Depth=2
	s_or_saveexec_b32 s13, s13
	v_bfrev_b32_e32 v10, 1
	s_xor_b32 exec_lo, exec_lo, s13
	s_cbranch_execz .LBB2_3222
.LBB2_3587:                             ;   in Loop: Header=BB2_2709 Depth=2
	v_cmp_ne_u16_e32 vcc_lo, 0, v36
	v_mov_b32_e32 v10, 0
	s_and_not1_b32 s12, s12, exec_lo
	s_and_b32 s14, vcc_lo, exec_lo
	s_delay_alu instid0(SALU_CYCLE_1)
	s_or_b32 s12, s12, s14
	s_or_b32 exec_lo, exec_lo, s13
	s_and_saveexec_b32 s13, s12
	s_cbranch_execnz .LBB2_3223
	s_branch .LBB2_3224
.LBB2_3588:                             ;   in Loop: Header=BB2_2709 Depth=2
	s_or_saveexec_b32 s14, s14
	v_bfrev_b32_e32 v119, 1
	s_xor_b32 exec_lo, exec_lo, s14
	s_cbranch_execz .LBB2_3260
.LBB2_3589:                             ;   in Loop: Header=BB2_2709 Depth=2
	v_cmp_ne_u16_e32 vcc_lo, 0, v40
	v_mov_b32_e32 v119, 0
	s_and_not1_b32 s13, s13, exec_lo
	s_and_b32 s44, vcc_lo, exec_lo
	s_delay_alu instid0(SALU_CYCLE_1)
	s_or_b32 s13, s13, s44
	s_or_b32 exec_lo, exec_lo, s14
	s_and_saveexec_b32 s14, s13
	s_cbranch_execnz .LBB2_3261
	s_branch .LBB2_3262
.LBB2_3590:                             ;   in Loop: Header=BB2_2709 Depth=2
	s_or_saveexec_b32 s13, s13
	v_bfrev_b32_e32 v10, 1
	s_xor_b32 exec_lo, exec_lo, s13
	s_cbranch_execz .LBB2_3278
.LBB2_3591:                             ;   in Loop: Header=BB2_2709 Depth=2
	v_cmp_ne_u16_e32 vcc_lo, 0, v116
	v_mov_b32_e32 v10, 0
	s_and_not1_b32 s12, s12, exec_lo
	s_and_b32 s14, vcc_lo, exec_lo
	s_delay_alu instid0(SALU_CYCLE_1)
	s_or_b32 s12, s12, s14
	s_or_b32 exec_lo, exec_lo, s13
	s_and_saveexec_b32 s13, s12
	s_cbranch_execnz .LBB2_3279
	s_branch .LBB2_3280
.LBB2_3592:                             ;   in Loop: Header=BB2_2709 Depth=2
	s_or_saveexec_b32 s14, s14
	v_bfrev_b32_e32 v58, 1
	s_xor_b32 exec_lo, exec_lo, s14
	s_cbranch_execz .LBB2_3360
.LBB2_3593:                             ;   in Loop: Header=BB2_2709 Depth=2
	v_cmp_ne_u16_e32 vcc_lo, 0, v59
	v_mov_b32_e32 v58, 0
	s_and_not1_b32 s13, s13, exec_lo
	s_and_b32 s44, vcc_lo, exec_lo
	s_delay_alu instid0(SALU_CYCLE_1)
	s_or_b32 s13, s13, s44
	s_or_b32 exec_lo, exec_lo, s14
	s_and_saveexec_b32 s14, s13
	s_cbranch_execnz .LBB2_3361
	s_branch .LBB2_3362
.LBB2_3594:                             ;   in Loop: Header=BB2_2709 Depth=2
	s_or_saveexec_b32 s13, s13
	v_bfrev_b32_e32 v119, 1
	s_xor_b32 exec_lo, exec_lo, s13
	s_cbranch_execz .LBB2_3378
.LBB2_3595:                             ;   in Loop: Header=BB2_2709 Depth=2
	v_cmp_ne_u16_e32 vcc_lo, 0, v40
	v_mov_b32_e32 v119, 0
	s_and_not1_b32 s12, s12, exec_lo
	s_and_b32 s14, vcc_lo, exec_lo
	s_delay_alu instid0(SALU_CYCLE_1)
	s_or_b32 s12, s12, s14
	s_or_b32 exec_lo, exec_lo, s13
	s_and_saveexec_b32 s13, s12
	s_cbranch_execnz .LBB2_3379
	s_branch .LBB2_3380
.LBB2_3596:                             ;   in Loop: Header=BB2_2709 Depth=2
	s_or_saveexec_b32 s14, s14
	v_bfrev_b32_e32 v59, 1
	s_xor_b32 exec_lo, exec_lo, s14
	s_cbranch_execz .LBB2_3416
.LBB2_3597:                             ;   in Loop: Header=BB2_2709 Depth=2
	v_cmp_ne_u16_e32 vcc_lo, 0, v14
	v_mov_b32_e32 v59, 0
	s_and_not1_b32 s13, s13, exec_lo
	s_and_b32 s44, vcc_lo, exec_lo
	s_delay_alu instid0(SALU_CYCLE_1)
	s_or_b32 s13, s13, s44
	s_or_b32 exec_lo, exec_lo, s14
	s_and_saveexec_b32 s14, s13
	s_cbranch_execnz .LBB2_3417
	s_branch .LBB2_3418
.LBB2_3598:                             ;   in Loop: Header=BB2_2709 Depth=2
	s_or_saveexec_b32 s13, s13
	v_bfrev_b32_e32 v36, 1
	s_xor_b32 exec_lo, exec_lo, s13
	s_cbranch_execz .LBB2_3434
.LBB2_3599:                             ;   in Loop: Header=BB2_2709 Depth=2
	v_cmp_ne_u16_e32 vcc_lo, 0, v14
	v_mov_b32_e32 v36, 0
	s_and_not1_b32 s12, s12, exec_lo
	s_and_b32 s14, vcc_lo, exec_lo
	s_delay_alu instid0(SALU_CYCLE_1)
	s_or_b32 s12, s12, s14
	s_or_b32 exec_lo, exec_lo, s13
	s_and_saveexec_b32 s13, s12
	s_cbranch_execnz .LBB2_3435
	s_branch .LBB2_3436
.LBB2_3600:                             ;   in Loop: Header=BB2_2709 Depth=2
	s_or_saveexec_b32 s14, s14
	v_bfrev_b32_e32 v59, 1
	s_xor_b32 exec_lo, exec_lo, s14
	s_cbranch_execz .LBB2_3472
.LBB2_3601:                             ;   in Loop: Header=BB2_2709 Depth=2
	v_cmp_ne_u16_e32 vcc_lo, 0, v60
	v_mov_b32_e32 v59, 0
	s_and_not1_b32 s13, s13, exec_lo
	s_and_b32 s44, vcc_lo, exec_lo
	s_delay_alu instid0(SALU_CYCLE_1)
	s_or_b32 s13, s13, s44
	s_or_b32 exec_lo, exec_lo, s14
	s_and_saveexec_b32 s14, s13
	s_cbranch_execnz .LBB2_3473
	s_branch .LBB2_3474
.LBB2_3602:                             ;   in Loop: Header=BB2_2709 Depth=2
	s_or_saveexec_b32 s13, s13
	v_bfrev_b32_e32 v10, 1
	s_xor_b32 exec_lo, exec_lo, s13
	s_cbranch_execz .LBB2_3490
.LBB2_3603:                             ;   in Loop: Header=BB2_2709 Depth=2
	v_cmp_ne_u16_e32 vcc_lo, 0, v40
	v_mov_b32_e32 v10, 0
	s_and_not1_b32 s12, s12, exec_lo
	s_and_b32 s14, vcc_lo, exec_lo
	s_delay_alu instid0(SALU_CYCLE_1)
	s_or_b32 s12, s12, s14
	s_or_b32 exec_lo, exec_lo, s13
	s_and_saveexec_b32 s13, s12
	s_cbranch_execnz .LBB2_3491
	s_branch .LBB2_3492
.LBB2_3604:                             ;   in Loop: Header=BB2_2633 Depth=1
	s_or_b32 exec_lo, exec_lo, s42
.LBB2_3605:                             ;   in Loop: Header=BB2_2633 Depth=1
	s_delay_alu instid0(SALU_CYCLE_1) | instskip(SKIP_3) | instid1(VALU_DEP_1)
	s_or_b32 exec_lo, exec_lo, s41
	v_dual_mov_b32 v58, 0 :: v_dual_bitop2_b32 v10, 15, v47 bitop3:0x40
	s_mov_b32 s10, 0
	s_mov_b32 s14, exec_lo
                                        ; implicit-def: $vgpr30
	v_cndmask_b32_e64 v59, v101, v10, s7
	s_delay_alu instid0(VALU_DEP_1)
	v_cmpx_ne_u32_e32 0, v59
	s_cbranch_execz .LBB2_4507
; %bb.3606:                             ;   in Loop: Header=BB2_2633 Depth=1
	v_cmp_lt_i32_e32 vcc_lo, 0, v100
	s_mov_b32 s41, exec_lo
	v_cndmask_b32_e32 v10, 0, v38, vcc_lo
	s_delay_alu instid0(VALU_DEP_1) | instskip(NEXT) | instid1(VALU_DEP_1)
	v_sub_nc_u32_e32 v10, v10, v100
	v_lshl_or_b32 v10, v10, 5, v42
	s_delay_alu instid0(VALU_DEP_1) | instskip(NEXT) | instid1(VALU_DEP_1)
	v_ashrrev_i32_e32 v11, 31, v10
	v_lshrrev_b32_e32 v11, 27, v11
	s_delay_alu instid0(VALU_DEP_1) | instskip(NEXT) | instid1(VALU_DEP_1)
	v_add_nc_u32_e32 v11, v10, v11
	v_and_b32_e32 v12, 0xffffffe0, v11
	s_delay_alu instid0(VALU_DEP_1) | instskip(SKIP_1) | instid1(VALU_DEP_2)
	v_sub_nc_u32_e32 v100, v10, v12
	v_and_b32_e32 v12, 0x1f0, v47
	v_dual_lshlrev_b32 v10, 4, v100 :: v_dual_ashrrev_i32 v11, 5, v11
	s_delay_alu instid0(VALU_DEP_1) | instskip(NEXT) | instid1(VALU_DEP_3)
	v_lshl_add_u32 v10, v11, 9, v10
	v_dual_cndmask_b32 v12, 0, v12, s7 :: v_dual_sub_nc_u32 v101, 0, v11
	s_delay_alu instid0(VALU_DEP_2) | instskip(NEXT) | instid1(VALU_DEP_2)
	v_sub_nc_u32_e32 v102, v59, v10
	v_and_or_b32 v58, 0x3ffffe00, v47, v12
	s_delay_alu instid0(VALU_DEP_2)
	v_cmpx_lt_i32_e32 15, v102
	s_cbranch_execz .LBB2_4506
; %bb.3607:                             ;   in Loop: Header=BB2_2633 Depth=1
	s_trap 2
	ds_load_b64 v[12:13], v0
	v_add_nc_u32_e32 v10, v10, v58
	s_bitcmp1_b32 s40, 0
	s_mov_b32 s42, 0
	s_cselect_b32 s43, -1, 0
	s_delay_alu instid0(VALU_DEP_1) | instskip(NEXT) | instid1(VALU_DEP_1)
	v_ashrrev_i32_e32 v11, 31, v10
	v_add_nc_u64_e32 v[80:81], v[10:11], v[68:69]
	v_add_nc_u64_e32 v[84:85], v[10:11], v[70:71]
	s_wait_dscnt 0x0
	v_add_nc_u64_e32 v[82:83], v[12:13], v[10:11]
	s_branch .LBB2_3610
.LBB2_3608:                             ;   in Loop: Header=BB2_3610 Depth=2
	s_or_b32 exec_lo, exec_lo, s10
.LBB2_3609:                             ;   in Loop: Header=BB2_3610 Depth=2
	s_delay_alu instid0(SALU_CYCLE_1)
	s_or_b32 exec_lo, exec_lo, s7
	v_lshl_or_b32 v11, v98, 8, v115
	v_dual_lshlrev_b32 v12, 16, v96 :: v_dual_lshlrev_b32 v13, 24, v30
	v_lshl_or_b32 v15, v112, 8, v103
	v_dual_lshlrev_b32 v16, 16, v113 :: v_dual_lshlrev_b32 v17, 24, v114
	;; [unrolled: 2-line block ×3, first 2 shown]
	v_lshlrev_b32_e32 v96, 24, v10
	v_lshlrev_b32_e32 v14, 16, v14
	v_lshl_or_b32 v86, v86, 8, v118
	v_or3_b32 v11, v11, v12, v13
	v_or3_b32 v10, v15, v16, v17
	v_or3_b32 v12, v30, v36, v87
	v_sub_nc_u32_e32 v102, v102, v50
	v_or3_b32 v13, v86, v14, v96
	v_add_nc_u64_e32 v[80:81], v[80:81], v[50:51]
	v_add_nc_u64_e32 v[82:83], v[82:83], v[50:51]
	v_sub_nc_u32_e32 v101, v101, v38
	v_cmp_gt_i32_e32 vcc_lo, 16, v102
	global_store_b128 v[84:85], v[10:13], off th:TH_STORE_NT
	s_wait_xcnt 0x0
	v_add_nc_u64_e32 v[84:85], v[84:85], v[50:51]
	s_or_b32 s42, vcc_lo, s42
	s_delay_alu instid0(SALU_CYCLE_1)
	s_and_not1_b32 exec_lo, exec_lo, s42
	s_cbranch_execz .LBB2_4505
.LBB2_3610:                             ;   Parent Loop BB2_2633 Depth=1
                                        ; =>  This Inner Loop Header: Depth=2
	global_load_b128 v[14:17], v[82:83], off th:TH_LOAD_NT
	global_load_b128 v[10:13], v[80:81], off th:TH_LOAD_NT
	s_mov_b32 s12, -1
	s_wait_loadcnt 0x1
	v_dual_lshlrev_b32 v87, 24, v14 :: v_dual_bitop2_b32 v30, 3, v14 bitop3:0x40
	v_bfe_i32 v98, v14, 0, 8
	v_and_b32_e32 v86, 0x7c, v14
	s_wait_loadcnt 0x0
	v_and_b32_e32 v97, 0xff, v10
	v_clz_i32_u32_e32 v36, v30
	v_bfe_i32 v99, v10, 0, 8
	v_cmp_lt_i16_e32 vcc_lo, -1, v98
	v_cmp_eq_u32_e64 s7, 0x7c, v86
	v_and_or_b32 v86, v87, s27, 0x38000000
	v_min_u32_e32 v96, 32, v36
	v_bfe_u32 v36, v14, 2, 5
	v_cndmask_b32_e32 v114, 0xff800000, v45, vcc_lo
	v_cmp_eq_u32_e32 vcc_lo, 0, v30
	v_cmp_ne_u16_e64 s11, 0, v97
	v_subrev_nc_u32_e32 v103, 29, v96
	v_cmp_eq_u32_e64 s10, 0, v36
	v_dual_cndmask_b32 v87, 0x7f800001, v114 :: v_dual_sub_nc_u32 v96, 30, v96
	s_and_b32 vcc_lo, exec_lo, s43
	v_lshlrev_b64_e32 v[112:113], v103, v[14:15]
	s_delay_alu instid0(VALU_DEP_1)
	v_and_b32_e32 v97, 3, v112
                                        ; implicit-def: $vgpr112
	s_cbranch_vccz .LBB2_3628
; %bb.3611:                             ;   in Loop: Header=BB2_3610 Depth=2
	v_mov_b32_e32 v103, 0
	s_wait_xcnt 0x0
	s_and_saveexec_b32 s12, s11
	s_cbranch_execz .LBB2_3621
; %bb.3612:                             ;   in Loop: Header=BB2_3610 Depth=2
	v_bfrev_b32_e32 v103, 1
	s_mov_b32 s13, exec_lo
	v_cmpx_ne_u16_e32 0xff80, v99
	s_cbranch_execz .LBB2_3620
; %bb.3613:                             ;   in Loop: Header=BB2_3610 Depth=2
	v_and_b32_e32 v103, 0x7c, v10
	v_and_b32_e32 v112, 3, v10
	s_delay_alu instid0(VALU_DEP_2) | instskip(SKIP_1) | instid1(SALU_CYCLE_1)
	v_cmp_ne_u32_e32 vcc_lo, 0x7c, v103
                                        ; implicit-def: $vgpr103
	s_and_saveexec_b32 s44, vcc_lo
	s_xor_b32 s44, exec_lo, s44
	s_cbranch_execz .LBB2_3617
; %bb.3614:                             ;   in Loop: Header=BB2_3610 Depth=2
	v_bfe_u32 v103, v10, 2, 5
	s_mov_b32 s45, exec_lo
	s_delay_alu instid0(VALU_DEP_1)
	v_cmpx_eq_u32_e32 0, v103
; %bb.3615:                             ;   in Loop: Header=BB2_3610 Depth=2
	v_clz_i32_u32_e32 v103, v112
	s_delay_alu instid0(VALU_DEP_1) | instskip(NEXT) | instid1(VALU_DEP_1)
	v_min_u32_e32 v103, 32, v103
	v_subrev_nc_u32_e32 v112, 29, v103
	s_delay_alu instid0(VALU_DEP_1) | instskip(NEXT) | instid1(VALU_DEP_1)
	v_lshlrev_b64_e32 v[112:113], v112, v[10:11]
	v_dual_sub_nc_u32 v103, 30, v103 :: v_dual_bitop2_b32 v112, 3, v112 bitop3:0x40
; %bb.3616:                             ;   in Loop: Header=BB2_3610 Depth=2
	s_or_b32 exec_lo, exec_lo, s45
	v_lshlrev_b32_e32 v113, 24, v10
	s_delay_alu instid0(VALU_DEP_1) | instskip(NEXT) | instid1(VALU_DEP_1)
	v_and_b32_e32 v113, 0x80000000, v113
	v_lshl_add_u32 v103, v103, 23, v113
	s_delay_alu instid0(VALU_DEP_1) | instskip(NEXT) | instid1(VALU_DEP_1)
	v_lshl_or_b32 v103, v112, 21, v103
                                        ; implicit-def: $vgpr112
	v_add_nc_u32_e32 v103, 0x38000000, v103
.LBB2_3617:                             ;   in Loop: Header=BB2_3610 Depth=2
	s_and_not1_saveexec_b32 s44, s44
; %bb.3618:                             ;   in Loop: Header=BB2_3610 Depth=2
	v_cmp_lt_i16_e32 vcc_lo, -1, v99
	v_cndmask_b32_e32 v103, 0xff800000, v45, vcc_lo
	v_cmp_eq_u32_e32 vcc_lo, 0, v112
	s_delay_alu instid0(VALU_DEP_2)
	v_cndmask_b32_e32 v103, 0x7f800001, v103, vcc_lo
; %bb.3619:                             ;   in Loop: Header=BB2_3610 Depth=2
	s_or_b32 exec_lo, exec_lo, s44
.LBB2_3620:                             ;   in Loop: Header=BB2_3610 Depth=2
	s_delay_alu instid0(SALU_CYCLE_1)
	s_or_b32 exec_lo, exec_lo, s13
.LBB2_3621:                             ;   in Loop: Header=BB2_3610 Depth=2
	s_delay_alu instid0(SALU_CYCLE_1) | instskip(SKIP_3) | instid1(VALU_DEP_1)
	s_or_b32 exec_lo, exec_lo, s12
	v_and_b32_e32 v113, 0xff, v98
	s_mov_b32 s12, 0
	s_mov_b32 s13, exec_lo
	v_cmpx_lt_i16_e32 0x7f, v113
	s_xor_b32 s13, exec_lo, s13
	s_cbranch_execz .LBB2_4457
; %bb.3622:                             ;   in Loop: Header=BB2_3610 Depth=2
	s_mov_b32 s12, -1
	s_mov_b32 s44, exec_lo
	v_cmpx_eq_u16_e32 0x80, v113
; %bb.3623:                             ;   in Loop: Header=BB2_3610 Depth=2
	s_xor_b32 s12, exec_lo, -1
; %bb.3624:                             ;   in Loop: Header=BB2_3610 Depth=2
	s_or_b32 exec_lo, exec_lo, s44
	s_delay_alu instid0(SALU_CYCLE_1)
	s_and_b32 s12, s12, exec_lo
                                        ; implicit-def: $vgpr113
	s_or_saveexec_b32 s13, s13
	v_bfrev_b32_e32 v112, 1
	s_xor_b32 exec_lo, exec_lo, s13
	s_cbranch_execnz .LBB2_4458
.LBB2_3625:                             ;   in Loop: Header=BB2_3610 Depth=2
	s_or_b32 exec_lo, exec_lo, s13
	s_and_saveexec_b32 s13, s12
.LBB2_3626:                             ;   in Loop: Header=BB2_3610 Depth=2
	v_dual_cndmask_b32 v112, v36, v96, s10 :: v_dual_cndmask_b32 v113, v30, v97, s10
	s_delay_alu instid0(VALU_DEP_1) | instskip(NEXT) | instid1(VALU_DEP_1)
	v_lshl_add_u32 v112, v112, 23, v86
	v_lshl_or_b32 v112, v113, 21, v112
	s_delay_alu instid0(VALU_DEP_1)
	v_cndmask_b32_e64 v112, v112, v87, s7
.LBB2_3627:                             ;   in Loop: Header=BB2_3610 Depth=2
	s_or_b32 exec_lo, exec_lo, s13
	s_delay_alu instid0(VALU_DEP_1) | instskip(SKIP_1) | instid1(VALU_DEP_1)
	v_dual_max_num_f32 v112, v112, v112 :: v_dual_max_num_f32 v103, v103, v103
	s_mov_b32 s12, 0
	v_max_num_f32_e32 v112, v103, v112
.LBB2_3628:                             ;   in Loop: Header=BB2_3610 Depth=2
	s_and_b32 vcc_lo, exec_lo, s12
	s_cbranch_vccz .LBB2_3646
; %bb.3629:                             ;   in Loop: Header=BB2_3610 Depth=2
	v_mov_b32_e32 v103, 0
	s_wait_xcnt 0x0
	s_and_saveexec_b32 s12, s11
	s_cbranch_execz .LBB2_3639
; %bb.3630:                             ;   in Loop: Header=BB2_3610 Depth=2
	v_bfrev_b32_e32 v103, 1
	s_mov_b32 s11, exec_lo
	v_cmpx_ne_u16_e32 0xff80, v99
	s_cbranch_execz .LBB2_3638
; %bb.3631:                             ;   in Loop: Header=BB2_3610 Depth=2
	v_and_b32_e32 v103, 0x7c, v10
	v_and_b32_e32 v112, 3, v10
	s_delay_alu instid0(VALU_DEP_2) | instskip(SKIP_1) | instid1(SALU_CYCLE_1)
	v_cmp_ne_u32_e32 vcc_lo, 0x7c, v103
                                        ; implicit-def: $vgpr103
	s_and_saveexec_b32 s13, vcc_lo
	s_xor_b32 s13, exec_lo, s13
	s_cbranch_execz .LBB2_3635
; %bb.3632:                             ;   in Loop: Header=BB2_3610 Depth=2
	v_bfe_u32 v99, v10, 2, 5
	s_mov_b32 s44, exec_lo
	s_delay_alu instid0(VALU_DEP_1)
	v_cmpx_eq_u32_e32 0, v99
; %bb.3633:                             ;   in Loop: Header=BB2_3610 Depth=2
	v_clz_i32_u32_e32 v99, v112
	s_delay_alu instid0(VALU_DEP_1) | instskip(NEXT) | instid1(VALU_DEP_1)
	v_min_u32_e32 v99, 32, v99
	v_subrev_nc_u32_e32 v103, 29, v99
	s_delay_alu instid0(VALU_DEP_1) | instskip(NEXT) | instid1(VALU_DEP_1)
	v_lshlrev_b64_e32 v[112:113], v103, v[10:11]
	v_dual_sub_nc_u32 v99, 30, v99 :: v_dual_bitop2_b32 v112, 3, v112 bitop3:0x40
; %bb.3634:                             ;   in Loop: Header=BB2_3610 Depth=2
	s_or_b32 exec_lo, exec_lo, s44
	v_lshlrev_b32_e32 v103, 24, v10
	s_delay_alu instid0(VALU_DEP_1) | instskip(NEXT) | instid1(VALU_DEP_1)
	v_and_b32_e32 v103, 0x80000000, v103
	v_lshl_add_u32 v99, v99, 23, v103
	s_delay_alu instid0(VALU_DEP_1) | instskip(NEXT) | instid1(VALU_DEP_1)
	v_lshl_or_b32 v99, v112, 21, v99
                                        ; implicit-def: $vgpr112
	v_add_nc_u32_e32 v103, 0x38000000, v99
                                        ; implicit-def: $vgpr99
.LBB2_3635:                             ;   in Loop: Header=BB2_3610 Depth=2
	s_and_not1_saveexec_b32 s13, s13
; %bb.3636:                             ;   in Loop: Header=BB2_3610 Depth=2
	v_cmp_lt_i16_e32 vcc_lo, -1, v99
	v_cndmask_b32_e32 v99, 0xff800000, v45, vcc_lo
	v_cmp_eq_u32_e32 vcc_lo, 0, v112
	s_delay_alu instid0(VALU_DEP_2)
	v_cndmask_b32_e32 v103, 0x7f800001, v99, vcc_lo
; %bb.3637:                             ;   in Loop: Header=BB2_3610 Depth=2
	s_or_b32 exec_lo, exec_lo, s13
.LBB2_3638:                             ;   in Loop: Header=BB2_3610 Depth=2
	s_delay_alu instid0(SALU_CYCLE_1)
	s_or_b32 exec_lo, exec_lo, s11
.LBB2_3639:                             ;   in Loop: Header=BB2_3610 Depth=2
	s_delay_alu instid0(SALU_CYCLE_1) | instskip(SKIP_3) | instid1(VALU_DEP_1)
	s_or_b32 exec_lo, exec_lo, s12
	v_and_b32_e32 v99, 0xff, v98
	s_mov_b32 s11, 0
	s_mov_b32 s12, exec_lo
	v_cmpx_lt_i16_e32 0x7f, v99
	s_xor_b32 s12, exec_lo, s12
	s_cbranch_execz .LBB2_4459
; %bb.3640:                             ;   in Loop: Header=BB2_3610 Depth=2
	s_mov_b32 s11, -1
	s_mov_b32 s13, exec_lo
	v_cmpx_eq_u16_e32 0x80, v99
; %bb.3641:                             ;   in Loop: Header=BB2_3610 Depth=2
	s_xor_b32 s11, exec_lo, -1
; %bb.3642:                             ;   in Loop: Header=BB2_3610 Depth=2
	s_or_b32 exec_lo, exec_lo, s13
	s_delay_alu instid0(SALU_CYCLE_1)
	s_and_b32 s11, s11, exec_lo
                                        ; implicit-def: $vgpr99
	s_or_saveexec_b32 s12, s12
	v_bfrev_b32_e32 v98, 1
	s_xor_b32 exec_lo, exec_lo, s12
	s_cbranch_execnz .LBB2_4460
.LBB2_3643:                             ;   in Loop: Header=BB2_3610 Depth=2
	s_or_b32 exec_lo, exec_lo, s12
	s_and_saveexec_b32 s12, s11
.LBB2_3644:                             ;   in Loop: Header=BB2_3610 Depth=2
	v_dual_cndmask_b32 v36, v36, v96, s10 :: v_dual_cndmask_b32 v30, v30, v97, s10
	s_delay_alu instid0(VALU_DEP_1) | instskip(NEXT) | instid1(VALU_DEP_1)
	v_lshl_add_u32 v36, v36, 23, v86
	v_lshl_or_b32 v30, v30, 21, v36
	s_delay_alu instid0(VALU_DEP_1)
	v_cndmask_b32_e64 v98, v30, v87, s7
.LBB2_3645:                             ;   in Loop: Header=BB2_3610 Depth=2
	s_or_b32 exec_lo, exec_lo, s12
	s_delay_alu instid0(VALU_DEP_1) | instskip(NEXT) | instid1(VALU_DEP_1)
	v_dual_max_num_f32 v30, v98, v98 :: v_dual_max_num_f32 v36, v103, v103
	v_min_num_f32_e32 v112, v36, v30
.LBB2_3646:                             ;   in Loop: Header=BB2_3610 Depth=2
	s_delay_alu instid0(VALU_DEP_1) | instskip(SKIP_4) | instid1(VALU_DEP_2)
	v_and_b32_e32 v86, 0x7f800000, v112
	v_dual_mov_b32 v87, v37 :: v_dual_lshrrev_b32 v30, 24, v112
	v_and_b32_e32 v36, 0x7fffff, v112
                                        ; implicit-def: $vgpr103
	s_mov_b32 s7, exec_lo
	s_wait_xcnt 0x0
	v_cmpx_ne_u64_e32 0x7f800000, v[86:87]
	s_xor_b32 s10, exec_lo, s7
	s_cbranch_execz .LBB2_3660
; %bb.3647:                             ;   in Loop: Header=BB2_3610 Depth=2
	v_and_b32_e32 v86, 0x7fffffff, v112
	v_mov_b32_e32 v87, v37
	v_and_b32_e32 v30, 0x80, v30
                                        ; implicit-def: $vgpr103
	s_mov_b32 s7, exec_lo
	s_delay_alu instid0(VALU_DEP_2)
	v_cmpx_gt_u64_e32 0x47600001, v[86:87]
	s_xor_b32 s11, exec_lo, s7
	s_cbranch_execz .LBB2_3657
; %bb.3648:                             ;   in Loop: Header=BB2_3610 Depth=2
	v_mov_b32_e32 v103, 0
	s_mov_b32 s12, exec_lo
	v_cmpx_ne_u32_e32 0, v112
	s_cbranch_execz .LBB2_3656
; %bb.3649:                             ;   in Loop: Header=BB2_3610 Depth=2
	v_bfe_u32 v98, v112, 23, 8
	v_or_b32_e32 v96, 0x800000, v36
	s_delay_alu instid0(VALU_DEP_2) | instskip(SKIP_1) | instid1(VALU_DEP_2)
	v_sub_nc_u32_e32 v86, 0x71, v98
	v_cmp_gt_u32_e32 vcc_lo, 0x72, v98
	v_cndmask_b32_e32 v86, 0, v86, vcc_lo
	v_cmp_eq_u32_e32 vcc_lo, 0, v98
	s_delay_alu instid0(VALU_DEP_2) | instskip(NEXT) | instid1(VALU_DEP_1)
	v_cndmask_b32_e64 v99, v86, 0x70, vcc_lo
	v_dual_cndmask_b32 v36, v96, v36, vcc_lo :: v_dual_add_nc_u32 v86, 21, v99
	v_add_nc_u32_e32 v97, 20, v99
	s_delay_alu instid0(VALU_DEP_2) | instskip(NEXT) | instid1(VALU_DEP_2)
	v_lshlrev_b64_e64 v[86:87], v86, -1
	v_lshlrev_b64_e64 v[96:97], v97, 1
	s_delay_alu instid0(VALU_DEP_2) | instskip(NEXT) | instid1(VALU_DEP_3)
	v_bfi_b32 v113, v87, 0, 0
	v_bfi_b32 v112, v86, 0, v36
	v_lshrrev_b64 v[86:87], v99, v[36:37]
	s_delay_alu instid0(VALU_DEP_2) | instskip(NEXT) | instid1(VALU_DEP_2)
	v_cmp_eq_u64_e64 s7, v[112:113], v[96:97]
	v_mov_b64_e32 v[96:97], v[86:87]
	s_and_saveexec_b32 s13, s7
; %bb.3650:                             ;   in Loop: Header=BB2_3610 Depth=2
	v_bfe_u32 v36, v86, 21, 1
	s_delay_alu instid0(VALU_DEP_1) | instskip(NEXT) | instid1(VALU_DEP_1)
	v_add_nc_u64_e32 v[96:97], v[86:87], v[36:37]
	v_add_nc_u64_e32 v[96:97], -1, v[96:97]
; %bb.3651:                             ;   in Loop: Header=BB2_3610 Depth=2
	s_or_b32 exec_lo, exec_lo, s13
	v_add_nc_u32_e32 v36, 0xffffff81, v98
	v_lshrrev_b32_e32 v87, 23, v86
	s_mov_b32 s7, exec_lo
	s_delay_alu instid0(VALU_DEP_2) | instskip(NEXT) | instid1(VALU_DEP_1)
	v_cndmask_b32_e64 v36, v36, 0xffffff82, vcc_lo
	v_add3_u32 v97, v99, v36, v87
	v_and_b32_e32 v36, 0x1fffff, v96
                                        ; implicit-def: $vgpr96
	s_delay_alu instid0(VALU_DEP_1) | instskip(NEXT) | instid1(VALU_DEP_1)
	v_dual_add_nc_u32 v98, 14, v97 :: v_dual_add_nc_u32 v36, v36, v86
                                        ; implicit-def: $vgpr86_vgpr87
	v_cmpx_ne_u32_e32 0, v98
	s_xor_b32 s7, exec_lo, s7
; %bb.3652:                             ;   in Loop: Header=BB2_3610 Depth=2
	s_delay_alu instid0(VALU_DEP_2) | instskip(SKIP_1) | instid1(VALU_DEP_1)
	v_cmp_lt_u64_e32 vcc_lo, 0xffffff, v[36:37]
	v_add_nc_u32_e32 v86, 15, v97
	v_cndmask_b32_e32 v96, v98, v86, vcc_lo
	v_cndmask_b32_e64 v86, 0, 1, vcc_lo
	s_delay_alu instid0(VALU_DEP_1)
	v_lshrrev_b64 v[86:87], v86, v[36:37]
; %bb.3653:                             ;   in Loop: Header=BB2_3610 Depth=2
	s_and_not1_saveexec_b32 s7, s7
; %bb.3654:                             ;   in Loop: Header=BB2_3610 Depth=2
	v_mov_b64_e32 v[86:87], v[36:37]
	v_bfe_u32 v96, v36, 23, 1
; %bb.3655:                             ;   in Loop: Header=BB2_3610 Depth=2
	s_or_b32 exec_lo, exec_lo, s7
	s_delay_alu instid0(VALU_DEP_2) | instskip(NEXT) | instid1(VALU_DEP_2)
	v_lshrrev_b64 v[86:87], 21, v[86:87]
	v_cmp_gt_i32_e32 vcc_lo, 32, v96
	v_min_i32_e32 v36, 31, v96
	v_cmp_eq_u32_e64 s7, 0, v96
	s_delay_alu instid0(VALU_DEP_2) | instskip(SKIP_1) | instid1(VALU_DEP_2)
	v_dual_cndmask_b32 v87, 0, v87 :: v_dual_lshlrev_b32 v36, 2, v36
	v_cndmask_b32_e32 v86, 3, v86, vcc_lo
	v_and_b32_e32 v36, 0xfc, v36
	s_delay_alu instid0(VALU_DEP_2) | instskip(NEXT) | instid1(VALU_DEP_2)
	v_cmp_eq_u64_e32 vcc_lo, 0, v[86:87]
	v_and_or_b32 v36, v86, 3, v36
	s_and_b32 s7, s7, vcc_lo
	s_delay_alu instid0(VALU_DEP_1) | instid1(SALU_CYCLE_1)
	v_cndmask_b32_e64 v36, v36, 0, s7
	s_delay_alu instid0(VALU_DEP_1)
	v_or_b32_e32 v103, v36, v30
.LBB2_3656:                             ;   in Loop: Header=BB2_3610 Depth=2
	s_or_b32 exec_lo, exec_lo, s12
                                        ; implicit-def: $vgpr30
.LBB2_3657:                             ;   in Loop: Header=BB2_3610 Depth=2
	s_and_not1_saveexec_b32 s7, s11
; %bb.3658:                             ;   in Loop: Header=BB2_3610 Depth=2
	v_or_b32_e32 v103, 0x7b, v30
; %bb.3659:                             ;   in Loop: Header=BB2_3610 Depth=2
	s_or_b32 exec_lo, exec_lo, s7
                                        ; implicit-def: $vgpr112
                                        ; implicit-def: $vgpr30
.LBB2_3660:                             ;   in Loop: Header=BB2_3610 Depth=2
	s_and_not1_saveexec_b32 s7, s10
	s_cbranch_execz .LBB2_3666
; %bb.3661:                             ;   in Loop: Header=BB2_3610 Depth=2
	s_mov_b32 s10, exec_lo
                                        ; implicit-def: $vgpr103
	v_cmpx_ne_u64_e32 0, v[36:37]
	s_xor_b32 s10, exec_lo, s10
; %bb.3662:                             ;   in Loop: Header=BB2_3610 Depth=2
	v_or_b32_e32 v103, 0x7f, v30
                                        ; implicit-def: $vgpr112
; %bb.3663:                             ;   in Loop: Header=BB2_3610 Depth=2
	s_and_not1_saveexec_b32 s10, s10
; %bb.3664:                             ;   in Loop: Header=BB2_3610 Depth=2
	v_cmp_lt_i32_e32 vcc_lo, -1, v112
	v_cndmask_b32_e32 v103, 0xfc, v46, vcc_lo
; %bb.3665:                             ;   in Loop: Header=BB2_3610 Depth=2
	s_or_b32 exec_lo, exec_lo, s10
.LBB2_3666:                             ;   in Loop: Header=BB2_3610 Depth=2
	s_delay_alu instid0(SALU_CYCLE_1) | instskip(SKIP_3) | instid1(VALU_DEP_2)
	s_or_b32 exec_lo, exec_lo, s7
	v_lshrrev_b16 v36, 8, v14
	v_cmp_lt_i16_e32 vcc_lo, -1, v14
	s_mov_b32 s12, -1
	v_and_b32_e32 v87, 0xffff, v36
	s_delay_alu instid0(VALU_DEP_1) | instskip(SKIP_2) | instid1(VALU_DEP_3)
	v_dual_lshlrev_b32 v97, 24, v36 :: v_dual_bitop2_b32 v30, 3, v87 bitop3:0x40
	v_and_b32_e32 v116, 0x7c, v87
	v_bfe_u32 v96, v87, 2, 5
                                        ; implicit-def: $vgpr87
	v_and_or_b32 v97, v97, s27, 0x38000000
	s_delay_alu instid0(VALU_DEP_4) | instskip(NEXT) | instid1(VALU_DEP_4)
	v_clz_i32_u32_e32 v86, v30
	v_cmp_eq_u32_e64 s7, 0x7c, v116
	s_delay_alu instid0(VALU_DEP_4) | instskip(NEXT) | instid1(VALU_DEP_3)
	v_cmp_eq_u32_e64 s10, 0, v96
	v_min_u32_e32 v99, 32, v86
	v_lshrrev_b16 v86, 8, v10
	v_cndmask_b32_e32 v98, 0xff800000, v45, vcc_lo
	v_cmp_eq_u32_e32 vcc_lo, 0, v30
	s_delay_alu instid0(VALU_DEP_4) | instskip(NEXT) | instid1(VALU_DEP_4)
	v_subrev_nc_u32_e32 v112, 29, v99
	v_and_b32_e32 v113, 0xffff, v86
	v_cmp_ne_u16_e64 s11, 0, v86
	v_dual_cndmask_b32 v98, 0x7f800001, v98 :: v_dual_sub_nc_u32 v99, 30, v99
	s_delay_alu instid0(VALU_DEP_4) | instskip(SKIP_1) | instid1(VALU_DEP_1)
	v_lshlrev_b64_e32 v[114:115], v112, v[36:37]
	s_and_b32 vcc_lo, exec_lo, s43
	v_and_b32_e32 v112, 3, v114
	s_cbranch_vccz .LBB2_3684
; %bb.3667:                             ;   in Loop: Header=BB2_3610 Depth=2
	v_mov_b32_e32 v87, 0
	s_and_saveexec_b32 s12, s11
	s_cbranch_execz .LBB2_3677
; %bb.3668:                             ;   in Loop: Header=BB2_3610 Depth=2
	v_bfrev_b32_e32 v87, 1
	s_mov_b32 s13, exec_lo
	v_cmpx_ne_u16_e32 0x80, v86
	s_cbranch_execz .LBB2_3676
; %bb.3669:                             ;   in Loop: Header=BB2_3610 Depth=2
	v_and_b32_e32 v87, 0x7c, v113
	v_and_b32_e32 v114, 3, v113
	s_delay_alu instid0(VALU_DEP_2) | instskip(SKIP_1) | instid1(SALU_CYCLE_1)
	v_cmp_ne_u32_e32 vcc_lo, 0x7c, v87
                                        ; implicit-def: $vgpr87
	s_and_saveexec_b32 s44, vcc_lo
	s_xor_b32 s44, exec_lo, s44
	s_cbranch_execz .LBB2_3673
; %bb.3670:                             ;   in Loop: Header=BB2_3610 Depth=2
	v_bfe_u32 v87, v113, 2, 5
	s_mov_b32 s45, exec_lo
	s_delay_alu instid0(VALU_DEP_1)
	v_cmpx_eq_u32_e32 0, v87
; %bb.3671:                             ;   in Loop: Header=BB2_3610 Depth=2
	v_clz_i32_u32_e32 v87, v114
	s_delay_alu instid0(VALU_DEP_1) | instskip(SKIP_1) | instid1(VALU_DEP_2)
	v_min_u32_e32 v116, 32, v87
	v_mov_b32_e32 v87, v37
	v_subrev_nc_u32_e32 v114, 29, v116
	s_delay_alu instid0(VALU_DEP_1) | instskip(NEXT) | instid1(VALU_DEP_1)
	v_lshlrev_b64_e32 v[114:115], v114, v[86:87]
	v_dual_sub_nc_u32 v87, 30, v116 :: v_dual_bitop2_b32 v114, 3, v114 bitop3:0x40
; %bb.3672:                             ;   in Loop: Header=BB2_3610 Depth=2
	s_or_b32 exec_lo, exec_lo, s45
	v_lshlrev_b32_e32 v115, 16, v10
	s_delay_alu instid0(VALU_DEP_1) | instskip(NEXT) | instid1(VALU_DEP_1)
	v_and_b32_e32 v115, 0x80000000, v115
	v_lshl_add_u32 v87, v87, 23, v115
	s_delay_alu instid0(VALU_DEP_1) | instskip(NEXT) | instid1(VALU_DEP_1)
	v_lshl_or_b32 v87, v114, 21, v87
                                        ; implicit-def: $vgpr114
	v_add_nc_u32_e32 v87, 0x38000000, v87
.LBB2_3673:                             ;   in Loop: Header=BB2_3610 Depth=2
	s_and_not1_saveexec_b32 s44, s44
; %bb.3674:                             ;   in Loop: Header=BB2_3610 Depth=2
	v_cmp_lt_i16_e32 vcc_lo, -1, v10
	v_cndmask_b32_e32 v87, 0xff800000, v45, vcc_lo
	v_cmp_eq_u32_e32 vcc_lo, 0, v114
	s_delay_alu instid0(VALU_DEP_2)
	v_cndmask_b32_e32 v87, 0x7f800001, v87, vcc_lo
; %bb.3675:                             ;   in Loop: Header=BB2_3610 Depth=2
	s_or_b32 exec_lo, exec_lo, s44
.LBB2_3676:                             ;   in Loop: Header=BB2_3610 Depth=2
	s_delay_alu instid0(SALU_CYCLE_1)
	s_or_b32 exec_lo, exec_lo, s13
.LBB2_3677:                             ;   in Loop: Header=BB2_3610 Depth=2
	s_delay_alu instid0(SALU_CYCLE_1)
	s_or_b32 exec_lo, exec_lo, s12
	s_mov_b32 s12, 0
	s_mov_b32 s13, exec_lo
	v_cmpx_lt_i16_e32 0x7f, v36
	s_xor_b32 s13, exec_lo, s13
	s_cbranch_execz .LBB2_4461
; %bb.3678:                             ;   in Loop: Header=BB2_3610 Depth=2
	s_mov_b32 s12, -1
	s_mov_b32 s44, exec_lo
	v_cmpx_eq_u16_e32 0x80, v36
; %bb.3679:                             ;   in Loop: Header=BB2_3610 Depth=2
	s_xor_b32 s12, exec_lo, -1
; %bb.3680:                             ;   in Loop: Header=BB2_3610 Depth=2
	s_or_b32 exec_lo, exec_lo, s44
	s_delay_alu instid0(SALU_CYCLE_1)
	s_and_b32 s12, s12, exec_lo
	s_or_saveexec_b32 s13, s13
	v_bfrev_b32_e32 v114, 1
	s_xor_b32 exec_lo, exec_lo, s13
	s_cbranch_execnz .LBB2_4462
.LBB2_3681:                             ;   in Loop: Header=BB2_3610 Depth=2
	s_or_b32 exec_lo, exec_lo, s13
	s_and_saveexec_b32 s13, s12
.LBB2_3682:                             ;   in Loop: Header=BB2_3610 Depth=2
	v_dual_cndmask_b32 v114, v96, v99, s10 :: v_dual_cndmask_b32 v115, v30, v112, s10
	s_delay_alu instid0(VALU_DEP_1) | instskip(NEXT) | instid1(VALU_DEP_1)
	v_lshl_add_u32 v114, v114, 23, v97
	v_lshl_or_b32 v114, v115, 21, v114
	s_delay_alu instid0(VALU_DEP_1)
	v_cndmask_b32_e64 v114, v114, v98, s7
.LBB2_3683:                             ;   in Loop: Header=BB2_3610 Depth=2
	s_or_b32 exec_lo, exec_lo, s13
	s_delay_alu instid0(VALU_DEP_1) | instskip(SKIP_1) | instid1(VALU_DEP_1)
	v_dual_max_num_f32 v114, v114, v114 :: v_dual_max_num_f32 v87, v87, v87
	s_mov_b32 s12, 0
	v_max_num_f32_e32 v87, v87, v114
.LBB2_3684:                             ;   in Loop: Header=BB2_3610 Depth=2
	s_and_b32 vcc_lo, exec_lo, s12
	s_cbranch_vccz .LBB2_3702
; %bb.3685:                             ;   in Loop: Header=BB2_3610 Depth=2
	v_mov_b32_e32 v87, 0
	s_and_saveexec_b32 s12, s11
	s_cbranch_execz .LBB2_3695
; %bb.3686:                             ;   in Loop: Header=BB2_3610 Depth=2
	v_bfrev_b32_e32 v87, 1
	s_mov_b32 s11, exec_lo
	v_cmpx_ne_u16_e32 0x80, v86
	s_cbranch_execz .LBB2_3694
; %bb.3687:                             ;   in Loop: Header=BB2_3610 Depth=2
	v_and_b32_e32 v87, 0x7c, v113
	v_and_b32_e32 v114, 3, v113
	s_delay_alu instid0(VALU_DEP_2) | instskip(SKIP_1) | instid1(SALU_CYCLE_1)
	v_cmp_ne_u32_e32 vcc_lo, 0x7c, v87
                                        ; implicit-def: $vgpr87
	s_and_saveexec_b32 s13, vcc_lo
	s_xor_b32 s13, exec_lo, s13
	s_cbranch_execz .LBB2_3691
; %bb.3688:                             ;   in Loop: Header=BB2_3610 Depth=2
	v_bfe_u32 v87, v113, 2, 5
	s_mov_b32 s44, exec_lo
	s_delay_alu instid0(VALU_DEP_1)
	v_cmpx_eq_u32_e32 0, v87
; %bb.3689:                             ;   in Loop: Header=BB2_3610 Depth=2
	v_clz_i32_u32_e32 v87, v114
	s_delay_alu instid0(VALU_DEP_1) | instskip(SKIP_1) | instid1(VALU_DEP_2)
	v_min_u32_e32 v113, 32, v87
	v_mov_b32_e32 v87, v37
	v_subrev_nc_u32_e32 v114, 29, v113
	s_delay_alu instid0(VALU_DEP_1) | instskip(NEXT) | instid1(VALU_DEP_1)
	v_lshlrev_b64_e32 v[86:87], v114, v[86:87]
	v_dual_sub_nc_u32 v87, 30, v113 :: v_dual_bitop2_b32 v114, 3, v86 bitop3:0x40
; %bb.3690:                             ;   in Loop: Header=BB2_3610 Depth=2
	s_or_b32 exec_lo, exec_lo, s44
	v_lshlrev_b32_e32 v86, 16, v10
	s_delay_alu instid0(VALU_DEP_1) | instskip(NEXT) | instid1(VALU_DEP_1)
	v_and_b32_e32 v86, 0x80000000, v86
	v_lshl_add_u32 v86, v87, 23, v86
	s_delay_alu instid0(VALU_DEP_1) | instskip(NEXT) | instid1(VALU_DEP_1)
	v_lshl_or_b32 v86, v114, 21, v86
                                        ; implicit-def: $vgpr114
	v_add_nc_u32_e32 v87, 0x38000000, v86
.LBB2_3691:                             ;   in Loop: Header=BB2_3610 Depth=2
	s_and_not1_saveexec_b32 s13, s13
; %bb.3692:                             ;   in Loop: Header=BB2_3610 Depth=2
	v_cmp_lt_i16_e32 vcc_lo, -1, v10
	v_cndmask_b32_e32 v86, 0xff800000, v45, vcc_lo
	v_cmp_eq_u32_e32 vcc_lo, 0, v114
	s_delay_alu instid0(VALU_DEP_2)
	v_cndmask_b32_e32 v87, 0x7f800001, v86, vcc_lo
; %bb.3693:                             ;   in Loop: Header=BB2_3610 Depth=2
	s_or_b32 exec_lo, exec_lo, s13
.LBB2_3694:                             ;   in Loop: Header=BB2_3610 Depth=2
	s_delay_alu instid0(SALU_CYCLE_1)
	s_or_b32 exec_lo, exec_lo, s11
.LBB2_3695:                             ;   in Loop: Header=BB2_3610 Depth=2
	s_delay_alu instid0(SALU_CYCLE_1)
	s_or_b32 exec_lo, exec_lo, s12
	s_mov_b32 s11, 0
	s_mov_b32 s12, exec_lo
	v_cmpx_lt_i16_e32 0x7f, v36
	s_xor_b32 s12, exec_lo, s12
	s_cbranch_execz .LBB2_4463
; %bb.3696:                             ;   in Loop: Header=BB2_3610 Depth=2
	s_mov_b32 s11, -1
	s_mov_b32 s13, exec_lo
	v_cmpx_eq_u16_e32 0x80, v36
; %bb.3697:                             ;   in Loop: Header=BB2_3610 Depth=2
	s_xor_b32 s11, exec_lo, -1
; %bb.3698:                             ;   in Loop: Header=BB2_3610 Depth=2
	s_or_b32 exec_lo, exec_lo, s13
	s_delay_alu instid0(SALU_CYCLE_1)
	s_and_b32 s11, s11, exec_lo
	s_or_saveexec_b32 s12, s12
	v_bfrev_b32_e32 v86, 1
	s_xor_b32 exec_lo, exec_lo, s12
	s_cbranch_execnz .LBB2_4464
.LBB2_3699:                             ;   in Loop: Header=BB2_3610 Depth=2
	s_or_b32 exec_lo, exec_lo, s12
	s_and_saveexec_b32 s12, s11
.LBB2_3700:                             ;   in Loop: Header=BB2_3610 Depth=2
	v_dual_cndmask_b32 v36, v96, v99, s10 :: v_dual_cndmask_b32 v30, v30, v112, s10
	s_delay_alu instid0(VALU_DEP_1) | instskip(NEXT) | instid1(VALU_DEP_1)
	v_lshl_add_u32 v36, v36, 23, v97
	v_lshl_or_b32 v30, v30, 21, v36
	s_delay_alu instid0(VALU_DEP_1)
	v_cndmask_b32_e64 v86, v30, v98, s7
.LBB2_3701:                             ;   in Loop: Header=BB2_3610 Depth=2
	s_or_b32 exec_lo, exec_lo, s12
	s_delay_alu instid0(VALU_DEP_1) | instskip(NEXT) | instid1(VALU_DEP_1)
	v_dual_max_num_f32 v30, v86, v86 :: v_dual_max_num_f32 v36, v87, v87
	v_min_num_f32_e32 v87, v36, v30
.LBB2_3702:                             ;   in Loop: Header=BB2_3610 Depth=2
	s_delay_alu instid0(VALU_DEP_1) | instskip(SKIP_3) | instid1(VALU_DEP_2)
	v_and_b32_e32 v96, 0x7f800000, v87
	v_dual_mov_b32 v97, v37 :: v_dual_lshrrev_b32 v30, 24, v87
	v_and_b32_e32 v36, 0x7fffff, v87
                                        ; implicit-def: $vgpr112
	s_mov_b32 s7, exec_lo
	v_cmpx_ne_u64_e32 0x7f800000, v[96:97]
	s_xor_b32 s10, exec_lo, s7
	s_cbranch_execz .LBB2_3716
; %bb.3703:                             ;   in Loop: Header=BB2_3610 Depth=2
	v_and_b32_e32 v96, 0x7fffffff, v87
	v_mov_b32_e32 v97, v37
	v_and_b32_e32 v30, 0x80, v30
                                        ; implicit-def: $vgpr112
	s_mov_b32 s7, exec_lo
	s_delay_alu instid0(VALU_DEP_2)
	v_cmpx_gt_u64_e32 0x47600001, v[96:97]
	s_xor_b32 s11, exec_lo, s7
	s_cbranch_execz .LBB2_3713
; %bb.3704:                             ;   in Loop: Header=BB2_3610 Depth=2
	v_mov_b32_e32 v112, 0
	s_mov_b32 s12, exec_lo
	v_cmpx_ne_u32_e32 0, v87
	s_cbranch_execz .LBB2_3712
; %bb.3705:                             ;   in Loop: Header=BB2_3610 Depth=2
	v_bfe_u32 v98, v87, 23, 8
	v_or_b32_e32 v96, 0x800000, v36
	s_delay_alu instid0(VALU_DEP_2) | instskip(SKIP_1) | instid1(VALU_DEP_2)
	v_sub_nc_u32_e32 v86, 0x71, v98
	v_cmp_gt_u32_e32 vcc_lo, 0x72, v98
	v_cndmask_b32_e32 v86, 0, v86, vcc_lo
	v_cmp_eq_u32_e32 vcc_lo, 0, v98
	s_delay_alu instid0(VALU_DEP_2) | instskip(NEXT) | instid1(VALU_DEP_1)
	v_cndmask_b32_e64 v99, v86, 0x70, vcc_lo
	v_dual_cndmask_b32 v36, v96, v36, vcc_lo :: v_dual_add_nc_u32 v86, 21, v99
	v_add_nc_u32_e32 v97, 20, v99
	s_delay_alu instid0(VALU_DEP_2) | instskip(NEXT) | instid1(VALU_DEP_2)
	v_lshlrev_b64_e64 v[86:87], v86, -1
	v_lshlrev_b64_e64 v[96:97], v97, 1
	s_delay_alu instid0(VALU_DEP_2) | instskip(NEXT) | instid1(VALU_DEP_3)
	v_bfi_b32 v113, v87, 0, 0
	v_bfi_b32 v112, v86, 0, v36
	v_lshrrev_b64 v[86:87], v99, v[36:37]
	s_delay_alu instid0(VALU_DEP_2) | instskip(NEXT) | instid1(VALU_DEP_2)
	v_cmp_eq_u64_e64 s7, v[112:113], v[96:97]
	v_mov_b64_e32 v[96:97], v[86:87]
	s_and_saveexec_b32 s13, s7
; %bb.3706:                             ;   in Loop: Header=BB2_3610 Depth=2
	v_bfe_u32 v36, v86, 21, 1
	s_delay_alu instid0(VALU_DEP_1) | instskip(NEXT) | instid1(VALU_DEP_1)
	v_add_nc_u64_e32 v[96:97], v[86:87], v[36:37]
	v_add_nc_u64_e32 v[96:97], -1, v[96:97]
; %bb.3707:                             ;   in Loop: Header=BB2_3610 Depth=2
	s_or_b32 exec_lo, exec_lo, s13
	v_add_nc_u32_e32 v36, 0xffffff81, v98
	v_lshrrev_b32_e32 v87, 23, v86
	s_mov_b32 s7, exec_lo
	s_delay_alu instid0(VALU_DEP_2) | instskip(NEXT) | instid1(VALU_DEP_1)
	v_cndmask_b32_e64 v36, v36, 0xffffff82, vcc_lo
	v_add3_u32 v97, v99, v36, v87
	v_and_b32_e32 v36, 0x1fffff, v96
                                        ; implicit-def: $vgpr96
	s_delay_alu instid0(VALU_DEP_1) | instskip(NEXT) | instid1(VALU_DEP_1)
	v_dual_add_nc_u32 v98, 14, v97 :: v_dual_add_nc_u32 v36, v36, v86
                                        ; implicit-def: $vgpr86_vgpr87
	v_cmpx_ne_u32_e32 0, v98
	s_xor_b32 s7, exec_lo, s7
; %bb.3708:                             ;   in Loop: Header=BB2_3610 Depth=2
	s_delay_alu instid0(VALU_DEP_2) | instskip(SKIP_1) | instid1(VALU_DEP_1)
	v_cmp_lt_u64_e32 vcc_lo, 0xffffff, v[36:37]
	v_add_nc_u32_e32 v86, 15, v97
	v_cndmask_b32_e32 v96, v98, v86, vcc_lo
	v_cndmask_b32_e64 v86, 0, 1, vcc_lo
	s_delay_alu instid0(VALU_DEP_1)
	v_lshrrev_b64 v[86:87], v86, v[36:37]
; %bb.3709:                             ;   in Loop: Header=BB2_3610 Depth=2
	s_and_not1_saveexec_b32 s7, s7
; %bb.3710:                             ;   in Loop: Header=BB2_3610 Depth=2
	v_mov_b64_e32 v[86:87], v[36:37]
	v_bfe_u32 v96, v36, 23, 1
; %bb.3711:                             ;   in Loop: Header=BB2_3610 Depth=2
	s_or_b32 exec_lo, exec_lo, s7
	s_delay_alu instid0(VALU_DEP_2) | instskip(NEXT) | instid1(VALU_DEP_2)
	v_lshrrev_b64 v[86:87], 21, v[86:87]
	v_cmp_gt_i32_e32 vcc_lo, 32, v96
	v_min_i32_e32 v36, 31, v96
	v_cmp_eq_u32_e64 s7, 0, v96
	s_delay_alu instid0(VALU_DEP_2) | instskip(SKIP_1) | instid1(VALU_DEP_2)
	v_dual_cndmask_b32 v87, 0, v87 :: v_dual_lshlrev_b32 v36, 2, v36
	v_cndmask_b32_e32 v86, 3, v86, vcc_lo
	v_and_b32_e32 v36, 0xfc, v36
	s_delay_alu instid0(VALU_DEP_2) | instskip(NEXT) | instid1(VALU_DEP_2)
	v_cmp_eq_u64_e32 vcc_lo, 0, v[86:87]
	v_and_or_b32 v36, v86, 3, v36
	s_and_b32 s7, s7, vcc_lo
	s_delay_alu instid0(VALU_DEP_1) | instid1(SALU_CYCLE_1)
	v_cndmask_b32_e64 v36, v36, 0, s7
	s_delay_alu instid0(VALU_DEP_1)
	v_or_b32_e32 v112, v36, v30
.LBB2_3712:                             ;   in Loop: Header=BB2_3610 Depth=2
	s_or_b32 exec_lo, exec_lo, s12
                                        ; implicit-def: $vgpr30
.LBB2_3713:                             ;   in Loop: Header=BB2_3610 Depth=2
	s_and_not1_saveexec_b32 s7, s11
; %bb.3714:                             ;   in Loop: Header=BB2_3610 Depth=2
	v_or_b32_e32 v112, 0x7b, v30
; %bb.3715:                             ;   in Loop: Header=BB2_3610 Depth=2
	s_or_b32 exec_lo, exec_lo, s7
                                        ; implicit-def: $vgpr87
                                        ; implicit-def: $vgpr30
.LBB2_3716:                             ;   in Loop: Header=BB2_3610 Depth=2
	s_and_not1_saveexec_b32 s7, s10
	s_cbranch_execz .LBB2_3722
; %bb.3717:                             ;   in Loop: Header=BB2_3610 Depth=2
	s_mov_b32 s10, exec_lo
                                        ; implicit-def: $vgpr112
	v_cmpx_ne_u64_e32 0, v[36:37]
	s_xor_b32 s10, exec_lo, s10
; %bb.3718:                             ;   in Loop: Header=BB2_3610 Depth=2
	v_or_b32_e32 v112, 0x7f, v30
                                        ; implicit-def: $vgpr87
; %bb.3719:                             ;   in Loop: Header=BB2_3610 Depth=2
	s_and_not1_saveexec_b32 s10, s10
; %bb.3720:                             ;   in Loop: Header=BB2_3610 Depth=2
	v_cmp_lt_i32_e32 vcc_lo, -1, v87
	v_cndmask_b32_e32 v112, 0xfc, v46, vcc_lo
; %bb.3721:                             ;   in Loop: Header=BB2_3610 Depth=2
	s_or_b32 exec_lo, exec_lo, s10
.LBB2_3722:                             ;   in Loop: Header=BB2_3610 Depth=2
	s_delay_alu instid0(SALU_CYCLE_1) | instskip(SKIP_4) | instid1(VALU_DEP_4)
	s_or_b32 exec_lo, exec_lo, s7
	v_bfe_u32 v36, v14, 16, 2
	v_dual_lshrrev_b32 v96, 16, v14 :: v_dual_lshlrev_b32 v98, 8, v14
	v_bfe_u32 v86, v14, 18, 5
	v_and_b32_e32 v87, 0x7c0000, v14
	v_clz_i32_u32_e32 v30, v36
	s_delay_alu instid0(VALU_DEP_4)
	v_bfe_i32 v99, v96, 0, 8
	s_mov_b32 s12, -1
	v_cmp_eq_u32_e64 s10, 0, v86
	v_cmp_eq_u32_e64 s7, 0x7c0000, v87
	v_min_u32_e32 v97, 32, v30
	v_lshrrev_b32_e32 v30, 16, v10
	v_cmp_lt_i16_e32 vcc_lo, -1, v99
	v_and_or_b32 v87, v98, s27, 0x38000000
	s_delay_alu instid0(VALU_DEP_4) | instskip(NEXT) | instid1(VALU_DEP_1)
	v_subrev_nc_u32_e32 v114, 29, v97
	v_lshlrev_b64_e32 v[114:115], v114, v[96:97]
	v_cndmask_b32_e32 v96, 0xff800000, v45, vcc_lo
	v_sub_nc_u32_e32 v97, 30, v97
	v_and_b32_e32 v113, 0xff, v30
	v_cmp_eq_u32_e32 vcc_lo, 0, v36
	v_and_b32_e32 v98, 3, v114
	s_delay_alu instid0(VALU_DEP_3)
	v_cmp_ne_u16_e64 s11, 0, v113
	v_cndmask_b32_e32 v96, 0x7f800001, v96, vcc_lo
	s_and_b32 vcc_lo, exec_lo, s43
                                        ; implicit-def: $vgpr114
	s_cbranch_vccz .LBB2_3740
; %bb.3723:                             ;   in Loop: Header=BB2_3610 Depth=2
	v_mov_b32_e32 v114, 0
	s_and_saveexec_b32 s12, s11
	s_cbranch_execz .LBB2_3733
; %bb.3724:                             ;   in Loop: Header=BB2_3610 Depth=2
	v_bfrev_b32_e32 v114, 1
	s_mov_b32 s13, exec_lo
	v_cmpx_ne_u16_e32 0x80, v113
	s_cbranch_execz .LBB2_3732
; %bb.3725:                             ;   in Loop: Header=BB2_3610 Depth=2
	v_and_b32_e32 v114, 0x7c0000, v10
	v_bfe_u32 v115, v10, 16, 2
	s_delay_alu instid0(VALU_DEP_2) | instskip(SKIP_1) | instid1(SALU_CYCLE_1)
	v_cmp_ne_u32_e32 vcc_lo, 0x7c0000, v114
                                        ; implicit-def: $vgpr114
	s_and_saveexec_b32 s44, vcc_lo
	s_xor_b32 s44, exec_lo, s44
	s_cbranch_execz .LBB2_3729
; %bb.3726:                             ;   in Loop: Header=BB2_3610 Depth=2
	v_bfe_u32 v114, v10, 18, 5
	s_mov_b32 s45, exec_lo
	s_delay_alu instid0(VALU_DEP_1)
	v_cmpx_eq_u32_e32 0, v114
; %bb.3727:                             ;   in Loop: Header=BB2_3610 Depth=2
	v_clz_i32_u32_e32 v114, v115
	s_delay_alu instid0(VALU_DEP_1) | instskip(NEXT) | instid1(VALU_DEP_1)
	v_min_u32_e32 v114, 32, v114
	v_subrev_nc_u32_e32 v115, 29, v114
	s_delay_alu instid0(VALU_DEP_1) | instskip(NEXT) | instid1(VALU_DEP_1)
	v_lshlrev_b64_e32 v[116:117], v115, v[30:31]
	v_dual_sub_nc_u32 v114, 30, v114 :: v_dual_bitop2_b32 v115, 3, v116 bitop3:0x40
; %bb.3728:                             ;   in Loop: Header=BB2_3610 Depth=2
	s_or_b32 exec_lo, exec_lo, s45
	v_lshlrev_b32_e32 v116, 24, v30
	s_delay_alu instid0(VALU_DEP_1) | instskip(NEXT) | instid1(VALU_DEP_1)
	v_and_b32_e32 v116, 0x80000000, v116
	v_lshl_add_u32 v114, v114, 23, v116
	s_delay_alu instid0(VALU_DEP_1) | instskip(NEXT) | instid1(VALU_DEP_1)
	v_lshl_or_b32 v114, v115, 21, v114
                                        ; implicit-def: $vgpr115
	v_add_nc_u32_e32 v114, 0x38000000, v114
.LBB2_3729:                             ;   in Loop: Header=BB2_3610 Depth=2
	s_and_not1_saveexec_b32 s44, s44
; %bb.3730:                             ;   in Loop: Header=BB2_3610 Depth=2
	v_bfe_i32 v114, v30, 0, 8
	s_delay_alu instid0(VALU_DEP_1) | instskip(SKIP_2) | instid1(VALU_DEP_2)
	v_cmp_lt_i16_e32 vcc_lo, -1, v114
	v_cndmask_b32_e32 v114, 0xff800000, v45, vcc_lo
	v_cmp_eq_u32_e32 vcc_lo, 0, v115
	v_cndmask_b32_e32 v114, 0x7f800001, v114, vcc_lo
; %bb.3731:                             ;   in Loop: Header=BB2_3610 Depth=2
	s_or_b32 exec_lo, exec_lo, s44
.LBB2_3732:                             ;   in Loop: Header=BB2_3610 Depth=2
	s_delay_alu instid0(SALU_CYCLE_1)
	s_or_b32 exec_lo, exec_lo, s13
.LBB2_3733:                             ;   in Loop: Header=BB2_3610 Depth=2
	s_delay_alu instid0(SALU_CYCLE_1) | instskip(SKIP_3) | instid1(VALU_DEP_1)
	s_or_b32 exec_lo, exec_lo, s12
	v_and_b32_e32 v116, 0xff, v99
	s_mov_b32 s12, 0
	s_mov_b32 s13, exec_lo
	v_cmpx_lt_i16_e32 0x7f, v116
	s_xor_b32 s13, exec_lo, s13
	s_cbranch_execz .LBB2_4465
; %bb.3734:                             ;   in Loop: Header=BB2_3610 Depth=2
	s_mov_b32 s12, -1
	s_mov_b32 s44, exec_lo
	v_cmpx_eq_u16_e32 0x80, v116
; %bb.3735:                             ;   in Loop: Header=BB2_3610 Depth=2
	s_xor_b32 s12, exec_lo, -1
; %bb.3736:                             ;   in Loop: Header=BB2_3610 Depth=2
	s_or_b32 exec_lo, exec_lo, s44
	s_delay_alu instid0(SALU_CYCLE_1)
	s_and_b32 s12, s12, exec_lo
                                        ; implicit-def: $vgpr116
	s_or_saveexec_b32 s13, s13
	v_bfrev_b32_e32 v115, 1
	s_xor_b32 exec_lo, exec_lo, s13
	s_cbranch_execnz .LBB2_4466
.LBB2_3737:                             ;   in Loop: Header=BB2_3610 Depth=2
	s_or_b32 exec_lo, exec_lo, s13
	s_and_saveexec_b32 s13, s12
.LBB2_3738:                             ;   in Loop: Header=BB2_3610 Depth=2
	v_dual_cndmask_b32 v115, v86, v97, s10 :: v_dual_cndmask_b32 v116, v36, v98, s10
	s_delay_alu instid0(VALU_DEP_1) | instskip(NEXT) | instid1(VALU_DEP_1)
	v_lshl_add_u32 v115, v115, 23, v87
	v_lshl_or_b32 v115, v116, 21, v115
	s_delay_alu instid0(VALU_DEP_1)
	v_cndmask_b32_e64 v115, v115, v96, s7
.LBB2_3739:                             ;   in Loop: Header=BB2_3610 Depth=2
	s_or_b32 exec_lo, exec_lo, s13
	s_delay_alu instid0(VALU_DEP_1) | instskip(SKIP_1) | instid1(VALU_DEP_1)
	v_dual_max_num_f32 v115, v115, v115 :: v_dual_max_num_f32 v114, v114, v114
	s_mov_b32 s12, 0
	v_max_num_f32_e32 v114, v114, v115
.LBB2_3740:                             ;   in Loop: Header=BB2_3610 Depth=2
	s_and_b32 vcc_lo, exec_lo, s12
	s_cbranch_vccz .LBB2_3758
; %bb.3741:                             ;   in Loop: Header=BB2_3610 Depth=2
	v_mov_b32_e32 v114, 0
	s_and_saveexec_b32 s12, s11
	s_cbranch_execz .LBB2_3751
; %bb.3742:                             ;   in Loop: Header=BB2_3610 Depth=2
	v_bfrev_b32_e32 v114, 1
	s_mov_b32 s11, exec_lo
	v_cmpx_ne_u16_e32 0x80, v113
	s_cbranch_execz .LBB2_3750
; %bb.3743:                             ;   in Loop: Header=BB2_3610 Depth=2
	v_and_b32_e32 v114, 0x7c0000, v10
	v_bfe_u32 v113, v10, 16, 2
	s_delay_alu instid0(VALU_DEP_2) | instskip(SKIP_1) | instid1(SALU_CYCLE_1)
	v_cmp_ne_u32_e32 vcc_lo, 0x7c0000, v114
                                        ; implicit-def: $vgpr114
	s_and_saveexec_b32 s13, vcc_lo
	s_xor_b32 s13, exec_lo, s13
	s_cbranch_execz .LBB2_3747
; %bb.3744:                             ;   in Loop: Header=BB2_3610 Depth=2
	v_bfe_u32 v114, v10, 18, 5
	s_mov_b32 s44, exec_lo
	s_delay_alu instid0(VALU_DEP_1)
	v_cmpx_eq_u32_e32 0, v114
; %bb.3745:                             ;   in Loop: Header=BB2_3610 Depth=2
	v_clz_i32_u32_e32 v113, v113
	s_delay_alu instid0(VALU_DEP_1) | instskip(NEXT) | instid1(VALU_DEP_1)
	v_min_u32_e32 v113, 32, v113
	v_subrev_nc_u32_e32 v114, 29, v113
	s_delay_alu instid0(VALU_DEP_1) | instskip(NEXT) | instid1(VALU_DEP_1)
	v_lshlrev_b64_e32 v[116:117], v114, v[30:31]
	v_dual_sub_nc_u32 v114, 30, v113 :: v_dual_bitop2_b32 v113, 3, v116 bitop3:0x40
; %bb.3746:                             ;   in Loop: Header=BB2_3610 Depth=2
	s_or_b32 exec_lo, exec_lo, s44
	v_lshlrev_b32_e32 v30, 24, v30
	s_delay_alu instid0(VALU_DEP_1) | instskip(NEXT) | instid1(VALU_DEP_1)
	v_and_b32_e32 v30, 0x80000000, v30
	v_lshl_add_u32 v30, v114, 23, v30
	s_delay_alu instid0(VALU_DEP_1) | instskip(NEXT) | instid1(VALU_DEP_1)
	v_lshl_or_b32 v30, v113, 21, v30
                                        ; implicit-def: $vgpr113
	v_add_nc_u32_e32 v114, 0x38000000, v30
                                        ; implicit-def: $vgpr30
.LBB2_3747:                             ;   in Loop: Header=BB2_3610 Depth=2
	s_and_not1_saveexec_b32 s13, s13
; %bb.3748:                             ;   in Loop: Header=BB2_3610 Depth=2
	v_bfe_i32 v30, v30, 0, 8
	s_delay_alu instid0(VALU_DEP_1) | instskip(SKIP_2) | instid1(VALU_DEP_2)
	v_cmp_lt_i16_e32 vcc_lo, -1, v30
	v_cndmask_b32_e32 v30, 0xff800000, v45, vcc_lo
	v_cmp_eq_u32_e32 vcc_lo, 0, v113
	v_cndmask_b32_e32 v114, 0x7f800001, v30, vcc_lo
; %bb.3749:                             ;   in Loop: Header=BB2_3610 Depth=2
	s_or_b32 exec_lo, exec_lo, s13
.LBB2_3750:                             ;   in Loop: Header=BB2_3610 Depth=2
	s_delay_alu instid0(SALU_CYCLE_1)
	s_or_b32 exec_lo, exec_lo, s11
.LBB2_3751:                             ;   in Loop: Header=BB2_3610 Depth=2
	s_delay_alu instid0(SALU_CYCLE_1) | instskip(SKIP_3) | instid1(VALU_DEP_1)
	s_or_b32 exec_lo, exec_lo, s12
	v_and_b32_e32 v99, 0xff, v99
	s_mov_b32 s11, 0
	s_mov_b32 s12, exec_lo
	v_cmpx_lt_i16_e32 0x7f, v99
	s_xor_b32 s12, exec_lo, s12
	s_cbranch_execz .LBB2_4467
; %bb.3752:                             ;   in Loop: Header=BB2_3610 Depth=2
	s_mov_b32 s11, -1
	s_mov_b32 s13, exec_lo
	v_cmpx_eq_u16_e32 0x80, v99
; %bb.3753:                             ;   in Loop: Header=BB2_3610 Depth=2
	s_xor_b32 s11, exec_lo, -1
; %bb.3754:                             ;   in Loop: Header=BB2_3610 Depth=2
	s_or_b32 exec_lo, exec_lo, s13
	s_delay_alu instid0(SALU_CYCLE_1)
	s_and_b32 s11, s11, exec_lo
                                        ; implicit-def: $vgpr99
	s_or_saveexec_b32 s12, s12
	v_bfrev_b32_e32 v30, 1
	s_xor_b32 exec_lo, exec_lo, s12
	s_cbranch_execnz .LBB2_4468
.LBB2_3755:                             ;   in Loop: Header=BB2_3610 Depth=2
	s_or_b32 exec_lo, exec_lo, s12
	s_and_saveexec_b32 s12, s11
.LBB2_3756:                             ;   in Loop: Header=BB2_3610 Depth=2
	v_dual_cndmask_b32 v30, v86, v97, s10 :: v_dual_cndmask_b32 v36, v36, v98, s10
	s_delay_alu instid0(VALU_DEP_1) | instskip(NEXT) | instid1(VALU_DEP_1)
	v_lshl_add_u32 v30, v30, 23, v87
	v_lshl_or_b32 v30, v36, 21, v30
	s_delay_alu instid0(VALU_DEP_1)
	v_cndmask_b32_e64 v30, v30, v96, s7
.LBB2_3757:                             ;   in Loop: Header=BB2_3610 Depth=2
	s_or_b32 exec_lo, exec_lo, s12
	s_delay_alu instid0(VALU_DEP_1) | instskip(SKIP_1) | instid1(VALU_DEP_1)
	v_max_num_f32_e32 v30, v30, v30
	v_max_num_f32_e32 v36, v114, v114
	v_min_num_f32_e32 v114, v36, v30
.LBB2_3758:                             ;   in Loop: Header=BB2_3610 Depth=2
	s_delay_alu instid0(VALU_DEP_1) | instskip(SKIP_3) | instid1(VALU_DEP_2)
	v_and_b32_e32 v86, 0x7f800000, v114
	v_dual_mov_b32 v87, v37 :: v_dual_lshrrev_b32 v30, 24, v114
	v_and_b32_e32 v36, 0x7fffff, v114
                                        ; implicit-def: $vgpr113
	s_mov_b32 s7, exec_lo
	v_cmpx_ne_u64_e32 0x7f800000, v[86:87]
	s_xor_b32 s10, exec_lo, s7
	s_cbranch_execz .LBB2_3772
; %bb.3759:                             ;   in Loop: Header=BB2_3610 Depth=2
	v_and_b32_e32 v86, 0x7fffffff, v114
	v_mov_b32_e32 v87, v37
	v_and_b32_e32 v30, 0x80, v30
                                        ; implicit-def: $vgpr113
	s_mov_b32 s7, exec_lo
	s_delay_alu instid0(VALU_DEP_2)
	v_cmpx_gt_u64_e32 0x47600001, v[86:87]
	s_xor_b32 s11, exec_lo, s7
	s_cbranch_execz .LBB2_3769
; %bb.3760:                             ;   in Loop: Header=BB2_3610 Depth=2
	v_mov_b32_e32 v113, 0
	s_mov_b32 s12, exec_lo
	v_cmpx_ne_u32_e32 0, v114
	s_cbranch_execz .LBB2_3768
; %bb.3761:                             ;   in Loop: Header=BB2_3610 Depth=2
	v_bfe_u32 v98, v114, 23, 8
	v_or_b32_e32 v96, 0x800000, v36
	s_delay_alu instid0(VALU_DEP_2) | instskip(SKIP_1) | instid1(VALU_DEP_2)
	v_sub_nc_u32_e32 v86, 0x71, v98
	v_cmp_gt_u32_e32 vcc_lo, 0x72, v98
	v_cndmask_b32_e32 v86, 0, v86, vcc_lo
	v_cmp_eq_u32_e32 vcc_lo, 0, v98
	s_delay_alu instid0(VALU_DEP_2) | instskip(NEXT) | instid1(VALU_DEP_1)
	v_cndmask_b32_e64 v99, v86, 0x70, vcc_lo
	v_dual_cndmask_b32 v36, v96, v36, vcc_lo :: v_dual_add_nc_u32 v86, 21, v99
	v_add_nc_u32_e32 v97, 20, v99
	s_delay_alu instid0(VALU_DEP_2) | instskip(NEXT) | instid1(VALU_DEP_2)
	v_lshlrev_b64_e64 v[86:87], v86, -1
	v_lshlrev_b64_e64 v[96:97], v97, 1
	s_delay_alu instid0(VALU_DEP_2) | instskip(NEXT) | instid1(VALU_DEP_3)
	v_bfi_b32 v115, v87, 0, 0
	v_bfi_b32 v114, v86, 0, v36
	v_lshrrev_b64 v[86:87], v99, v[36:37]
	s_delay_alu instid0(VALU_DEP_2) | instskip(NEXT) | instid1(VALU_DEP_2)
	v_cmp_eq_u64_e64 s7, v[114:115], v[96:97]
	v_mov_b64_e32 v[96:97], v[86:87]
	s_and_saveexec_b32 s13, s7
; %bb.3762:                             ;   in Loop: Header=BB2_3610 Depth=2
	v_bfe_u32 v36, v86, 21, 1
	s_delay_alu instid0(VALU_DEP_1) | instskip(NEXT) | instid1(VALU_DEP_1)
	v_add_nc_u64_e32 v[96:97], v[86:87], v[36:37]
	v_add_nc_u64_e32 v[96:97], -1, v[96:97]
; %bb.3763:                             ;   in Loop: Header=BB2_3610 Depth=2
	s_or_b32 exec_lo, exec_lo, s13
	v_add_nc_u32_e32 v36, 0xffffff81, v98
	v_lshrrev_b32_e32 v87, 23, v86
	s_mov_b32 s7, exec_lo
	s_delay_alu instid0(VALU_DEP_2) | instskip(NEXT) | instid1(VALU_DEP_1)
	v_cndmask_b32_e64 v36, v36, 0xffffff82, vcc_lo
	v_add3_u32 v97, v99, v36, v87
	v_and_b32_e32 v36, 0x1fffff, v96
                                        ; implicit-def: $vgpr96
	s_delay_alu instid0(VALU_DEP_1) | instskip(NEXT) | instid1(VALU_DEP_1)
	v_dual_add_nc_u32 v98, 14, v97 :: v_dual_add_nc_u32 v36, v36, v86
                                        ; implicit-def: $vgpr86_vgpr87
	v_cmpx_ne_u32_e32 0, v98
	s_xor_b32 s7, exec_lo, s7
; %bb.3764:                             ;   in Loop: Header=BB2_3610 Depth=2
	s_delay_alu instid0(VALU_DEP_2) | instskip(SKIP_1) | instid1(VALU_DEP_1)
	v_cmp_lt_u64_e32 vcc_lo, 0xffffff, v[36:37]
	v_add_nc_u32_e32 v86, 15, v97
	v_cndmask_b32_e32 v96, v98, v86, vcc_lo
	v_cndmask_b32_e64 v86, 0, 1, vcc_lo
	s_delay_alu instid0(VALU_DEP_1)
	v_lshrrev_b64 v[86:87], v86, v[36:37]
; %bb.3765:                             ;   in Loop: Header=BB2_3610 Depth=2
	s_and_not1_saveexec_b32 s7, s7
; %bb.3766:                             ;   in Loop: Header=BB2_3610 Depth=2
	v_mov_b64_e32 v[86:87], v[36:37]
	v_bfe_u32 v96, v36, 23, 1
; %bb.3767:                             ;   in Loop: Header=BB2_3610 Depth=2
	s_or_b32 exec_lo, exec_lo, s7
	s_delay_alu instid0(VALU_DEP_2) | instskip(NEXT) | instid1(VALU_DEP_2)
	v_lshrrev_b64 v[86:87], 21, v[86:87]
	v_cmp_gt_i32_e32 vcc_lo, 32, v96
	v_min_i32_e32 v36, 31, v96
	v_cmp_eq_u32_e64 s7, 0, v96
	s_delay_alu instid0(VALU_DEP_2) | instskip(SKIP_1) | instid1(VALU_DEP_2)
	v_dual_cndmask_b32 v87, 0, v87 :: v_dual_lshlrev_b32 v36, 2, v36
	v_cndmask_b32_e32 v86, 3, v86, vcc_lo
	v_and_b32_e32 v36, 0xfc, v36
	s_delay_alu instid0(VALU_DEP_2) | instskip(NEXT) | instid1(VALU_DEP_2)
	v_cmp_eq_u64_e32 vcc_lo, 0, v[86:87]
	v_and_or_b32 v36, v86, 3, v36
	s_and_b32 s7, s7, vcc_lo
	s_delay_alu instid0(VALU_DEP_1) | instid1(SALU_CYCLE_1)
	v_cndmask_b32_e64 v36, v36, 0, s7
	s_delay_alu instid0(VALU_DEP_1)
	v_or_b32_e32 v113, v36, v30
.LBB2_3768:                             ;   in Loop: Header=BB2_3610 Depth=2
	s_or_b32 exec_lo, exec_lo, s12
                                        ; implicit-def: $vgpr30
.LBB2_3769:                             ;   in Loop: Header=BB2_3610 Depth=2
	s_and_not1_saveexec_b32 s7, s11
; %bb.3770:                             ;   in Loop: Header=BB2_3610 Depth=2
	v_or_b32_e32 v113, 0x7b, v30
; %bb.3771:                             ;   in Loop: Header=BB2_3610 Depth=2
	s_or_b32 exec_lo, exec_lo, s7
                                        ; implicit-def: $vgpr114
                                        ; implicit-def: $vgpr30
.LBB2_3772:                             ;   in Loop: Header=BB2_3610 Depth=2
	s_and_not1_saveexec_b32 s7, s10
	s_cbranch_execz .LBB2_3778
; %bb.3773:                             ;   in Loop: Header=BB2_3610 Depth=2
	s_mov_b32 s10, exec_lo
                                        ; implicit-def: $vgpr113
	v_cmpx_ne_u64_e32 0, v[36:37]
	s_xor_b32 s10, exec_lo, s10
; %bb.3774:                             ;   in Loop: Header=BB2_3610 Depth=2
	v_or_b32_e32 v113, 0x7f, v30
                                        ; implicit-def: $vgpr114
; %bb.3775:                             ;   in Loop: Header=BB2_3610 Depth=2
	s_and_not1_saveexec_b32 s10, s10
; %bb.3776:                             ;   in Loop: Header=BB2_3610 Depth=2
	v_cmp_lt_i32_e32 vcc_lo, -1, v114
	v_cndmask_b32_e32 v113, 0xfc, v46, vcc_lo
; %bb.3777:                             ;   in Loop: Header=BB2_3610 Depth=2
	s_or_b32 exec_lo, exec_lo, s10
.LBB2_3778:                             ;   in Loop: Header=BB2_3610 Depth=2
	s_delay_alu instid0(SALU_CYCLE_1)
	s_or_b32 exec_lo, exec_lo, s7
	v_bfe_u32 v36, v14, 24, 2
	v_cmp_lt_i32_e32 vcc_lo, -1, v14
	v_lshrrev_b32_e32 v30, 24, v10
	v_and_b32_e32 v114, 0x7c000000, v14
	v_cmp_gt_u32_e64 s7, 0x1000000, v14
	v_clz_i32_u32_e32 v86, v36
	v_cndmask_b32_e32 v115, 0xff800000, v45, vcc_lo
	v_cmp_eq_u32_e32 vcc_lo, 0, v36
	v_and_or_b32 v87, v14, s27, 0x38000000
	v_cmp_lt_u32_e64 s13, 0xffffff, v10
	v_min_u32_e32 v97, 32, v86
	v_lshrrev_b32_e32 v96, 24, v14
	v_bfe_u32 v86, v14, 26, 5
	v_cmp_eq_u32_e64 s11, 0x7c000000, v114
	s_mov_b32 s44, -1
	v_subrev_nc_u32_e32 v98, 29, v97
	v_cmp_eq_u32_e64 s12, 0, v86
	s_delay_alu instid0(VALU_DEP_2)
	v_lshlrev_b64_e32 v[98:99], v98, v[96:97]
	v_sub_nc_u32_e32 v97, 30, v97
	v_cmp_eq_u32_e64 s10, 0x80, v96
	v_cndmask_b32_e32 v96, 0x7f800001, v115, vcc_lo
	s_and_b32 vcc_lo, exec_lo, s43
                                        ; implicit-def: $vgpr99
	v_and_b32_e32 v98, 3, v98
	s_cbranch_vccz .LBB2_3790
; %bb.3779:                             ;   in Loop: Header=BB2_3610 Depth=2
	v_mov_b32_e32 v99, 0
	s_and_saveexec_b32 s44, s13
	s_cbranch_execz .LBB2_3789
; %bb.3780:                             ;   in Loop: Header=BB2_3610 Depth=2
	v_bfrev_b32_e32 v99, 1
	s_mov_b32 s45, exec_lo
	v_cmpx_ne_u32_e32 0x80, v30
	s_cbranch_execz .LBB2_3788
; %bb.3781:                             ;   in Loop: Header=BB2_3610 Depth=2
	v_and_b32_e32 v99, 0x7c000000, v10
	v_bfe_u32 v114, v10, 24, 2
	s_delay_alu instid0(VALU_DEP_2) | instskip(SKIP_1) | instid1(SALU_CYCLE_1)
	v_cmp_ne_u32_e32 vcc_lo, 0x7c000000, v99
                                        ; implicit-def: $vgpr99
	s_and_saveexec_b32 s46, vcc_lo
	s_xor_b32 s46, exec_lo, s46
	s_cbranch_execz .LBB2_3785
; %bb.3782:                             ;   in Loop: Header=BB2_3610 Depth=2
	v_bfe_u32 v99, v10, 26, 5
	s_mov_b32 s47, exec_lo
	s_delay_alu instid0(VALU_DEP_1)
	v_cmpx_eq_u32_e32 0, v99
; %bb.3783:                             ;   in Loop: Header=BB2_3610 Depth=2
	v_clz_i32_u32_e32 v99, v114
	s_delay_alu instid0(VALU_DEP_1) | instskip(NEXT) | instid1(VALU_DEP_1)
	v_min_u32_e32 v99, 32, v99
	v_subrev_nc_u32_e32 v114, 29, v99
	s_delay_alu instid0(VALU_DEP_1) | instskip(NEXT) | instid1(VALU_DEP_1)
	v_lshlrev_b64_e32 v[114:115], v114, v[30:31]
	v_dual_sub_nc_u32 v99, 30, v99 :: v_dual_bitop2_b32 v114, 3, v114 bitop3:0x40
; %bb.3784:                             ;   in Loop: Header=BB2_3610 Depth=2
	s_or_b32 exec_lo, exec_lo, s47
	v_and_b32_e32 v115, 0x80000000, v10
	s_delay_alu instid0(VALU_DEP_1) | instskip(NEXT) | instid1(VALU_DEP_1)
	v_lshl_add_u32 v99, v99, 23, v115
	v_lshl_or_b32 v99, v114, 21, v99
                                        ; implicit-def: $vgpr114
	s_delay_alu instid0(VALU_DEP_1)
	v_add_nc_u32_e32 v99, 0x38000000, v99
.LBB2_3785:                             ;   in Loop: Header=BB2_3610 Depth=2
	s_and_not1_saveexec_b32 s46, s46
; %bb.3786:                             ;   in Loop: Header=BB2_3610 Depth=2
	v_cmp_lt_i32_e32 vcc_lo, -1, v10
	v_cndmask_b32_e32 v99, 0xff800000, v45, vcc_lo
	v_cmp_eq_u32_e32 vcc_lo, 0, v114
	s_delay_alu instid0(VALU_DEP_2)
	v_cndmask_b32_e32 v99, 0x7f800001, v99, vcc_lo
; %bb.3787:                             ;   in Loop: Header=BB2_3610 Depth=2
	s_or_b32 exec_lo, exec_lo, s46
.LBB2_3788:                             ;   in Loop: Header=BB2_3610 Depth=2
	s_delay_alu instid0(SALU_CYCLE_1)
	s_or_b32 exec_lo, exec_lo, s45
.LBB2_3789:                             ;   in Loop: Header=BB2_3610 Depth=2
	s_delay_alu instid0(SALU_CYCLE_1) | instskip(SKIP_3) | instid1(VALU_DEP_2)
	s_or_b32 exec_lo, exec_lo, s44
	v_dual_cndmask_b32 v114, v86, v97, s12 :: v_dual_cndmask_b32 v115, v36, v98, s12
	s_mov_b32 s44, 0
	v_max_num_f32_e32 v99, v99, v99
	v_lshl_add_u32 v114, v114, 23, v87
	s_delay_alu instid0(VALU_DEP_1) | instskip(NEXT) | instid1(VALU_DEP_1)
	v_lshl_or_b32 v114, v115, 21, v114
	v_cndmask_b32_e64 v114, v114, v96, s11
	s_delay_alu instid0(VALU_DEP_1) | instskip(NEXT) | instid1(VALU_DEP_1)
	v_cndmask_b32_e64 v114, v114, 0x80000000, s10
	v_cndmask_b32_e64 v114, v114, 0, s7
	s_delay_alu instid0(VALU_DEP_1) | instskip(NEXT) | instid1(VALU_DEP_1)
	v_max_num_f32_e32 v114, v114, v114
	v_max_num_f32_e32 v99, v99, v114
.LBB2_3790:                             ;   in Loop: Header=BB2_3610 Depth=2
	s_and_b32 vcc_lo, exec_lo, s44
	s_cbranch_vccz .LBB2_3802
; %bb.3791:                             ;   in Loop: Header=BB2_3610 Depth=2
	v_mov_b32_e32 v99, 0
	s_and_saveexec_b32 s44, s13
	s_cbranch_execz .LBB2_3801
; %bb.3792:                             ;   in Loop: Header=BB2_3610 Depth=2
	v_bfrev_b32_e32 v99, 1
	s_mov_b32 s13, exec_lo
	v_cmpx_ne_u32_e32 0x80, v30
	s_cbranch_execz .LBB2_3800
; %bb.3793:                             ;   in Loop: Header=BB2_3610 Depth=2
	v_and_b32_e32 v99, 0x7c000000, v10
	v_bfe_u32 v114, v10, 24, 2
	s_delay_alu instid0(VALU_DEP_2) | instskip(SKIP_1) | instid1(SALU_CYCLE_1)
	v_cmp_ne_u32_e32 vcc_lo, 0x7c000000, v99
                                        ; implicit-def: $vgpr99
	s_and_saveexec_b32 s45, vcc_lo
	s_xor_b32 s45, exec_lo, s45
	s_cbranch_execz .LBB2_3797
; %bb.3794:                             ;   in Loop: Header=BB2_3610 Depth=2
	v_bfe_u32 v99, v10, 26, 5
	s_mov_b32 s46, exec_lo
	s_delay_alu instid0(VALU_DEP_1)
	v_cmpx_eq_u32_e32 0, v99
; %bb.3795:                             ;   in Loop: Header=BB2_3610 Depth=2
	v_clz_i32_u32_e32 v99, v114
	s_delay_alu instid0(VALU_DEP_1) | instskip(NEXT) | instid1(VALU_DEP_1)
	v_min_u32_e32 v99, 32, v99
	v_subrev_nc_u32_e32 v114, 29, v99
	s_delay_alu instid0(VALU_DEP_1) | instskip(NEXT) | instid1(VALU_DEP_1)
	v_lshlrev_b64_e32 v[114:115], v114, v[30:31]
	v_dual_sub_nc_u32 v99, 30, v99 :: v_dual_bitop2_b32 v114, 3, v114 bitop3:0x40
; %bb.3796:                             ;   in Loop: Header=BB2_3610 Depth=2
	s_or_b32 exec_lo, exec_lo, s46
	v_and_b32_e32 v30, 0x80000000, v10
	s_delay_alu instid0(VALU_DEP_1) | instskip(NEXT) | instid1(VALU_DEP_1)
	v_lshl_add_u32 v30, v99, 23, v30
	v_lshl_or_b32 v30, v114, 21, v30
                                        ; implicit-def: $vgpr114
	s_delay_alu instid0(VALU_DEP_1)
	v_add_nc_u32_e32 v99, 0x38000000, v30
.LBB2_3797:                             ;   in Loop: Header=BB2_3610 Depth=2
	s_and_not1_saveexec_b32 s45, s45
; %bb.3798:                             ;   in Loop: Header=BB2_3610 Depth=2
	v_cmp_lt_i32_e32 vcc_lo, -1, v10
	v_cndmask_b32_e32 v30, 0xff800000, v45, vcc_lo
	v_cmp_eq_u32_e32 vcc_lo, 0, v114
	s_delay_alu instid0(VALU_DEP_2)
	v_cndmask_b32_e32 v99, 0x7f800001, v30, vcc_lo
; %bb.3799:                             ;   in Loop: Header=BB2_3610 Depth=2
	s_or_b32 exec_lo, exec_lo, s45
.LBB2_3800:                             ;   in Loop: Header=BB2_3610 Depth=2
	s_delay_alu instid0(SALU_CYCLE_1)
	s_or_b32 exec_lo, exec_lo, s13
.LBB2_3801:                             ;   in Loop: Header=BB2_3610 Depth=2
	s_delay_alu instid0(SALU_CYCLE_1) | instskip(SKIP_1) | instid1(VALU_DEP_1)
	s_or_b32 exec_lo, exec_lo, s44
	v_dual_cndmask_b32 v30, v86, v97, s12 :: v_dual_cndmask_b32 v36, v36, v98, s12
	v_lshl_add_u32 v30, v30, 23, v87
	s_delay_alu instid0(VALU_DEP_1) | instskip(NEXT) | instid1(VALU_DEP_1)
	v_lshl_or_b32 v30, v36, 21, v30
	v_dual_max_num_f32 v36, v99, v99 :: v_dual_cndmask_b32 v30, v30, v96, s11
	s_delay_alu instid0(VALU_DEP_1) | instskip(NEXT) | instid1(VALU_DEP_1)
	v_cndmask_b32_e64 v30, v30, 0x80000000, s10
	v_cndmask_b32_e64 v30, v30, 0, s7
	s_delay_alu instid0(VALU_DEP_1) | instskip(NEXT) | instid1(VALU_DEP_1)
	v_max_num_f32_e32 v30, v30, v30
	v_min_num_f32_e32 v99, v36, v30
.LBB2_3802:                             ;   in Loop: Header=BB2_3610 Depth=2
	s_delay_alu instid0(VALU_DEP_1) | instskip(SKIP_3) | instid1(VALU_DEP_2)
	v_and_b32_e32 v86, 0x7f800000, v99
	v_dual_mov_b32 v87, v37 :: v_dual_lshrrev_b32 v30, 24, v99
	v_and_b32_e32 v36, 0x7fffff, v99
                                        ; implicit-def: $vgpr114
	s_mov_b32 s7, exec_lo
	v_cmpx_ne_u64_e32 0x7f800000, v[86:87]
	s_xor_b32 s10, exec_lo, s7
	s_cbranch_execz .LBB2_3816
; %bb.3803:                             ;   in Loop: Header=BB2_3610 Depth=2
	v_and_b32_e32 v86, 0x7fffffff, v99
	v_mov_b32_e32 v87, v37
	v_and_b32_e32 v30, 0x80, v30
                                        ; implicit-def: $vgpr114
	s_mov_b32 s7, exec_lo
	s_delay_alu instid0(VALU_DEP_2)
	v_cmpx_gt_u64_e32 0x47600001, v[86:87]
	s_xor_b32 s11, exec_lo, s7
	s_cbranch_execz .LBB2_3813
; %bb.3804:                             ;   in Loop: Header=BB2_3610 Depth=2
	v_mov_b32_e32 v114, 0
	s_mov_b32 s12, exec_lo
	v_cmpx_ne_u32_e32 0, v99
	s_cbranch_execz .LBB2_3812
; %bb.3805:                             ;   in Loop: Header=BB2_3610 Depth=2
	v_bfe_u32 v98, v99, 23, 8
	v_or_b32_e32 v96, 0x800000, v36
	s_delay_alu instid0(VALU_DEP_2) | instskip(SKIP_1) | instid1(VALU_DEP_2)
	v_sub_nc_u32_e32 v86, 0x71, v98
	v_cmp_gt_u32_e32 vcc_lo, 0x72, v98
	v_cndmask_b32_e32 v86, 0, v86, vcc_lo
	v_cmp_eq_u32_e32 vcc_lo, 0, v98
	s_delay_alu instid0(VALU_DEP_2) | instskip(NEXT) | instid1(VALU_DEP_1)
	v_cndmask_b32_e64 v99, v86, 0x70, vcc_lo
	v_dual_cndmask_b32 v36, v96, v36, vcc_lo :: v_dual_add_nc_u32 v86, 21, v99
	v_add_nc_u32_e32 v97, 20, v99
	s_delay_alu instid0(VALU_DEP_2) | instskip(NEXT) | instid1(VALU_DEP_2)
	v_lshlrev_b64_e64 v[86:87], v86, -1
	v_lshlrev_b64_e64 v[96:97], v97, 1
	s_delay_alu instid0(VALU_DEP_2) | instskip(NEXT) | instid1(VALU_DEP_3)
	v_bfi_b32 v115, v87, 0, 0
	v_bfi_b32 v114, v86, 0, v36
	v_lshrrev_b64 v[86:87], v99, v[36:37]
	s_delay_alu instid0(VALU_DEP_2) | instskip(NEXT) | instid1(VALU_DEP_2)
	v_cmp_eq_u64_e64 s7, v[114:115], v[96:97]
	v_mov_b64_e32 v[96:97], v[86:87]
	s_and_saveexec_b32 s13, s7
; %bb.3806:                             ;   in Loop: Header=BB2_3610 Depth=2
	v_bfe_u32 v36, v86, 21, 1
	s_delay_alu instid0(VALU_DEP_1) | instskip(NEXT) | instid1(VALU_DEP_1)
	v_add_nc_u64_e32 v[96:97], v[86:87], v[36:37]
	v_add_nc_u64_e32 v[96:97], -1, v[96:97]
; %bb.3807:                             ;   in Loop: Header=BB2_3610 Depth=2
	s_or_b32 exec_lo, exec_lo, s13
	v_add_nc_u32_e32 v36, 0xffffff81, v98
	v_lshrrev_b32_e32 v87, 23, v86
	s_mov_b32 s7, exec_lo
	s_delay_alu instid0(VALU_DEP_2) | instskip(NEXT) | instid1(VALU_DEP_1)
	v_cndmask_b32_e64 v36, v36, 0xffffff82, vcc_lo
	v_add3_u32 v97, v99, v36, v87
	v_and_b32_e32 v36, 0x1fffff, v96
                                        ; implicit-def: $vgpr96
	s_delay_alu instid0(VALU_DEP_1) | instskip(NEXT) | instid1(VALU_DEP_1)
	v_dual_add_nc_u32 v98, 14, v97 :: v_dual_add_nc_u32 v36, v36, v86
                                        ; implicit-def: $vgpr86_vgpr87
	v_cmpx_ne_u32_e32 0, v98
	s_xor_b32 s7, exec_lo, s7
; %bb.3808:                             ;   in Loop: Header=BB2_3610 Depth=2
	s_delay_alu instid0(VALU_DEP_2) | instskip(SKIP_1) | instid1(VALU_DEP_1)
	v_cmp_lt_u64_e32 vcc_lo, 0xffffff, v[36:37]
	v_add_nc_u32_e32 v86, 15, v97
	v_cndmask_b32_e32 v96, v98, v86, vcc_lo
	v_cndmask_b32_e64 v86, 0, 1, vcc_lo
	s_delay_alu instid0(VALU_DEP_1)
	v_lshrrev_b64 v[86:87], v86, v[36:37]
; %bb.3809:                             ;   in Loop: Header=BB2_3610 Depth=2
	s_and_not1_saveexec_b32 s7, s7
; %bb.3810:                             ;   in Loop: Header=BB2_3610 Depth=2
	v_mov_b64_e32 v[86:87], v[36:37]
	v_bfe_u32 v96, v36, 23, 1
; %bb.3811:                             ;   in Loop: Header=BB2_3610 Depth=2
	s_or_b32 exec_lo, exec_lo, s7
	s_delay_alu instid0(VALU_DEP_2) | instskip(NEXT) | instid1(VALU_DEP_2)
	v_lshrrev_b64 v[86:87], 21, v[86:87]
	v_cmp_gt_i32_e32 vcc_lo, 32, v96
	v_min_i32_e32 v36, 31, v96
	v_cmp_eq_u32_e64 s7, 0, v96
	s_delay_alu instid0(VALU_DEP_2) | instskip(SKIP_1) | instid1(VALU_DEP_2)
	v_dual_cndmask_b32 v87, 0, v87 :: v_dual_lshlrev_b32 v36, 2, v36
	v_cndmask_b32_e32 v86, 3, v86, vcc_lo
	v_and_b32_e32 v36, 0xfc, v36
	s_delay_alu instid0(VALU_DEP_2) | instskip(NEXT) | instid1(VALU_DEP_2)
	v_cmp_eq_u64_e32 vcc_lo, 0, v[86:87]
	v_and_or_b32 v36, v86, 3, v36
	s_and_b32 s7, s7, vcc_lo
	s_delay_alu instid0(VALU_DEP_1) | instid1(SALU_CYCLE_1)
	v_cndmask_b32_e64 v36, v36, 0, s7
	s_delay_alu instid0(VALU_DEP_1)
	v_or_b32_e32 v114, v36, v30
.LBB2_3812:                             ;   in Loop: Header=BB2_3610 Depth=2
	s_or_b32 exec_lo, exec_lo, s12
                                        ; implicit-def: $vgpr30
.LBB2_3813:                             ;   in Loop: Header=BB2_3610 Depth=2
	s_and_not1_saveexec_b32 s7, s11
; %bb.3814:                             ;   in Loop: Header=BB2_3610 Depth=2
	v_or_b32_e32 v114, 0x7b, v30
; %bb.3815:                             ;   in Loop: Header=BB2_3610 Depth=2
	s_or_b32 exec_lo, exec_lo, s7
                                        ; implicit-def: $vgpr99
                                        ; implicit-def: $vgpr30
.LBB2_3816:                             ;   in Loop: Header=BB2_3610 Depth=2
	s_and_not1_saveexec_b32 s7, s10
	s_cbranch_execz .LBB2_3822
; %bb.3817:                             ;   in Loop: Header=BB2_3610 Depth=2
	s_mov_b32 s10, exec_lo
                                        ; implicit-def: $vgpr114
	v_cmpx_ne_u64_e32 0, v[36:37]
	s_xor_b32 s10, exec_lo, s10
; %bb.3818:                             ;   in Loop: Header=BB2_3610 Depth=2
	v_or_b32_e32 v114, 0x7f, v30
                                        ; implicit-def: $vgpr99
; %bb.3819:                             ;   in Loop: Header=BB2_3610 Depth=2
	s_and_not1_saveexec_b32 s10, s10
; %bb.3820:                             ;   in Loop: Header=BB2_3610 Depth=2
	v_cmp_lt_i32_e32 vcc_lo, -1, v99
	v_cndmask_b32_e32 v114, 0xfc, v46, vcc_lo
; %bb.3821:                             ;   in Loop: Header=BB2_3610 Depth=2
	s_or_b32 exec_lo, exec_lo, s10
.LBB2_3822:                             ;   in Loop: Header=BB2_3610 Depth=2
	s_delay_alu instid0(SALU_CYCLE_1) | instskip(SKIP_4) | instid1(VALU_DEP_4)
	s_or_b32 exec_lo, exec_lo, s7
	v_dual_mov_b32 v36, v15 :: v_dual_bitop2_b32 v30, 3, v15 bitop3:0x40
	v_bfe_i32 v116, v15, 0, 8
	v_bfe_u32 v96, v15, 2, 5
	v_and_b32_e32 v97, 0x7c, v15
	v_clz_i32_u32_e32 v86, v30
	v_lshlrev_b32_e32 v98, 24, v15
	v_cmp_lt_i16_e32 vcc_lo, -1, v116
	v_mov_b32_e32 v87, v37
	v_and_b32_e32 v117, 0xff, v11
	v_min_u32_e32 v99, 32, v86
	v_mov_b32_e32 v86, v11
	v_cndmask_b32_e32 v40, 0xff800000, v45, vcc_lo
	v_cmp_eq_u32_e32 vcc_lo, 0, v30
	v_cmp_eq_u32_e64 s7, 0x7c, v97
	v_subrev_nc_u32_e32 v115, 29, v99
	v_cmp_eq_u32_e64 s10, 0, v96
	v_and_or_b32 v97, v98, s27, 0x38000000
	v_cmp_ne_u16_e64 s11, 0, v117
	v_dual_cndmask_b32 v98, 0x7f800001, v40 :: v_dual_sub_nc_u32 v99, 30, v99
	v_lshlrev_b64_e32 v[118:119], v115, v[36:37]
	s_and_b32 vcc_lo, exec_lo, s43
	s_mov_b32 s12, -1
	s_delay_alu instid0(VALU_DEP_1)
	v_and_b32_e32 v115, 3, v118
                                        ; implicit-def: $vgpr118
	s_cbranch_vccz .LBB2_3840
; %bb.3823:                             ;   in Loop: Header=BB2_3610 Depth=2
	v_mov_b32_e32 v118, 0
	s_and_saveexec_b32 s12, s11
	s_cbranch_execz .LBB2_3833
; %bb.3824:                             ;   in Loop: Header=BB2_3610 Depth=2
	v_bfrev_b32_e32 v118, 1
	s_mov_b32 s13, exec_lo
	v_cmpx_ne_u16_e32 0x80, v117
	s_cbranch_execz .LBB2_3832
; %bb.3825:                             ;   in Loop: Header=BB2_3610 Depth=2
	v_and_b32_e32 v118, 0x7c, v11
	v_and_b32_e32 v119, 3, v11
	s_delay_alu instid0(VALU_DEP_2) | instskip(SKIP_1) | instid1(SALU_CYCLE_1)
	v_cmp_ne_u32_e32 vcc_lo, 0x7c, v118
                                        ; implicit-def: $vgpr118
	s_and_saveexec_b32 s44, vcc_lo
	s_xor_b32 s44, exec_lo, s44
	s_cbranch_execz .LBB2_3829
; %bb.3826:                             ;   in Loop: Header=BB2_3610 Depth=2
	v_bfe_u32 v118, v11, 2, 5
	s_mov_b32 s45, exec_lo
	s_delay_alu instid0(VALU_DEP_1)
	v_cmpx_eq_u32_e32 0, v118
; %bb.3827:                             ;   in Loop: Header=BB2_3610 Depth=2
	v_clz_i32_u32_e32 v118, v119
	s_delay_alu instid0(VALU_DEP_1) | instskip(NEXT) | instid1(VALU_DEP_1)
	v_min_u32_e32 v118, 32, v118
	v_subrev_nc_u32_e32 v119, 29, v118
	s_delay_alu instid0(VALU_DEP_1) | instskip(NEXT) | instid1(VALU_DEP_1)
	v_lshlrev_b64_e32 v[40:41], v119, v[86:87]
	v_dual_sub_nc_u32 v118, 30, v118 :: v_dual_bitop2_b32 v119, 3, v40 bitop3:0x40
; %bb.3828:                             ;   in Loop: Header=BB2_3610 Depth=2
	s_or_b32 exec_lo, exec_lo, s45
	v_lshlrev_b32_e32 v40, 24, v11
	s_delay_alu instid0(VALU_DEP_1) | instskip(NEXT) | instid1(VALU_DEP_1)
	v_and_b32_e32 v40, 0x80000000, v40
	v_lshl_add_u32 v118, v118, 23, v40
	s_delay_alu instid0(VALU_DEP_1) | instskip(NEXT) | instid1(VALU_DEP_1)
	v_lshl_or_b32 v118, v119, 21, v118
                                        ; implicit-def: $vgpr119
	v_add_nc_u32_e32 v118, 0x38000000, v118
.LBB2_3829:                             ;   in Loop: Header=BB2_3610 Depth=2
	s_and_not1_saveexec_b32 s44, s44
; %bb.3830:                             ;   in Loop: Header=BB2_3610 Depth=2
	v_bfe_i32 v118, v11, 0, 8
	s_delay_alu instid0(VALU_DEP_1) | instskip(SKIP_2) | instid1(VALU_DEP_2)
	v_cmp_lt_i16_e32 vcc_lo, -1, v118
	v_cndmask_b32_e32 v118, 0xff800000, v45, vcc_lo
	v_cmp_eq_u32_e32 vcc_lo, 0, v119
	v_cndmask_b32_e32 v118, 0x7f800001, v118, vcc_lo
; %bb.3831:                             ;   in Loop: Header=BB2_3610 Depth=2
	s_or_b32 exec_lo, exec_lo, s44
.LBB2_3832:                             ;   in Loop: Header=BB2_3610 Depth=2
	s_delay_alu instid0(SALU_CYCLE_1)
	s_or_b32 exec_lo, exec_lo, s13
.LBB2_3833:                             ;   in Loop: Header=BB2_3610 Depth=2
	s_delay_alu instid0(SALU_CYCLE_1) | instskip(SKIP_3) | instid1(VALU_DEP_1)
	s_or_b32 exec_lo, exec_lo, s12
	v_and_b32_e32 v40, 0xff, v116
	s_mov_b32 s12, 0
	s_mov_b32 s13, exec_lo
	v_cmpx_lt_i16_e32 0x7f, v40
	s_xor_b32 s13, exec_lo, s13
	s_cbranch_execz .LBB2_4469
; %bb.3834:                             ;   in Loop: Header=BB2_3610 Depth=2
	s_mov_b32 s12, -1
	s_mov_b32 s44, exec_lo
	v_cmpx_eq_u16_e32 0x80, v40
; %bb.3835:                             ;   in Loop: Header=BB2_3610 Depth=2
	s_xor_b32 s12, exec_lo, -1
; %bb.3836:                             ;   in Loop: Header=BB2_3610 Depth=2
	s_or_b32 exec_lo, exec_lo, s44
	s_delay_alu instid0(SALU_CYCLE_1)
	s_and_b32 s12, s12, exec_lo
                                        ; implicit-def: $vgpr40
	s_or_saveexec_b32 s13, s13
	v_bfrev_b32_e32 v119, 1
	s_xor_b32 exec_lo, exec_lo, s13
	s_cbranch_execnz .LBB2_4470
.LBB2_3837:                             ;   in Loop: Header=BB2_3610 Depth=2
	s_or_b32 exec_lo, exec_lo, s13
	s_and_saveexec_b32 s13, s12
.LBB2_3838:                             ;   in Loop: Header=BB2_3610 Depth=2
	v_cndmask_b32_e64 v119, v96, v99, s10
	v_cndmask_b32_e64 v40, v30, v115, s10
	s_delay_alu instid0(VALU_DEP_2) | instskip(NEXT) | instid1(VALU_DEP_1)
	v_lshl_add_u32 v119, v119, 23, v97
	v_lshl_or_b32 v119, v40, 21, v119
	s_delay_alu instid0(VALU_DEP_1)
	v_cndmask_b32_e64 v119, v119, v98, s7
.LBB2_3839:                             ;   in Loop: Header=BB2_3610 Depth=2
	s_or_b32 exec_lo, exec_lo, s13
	s_delay_alu instid0(VALU_DEP_1) | instskip(SKIP_1) | instid1(VALU_DEP_1)
	v_dual_max_num_f32 v119, v119, v119 :: v_dual_max_num_f32 v118, v118, v118
	s_mov_b32 s12, 0
	v_max_num_f32_e32 v118, v118, v119
.LBB2_3840:                             ;   in Loop: Header=BB2_3610 Depth=2
	s_and_b32 vcc_lo, exec_lo, s12
	s_cbranch_vccz .LBB2_3858
; %bb.3841:                             ;   in Loop: Header=BB2_3610 Depth=2
	v_mov_b32_e32 v118, 0
	s_and_saveexec_b32 s12, s11
	s_cbranch_execz .LBB2_3851
; %bb.3842:                             ;   in Loop: Header=BB2_3610 Depth=2
	v_bfrev_b32_e32 v118, 1
	s_mov_b32 s11, exec_lo
	v_cmpx_ne_u16_e32 0x80, v117
	s_cbranch_execz .LBB2_3850
; %bb.3843:                             ;   in Loop: Header=BB2_3610 Depth=2
	v_and_b32_e32 v118, 0x7c, v11
	v_and_b32_e32 v117, 3, v11
	s_delay_alu instid0(VALU_DEP_2) | instskip(SKIP_1) | instid1(SALU_CYCLE_1)
	v_cmp_ne_u32_e32 vcc_lo, 0x7c, v118
                                        ; implicit-def: $vgpr118
	s_and_saveexec_b32 s13, vcc_lo
	s_xor_b32 s13, exec_lo, s13
	s_cbranch_execz .LBB2_3847
; %bb.3844:                             ;   in Loop: Header=BB2_3610 Depth=2
	v_bfe_u32 v118, v11, 2, 5
	s_mov_b32 s44, exec_lo
	s_delay_alu instid0(VALU_DEP_1)
	v_cmpx_eq_u32_e32 0, v118
; %bb.3845:                             ;   in Loop: Header=BB2_3610 Depth=2
	v_clz_i32_u32_e32 v117, v117
	s_delay_alu instid0(VALU_DEP_1) | instskip(NEXT) | instid1(VALU_DEP_1)
	v_min_u32_e32 v117, 32, v117
	v_subrev_nc_u32_e32 v118, 29, v117
	s_delay_alu instid0(VALU_DEP_1) | instskip(NEXT) | instid1(VALU_DEP_1)
	v_lshlrev_b64_e32 v[40:41], v118, v[86:87]
	v_dual_sub_nc_u32 v118, 30, v117 :: v_dual_bitop2_b32 v117, 3, v40 bitop3:0x40
; %bb.3846:                             ;   in Loop: Header=BB2_3610 Depth=2
	s_or_b32 exec_lo, exec_lo, s44
	v_lshlrev_b32_e32 v87, 24, v11
	s_delay_alu instid0(VALU_DEP_1) | instskip(NEXT) | instid1(VALU_DEP_1)
	v_and_b32_e32 v87, 0x80000000, v87
	v_lshl_add_u32 v87, v118, 23, v87
	s_delay_alu instid0(VALU_DEP_1) | instskip(NEXT) | instid1(VALU_DEP_1)
	v_lshl_or_b32 v87, v117, 21, v87
                                        ; implicit-def: $vgpr117
	v_add_nc_u32_e32 v118, 0x38000000, v87
.LBB2_3847:                             ;   in Loop: Header=BB2_3610 Depth=2
	s_and_not1_saveexec_b32 s13, s13
; %bb.3848:                             ;   in Loop: Header=BB2_3610 Depth=2
	v_bfe_i32 v87, v11, 0, 8
	s_delay_alu instid0(VALU_DEP_1) | instskip(SKIP_2) | instid1(VALU_DEP_2)
	v_cmp_lt_i16_e32 vcc_lo, -1, v87
	v_cndmask_b32_e32 v87, 0xff800000, v45, vcc_lo
	v_cmp_eq_u32_e32 vcc_lo, 0, v117
	v_cndmask_b32_e32 v118, 0x7f800001, v87, vcc_lo
; %bb.3849:                             ;   in Loop: Header=BB2_3610 Depth=2
	s_or_b32 exec_lo, exec_lo, s13
.LBB2_3850:                             ;   in Loop: Header=BB2_3610 Depth=2
	s_delay_alu instid0(SALU_CYCLE_1)
	s_or_b32 exec_lo, exec_lo, s11
.LBB2_3851:                             ;   in Loop: Header=BB2_3610 Depth=2
	s_delay_alu instid0(SALU_CYCLE_1) | instskip(SKIP_3) | instid1(VALU_DEP_1)
	s_or_b32 exec_lo, exec_lo, s12
	v_and_b32_e32 v116, 0xff, v116
	s_mov_b32 s11, 0
	s_mov_b32 s12, exec_lo
	v_cmpx_lt_i16_e32 0x7f, v116
	s_xor_b32 s12, exec_lo, s12
	s_cbranch_execz .LBB2_4471
; %bb.3852:                             ;   in Loop: Header=BB2_3610 Depth=2
	s_mov_b32 s11, -1
	s_mov_b32 s13, exec_lo
	v_cmpx_eq_u16_e32 0x80, v116
; %bb.3853:                             ;   in Loop: Header=BB2_3610 Depth=2
	s_xor_b32 s11, exec_lo, -1
; %bb.3854:                             ;   in Loop: Header=BB2_3610 Depth=2
	s_or_b32 exec_lo, exec_lo, s13
	s_delay_alu instid0(SALU_CYCLE_1)
	s_and_b32 s11, s11, exec_lo
                                        ; implicit-def: $vgpr116
	s_or_saveexec_b32 s12, s12
	v_bfrev_b32_e32 v87, 1
	s_xor_b32 exec_lo, exec_lo, s12
	s_cbranch_execnz .LBB2_4472
.LBB2_3855:                             ;   in Loop: Header=BB2_3610 Depth=2
	s_or_b32 exec_lo, exec_lo, s12
	s_and_saveexec_b32 s12, s11
.LBB2_3856:                             ;   in Loop: Header=BB2_3610 Depth=2
	v_cndmask_b32_e64 v87, v96, v99, s10
	v_cndmask_b32_e64 v30, v30, v115, s10
	s_delay_alu instid0(VALU_DEP_2) | instskip(NEXT) | instid1(VALU_DEP_1)
	v_lshl_add_u32 v87, v87, 23, v97
	v_lshl_or_b32 v30, v30, 21, v87
	s_delay_alu instid0(VALU_DEP_1)
	v_cndmask_b32_e64 v87, v30, v98, s7
.LBB2_3857:                             ;   in Loop: Header=BB2_3610 Depth=2
	s_or_b32 exec_lo, exec_lo, s12
	s_delay_alu instid0(VALU_DEP_1) | instskip(NEXT) | instid1(VALU_DEP_1)
	v_dual_max_num_f32 v30, v87, v87 :: v_dual_max_num_f32 v87, v118, v118
	v_min_num_f32_e32 v118, v87, v30
.LBB2_3858:                             ;   in Loop: Header=BB2_3610 Depth=2
	s_delay_alu instid0(VALU_DEP_1) | instskip(SKIP_4) | instid1(VALU_DEP_3)
	v_and_b32_e32 v98, 0x7f800000, v118
	v_dual_mov_b32 v99, v37 :: v_dual_mov_b32 v97, v37
	v_and_b32_e32 v96, 0x7fffff, v118
	v_lshrrev_b32_e32 v30, 24, v118
                                        ; implicit-def: $vgpr115
	s_mov_b32 s7, exec_lo
	v_cmpx_ne_u64_e32 0x7f800000, v[98:99]
	s_xor_b32 s10, exec_lo, s7
	s_cbranch_execz .LBB2_3872
; %bb.3859:                             ;   in Loop: Header=BB2_3610 Depth=2
	v_and_b32_e32 v98, 0x7fffffff, v118
	v_mov_b32_e32 v99, v37
	v_and_b32_e32 v30, 0x80, v30
                                        ; implicit-def: $vgpr115
	s_mov_b32 s7, exec_lo
	s_delay_alu instid0(VALU_DEP_2)
	v_cmpx_gt_u64_e32 0x47600001, v[98:99]
	s_xor_b32 s11, exec_lo, s7
	s_cbranch_execz .LBB2_3869
; %bb.3860:                             ;   in Loop: Header=BB2_3610 Depth=2
	v_mov_b32_e32 v115, 0
	s_mov_b32 s12, exec_lo
	v_cmpx_ne_u32_e32 0, v118
	s_cbranch_execz .LBB2_3868
; %bb.3861:                             ;   in Loop: Header=BB2_3610 Depth=2
	v_bfe_u32 v87, v118, 23, 8
	v_or_b32_e32 v116, 0x800000, v96
	s_delay_alu instid0(VALU_DEP_2) | instskip(SKIP_1) | instid1(VALU_DEP_2)
	v_sub_nc_u32_e32 v98, 0x71, v87
	v_cmp_gt_u32_e32 vcc_lo, 0x72, v87
	v_cndmask_b32_e32 v98, 0, v98, vcc_lo
	v_cmp_eq_u32_e32 vcc_lo, 0, v87
	s_delay_alu instid0(VALU_DEP_2) | instskip(NEXT) | instid1(VALU_DEP_1)
	v_cndmask_b32_e64 v115, v98, 0x70, vcc_lo
	v_dual_cndmask_b32 v96, v116, v96, vcc_lo :: v_dual_add_nc_u32 v98, 21, v115
	v_add_nc_u32_e32 v117, 20, v115
	s_delay_alu instid0(VALU_DEP_2) | instskip(NEXT) | instid1(VALU_DEP_2)
	v_lshlrev_b64_e64 v[98:99], v98, -1
	v_lshlrev_b64_e64 v[116:117], v117, 1
	s_delay_alu instid0(VALU_DEP_2) | instskip(SKIP_1) | instid1(VALU_DEP_4)
	v_bfi_b32 v98, v98, 0, v96
	v_lshrrev_b64 v[96:97], v115, v[96:97]
	v_bfi_b32 v99, v99, 0, 0
	s_delay_alu instid0(VALU_DEP_1) | instskip(NEXT) | instid1(VALU_DEP_3)
	v_cmp_eq_u64_e64 s7, v[98:99], v[116:117]
	v_mov_b64_e32 v[98:99], v[96:97]
	s_and_saveexec_b32 s13, s7
; %bb.3862:                             ;   in Loop: Header=BB2_3610 Depth=2
	v_bfe_u32 v98, v96, 21, 1
	v_mov_b32_e32 v99, v37
	s_delay_alu instid0(VALU_DEP_1) | instskip(NEXT) | instid1(VALU_DEP_1)
	v_add_nc_u64_e32 v[98:99], v[96:97], v[98:99]
	v_add_nc_u64_e32 v[98:99], -1, v[98:99]
; %bb.3863:                             ;   in Loop: Header=BB2_3610 Depth=2
	s_or_b32 exec_lo, exec_lo, s13
	v_add_nc_u32_e32 v87, 0xffffff81, v87
	v_lshrrev_b32_e32 v97, 23, v96
	s_mov_b32 s7, exec_lo
	s_delay_alu instid0(VALU_DEP_2) | instskip(NEXT) | instid1(VALU_DEP_1)
	v_cndmask_b32_e64 v87, v87, 0xffffff82, vcc_lo
	v_add3_u32 v99, v115, v87, v97
	v_and_b32_e32 v87, 0x1fffff, v98
	s_delay_alu instid0(VALU_DEP_2) | instskip(NEXT) | instid1(VALU_DEP_2)
	v_dual_mov_b32 v97, v37 :: v_dual_add_nc_u32 v98, 14, v99
	v_add_nc_u32_e32 v96, v87, v96
                                        ; implicit-def: $vgpr87
	s_delay_alu instid0(VALU_DEP_2)
	v_cmpx_ne_u32_e32 0, v98
	s_xor_b32 s7, exec_lo, s7
; %bb.3864:                             ;   in Loop: Header=BB2_3610 Depth=2
	s_delay_alu instid0(VALU_DEP_2) | instskip(SKIP_1) | instid1(VALU_DEP_1)
	v_cmp_lt_u64_e32 vcc_lo, 0xffffff, v[96:97]
	v_add_nc_u32_e32 v87, 15, v99
	v_cndmask_b32_e32 v87, v98, v87, vcc_lo
	v_cndmask_b32_e64 v98, 0, 1, vcc_lo
	s_delay_alu instid0(VALU_DEP_1)
	v_lshrrev_b64 v[96:97], v98, v[96:97]
; %bb.3865:                             ;   in Loop: Header=BB2_3610 Depth=2
	s_and_not1_saveexec_b32 s7, s7
; %bb.3866:                             ;   in Loop: Header=BB2_3610 Depth=2
	s_delay_alu instid0(VALU_DEP_1)
	v_bfe_u32 v87, v96, 23, 1
; %bb.3867:                             ;   in Loop: Header=BB2_3610 Depth=2
	s_or_b32 exec_lo, exec_lo, s7
	s_delay_alu instid0(VALU_DEP_2) | instskip(NEXT) | instid1(VALU_DEP_2)
	v_lshrrev_b64 v[96:97], 21, v[96:97]
	v_cmp_gt_i32_e32 vcc_lo, 32, v87
	v_min_i32_e32 v98, 31, v87
	v_cmp_eq_u32_e64 s7, 0, v87
	s_delay_alu instid0(VALU_DEP_2) | instskip(SKIP_1) | instid1(VALU_DEP_2)
	v_dual_cndmask_b32 v97, 0, v97 :: v_dual_lshlrev_b32 v98, 2, v98
	v_cndmask_b32_e32 v96, 3, v96, vcc_lo
	v_and_b32_e32 v98, 0xfc, v98
	s_delay_alu instid0(VALU_DEP_2) | instskip(NEXT) | instid1(VALU_DEP_2)
	v_cmp_eq_u64_e32 vcc_lo, 0, v[96:97]
	v_and_or_b32 v87, v96, 3, v98
	s_and_b32 s7, s7, vcc_lo
	s_delay_alu instid0(VALU_DEP_1) | instid1(SALU_CYCLE_1)
	v_cndmask_b32_e64 v87, v87, 0, s7
	s_delay_alu instid0(VALU_DEP_1)
	v_or_b32_e32 v115, v87, v30
.LBB2_3868:                             ;   in Loop: Header=BB2_3610 Depth=2
	s_or_b32 exec_lo, exec_lo, s12
                                        ; implicit-def: $vgpr30
.LBB2_3869:                             ;   in Loop: Header=BB2_3610 Depth=2
	s_and_not1_saveexec_b32 s7, s11
; %bb.3870:                             ;   in Loop: Header=BB2_3610 Depth=2
	v_or_b32_e32 v115, 0x7b, v30
; %bb.3871:                             ;   in Loop: Header=BB2_3610 Depth=2
	s_or_b32 exec_lo, exec_lo, s7
                                        ; implicit-def: $vgpr118
                                        ; implicit-def: $vgpr96_vgpr97
                                        ; implicit-def: $vgpr30
.LBB2_3872:                             ;   in Loop: Header=BB2_3610 Depth=2
	s_and_not1_saveexec_b32 s7, s10
	s_cbranch_execz .LBB2_3878
; %bb.3873:                             ;   in Loop: Header=BB2_3610 Depth=2
	s_mov_b32 s10, exec_lo
                                        ; implicit-def: $vgpr115
	v_cmpx_ne_u64_e32 0, v[96:97]
	s_xor_b32 s10, exec_lo, s10
; %bb.3874:                             ;   in Loop: Header=BB2_3610 Depth=2
	v_or_b32_e32 v115, 0x7f, v30
                                        ; implicit-def: $vgpr118
; %bb.3875:                             ;   in Loop: Header=BB2_3610 Depth=2
	s_and_not1_saveexec_b32 s10, s10
; %bb.3876:                             ;   in Loop: Header=BB2_3610 Depth=2
	v_cmp_lt_i32_e32 vcc_lo, -1, v118
	v_cndmask_b32_e32 v115, 0xfc, v46, vcc_lo
; %bb.3877:                             ;   in Loop: Header=BB2_3610 Depth=2
	s_or_b32 exec_lo, exec_lo, s10
.LBB2_3878:                             ;   in Loop: Header=BB2_3610 Depth=2
	s_delay_alu instid0(SALU_CYCLE_1)
	s_or_b32 exec_lo, exec_lo, s7
	v_lshrrev_b16 v96, 8, v36
	v_cmp_lt_i16_e32 vcc_lo, -1, v36
	v_lshrrev_b16 v98, 8, v86
	s_mov_b32 s12, -1
	v_mov_b32_e32 v97, v37
	v_and_b32_e32 v99, 0xffff, v96
	v_cndmask_b32_e32 v116, 0xff800000, v45, vcc_lo
	v_cmp_ne_u16_e64 s11, 0, v98
	s_delay_alu instid0(VALU_DEP_3) | instskip(SKIP_2) | instid1(VALU_DEP_3)
	v_and_b32_e32 v30, 3, v99
	v_and_b32_e32 v41, 0x7c, v99
	v_bfe_u32 v36, v99, 2, 5
                                        ; implicit-def: $vgpr99
	v_clz_i32_u32_e32 v87, v30
	v_cmp_eq_u32_e32 vcc_lo, 0, v30
	s_delay_alu instid0(VALU_DEP_4) | instskip(NEXT) | instid1(VALU_DEP_4)
	v_cmp_eq_u32_e64 s7, 0x7c, v41
	v_cmp_eq_u32_e64 s10, 0, v36
	s_delay_alu instid0(VALU_DEP_4)
	v_min_u32_e32 v117, 32, v87
	v_lshlrev_b32_e32 v40, 24, v96
	v_and_b32_e32 v87, 0xffff, v98
	v_cndmask_b32_e32 v116, 0x7f800001, v116, vcc_lo
	s_and_b32 vcc_lo, exec_lo, s43
	v_subrev_nc_u32_e32 v118, 29, v117
	v_sub_nc_u32_e32 v117, 30, v117
	s_delay_alu instid0(VALU_DEP_2) | instskip(SKIP_1) | instid1(VALU_DEP_2)
	v_lshlrev_b64_e32 v[118:119], v118, v[96:97]
	v_and_or_b32 v97, v40, s27, 0x38000000
	v_and_b32_e32 v118, 3, v118
	s_cbranch_vccz .LBB2_3896
; %bb.3879:                             ;   in Loop: Header=BB2_3610 Depth=2
	v_mov_b32_e32 v99, 0
	s_and_saveexec_b32 s12, s11
	s_cbranch_execz .LBB2_3889
; %bb.3880:                             ;   in Loop: Header=BB2_3610 Depth=2
	v_bfrev_b32_e32 v99, 1
	s_mov_b32 s13, exec_lo
	v_cmpx_ne_u16_e32 0x80, v98
	s_cbranch_execz .LBB2_3888
; %bb.3881:                             ;   in Loop: Header=BB2_3610 Depth=2
	v_and_b32_e32 v99, 0x7c, v87
	v_and_b32_e32 v119, 3, v87
	s_delay_alu instid0(VALU_DEP_2) | instskip(SKIP_1) | instid1(SALU_CYCLE_1)
	v_cmp_ne_u32_e32 vcc_lo, 0x7c, v99
                                        ; implicit-def: $vgpr99
	s_and_saveexec_b32 s44, vcc_lo
	s_xor_b32 s44, exec_lo, s44
	s_cbranch_execz .LBB2_3885
; %bb.3882:                             ;   in Loop: Header=BB2_3610 Depth=2
	v_bfe_u32 v99, v87, 2, 5
	s_mov_b32 s45, exec_lo
	s_delay_alu instid0(VALU_DEP_1)
	v_cmpx_eq_u32_e32 0, v99
; %bb.3883:                             ;   in Loop: Header=BB2_3610 Depth=2
	v_clz_i32_u32_e32 v99, v119
	s_delay_alu instid0(VALU_DEP_1) | instskip(SKIP_1) | instid1(VALU_DEP_2)
	v_min_u32_e32 v119, 32, v99
	v_mov_b32_e32 v99, v37
	v_subrev_nc_u32_e32 v40, 29, v119
	s_delay_alu instid0(VALU_DEP_1) | instskip(NEXT) | instid1(VALU_DEP_1)
	v_lshlrev_b64_e32 v[40:41], v40, v[98:99]
	v_dual_sub_nc_u32 v99, 30, v119 :: v_dual_bitop2_b32 v119, 3, v40 bitop3:0x40
; %bb.3884:                             ;   in Loop: Header=BB2_3610 Depth=2
	s_or_b32 exec_lo, exec_lo, s45
	v_lshlrev_b32_e32 v40, 16, v86
	s_delay_alu instid0(VALU_DEP_1) | instskip(NEXT) | instid1(VALU_DEP_1)
	v_and_b32_e32 v40, 0x80000000, v40
	v_lshl_add_u32 v99, v99, 23, v40
	s_delay_alu instid0(VALU_DEP_1) | instskip(NEXT) | instid1(VALU_DEP_1)
	v_lshl_or_b32 v99, v119, 21, v99
                                        ; implicit-def: $vgpr119
	v_add_nc_u32_e32 v99, 0x38000000, v99
.LBB2_3885:                             ;   in Loop: Header=BB2_3610 Depth=2
	s_and_not1_saveexec_b32 s44, s44
; %bb.3886:                             ;   in Loop: Header=BB2_3610 Depth=2
	v_cmp_lt_i16_e32 vcc_lo, -1, v86
	v_cndmask_b32_e32 v99, 0xff800000, v45, vcc_lo
	v_cmp_eq_u32_e32 vcc_lo, 0, v119
	s_delay_alu instid0(VALU_DEP_2)
	v_cndmask_b32_e32 v99, 0x7f800001, v99, vcc_lo
; %bb.3887:                             ;   in Loop: Header=BB2_3610 Depth=2
	s_or_b32 exec_lo, exec_lo, s44
.LBB2_3888:                             ;   in Loop: Header=BB2_3610 Depth=2
	s_delay_alu instid0(SALU_CYCLE_1)
	s_or_b32 exec_lo, exec_lo, s13
.LBB2_3889:                             ;   in Loop: Header=BB2_3610 Depth=2
	s_delay_alu instid0(SALU_CYCLE_1)
	s_or_b32 exec_lo, exec_lo, s12
	s_mov_b32 s12, 0
	s_mov_b32 s13, exec_lo
	v_cmpx_lt_i16_e32 0x7f, v96
	s_xor_b32 s13, exec_lo, s13
	s_cbranch_execz .LBB2_4473
; %bb.3890:                             ;   in Loop: Header=BB2_3610 Depth=2
	s_mov_b32 s12, -1
	s_mov_b32 s44, exec_lo
	v_cmpx_eq_u16_e32 0x80, v96
; %bb.3891:                             ;   in Loop: Header=BB2_3610 Depth=2
	s_xor_b32 s12, exec_lo, -1
; %bb.3892:                             ;   in Loop: Header=BB2_3610 Depth=2
	s_or_b32 exec_lo, exec_lo, s44
	s_delay_alu instid0(SALU_CYCLE_1)
	s_and_b32 s12, s12, exec_lo
	s_or_saveexec_b32 s13, s13
	v_bfrev_b32_e32 v119, 1
	s_xor_b32 exec_lo, exec_lo, s13
	s_cbranch_execnz .LBB2_4474
.LBB2_3893:                             ;   in Loop: Header=BB2_3610 Depth=2
	s_or_b32 exec_lo, exec_lo, s13
	s_and_saveexec_b32 s13, s12
.LBB2_3894:                             ;   in Loop: Header=BB2_3610 Depth=2
	v_dual_cndmask_b32 v119, v36, v117, s10 :: v_dual_cndmask_b32 v40, v30, v118, s10
	s_delay_alu instid0(VALU_DEP_1) | instskip(NEXT) | instid1(VALU_DEP_1)
	v_lshl_add_u32 v119, v119, 23, v97
	v_lshl_or_b32 v119, v40, 21, v119
	s_delay_alu instid0(VALU_DEP_1)
	v_cndmask_b32_e64 v119, v119, v116, s7
.LBB2_3895:                             ;   in Loop: Header=BB2_3610 Depth=2
	s_or_b32 exec_lo, exec_lo, s13
	s_delay_alu instid0(VALU_DEP_1) | instskip(SKIP_2) | instid1(VALU_DEP_1)
	v_max_num_f32_e32 v119, v119, v119
	v_max_num_f32_e32 v99, v99, v99
	s_mov_b32 s12, 0
	v_max_num_f32_e32 v99, v99, v119
.LBB2_3896:                             ;   in Loop: Header=BB2_3610 Depth=2
	s_and_b32 vcc_lo, exec_lo, s12
	s_cbranch_vccz .LBB2_3914
; %bb.3897:                             ;   in Loop: Header=BB2_3610 Depth=2
	v_mov_b32_e32 v99, 0
	s_and_saveexec_b32 s12, s11
	s_cbranch_execz .LBB2_3907
; %bb.3898:                             ;   in Loop: Header=BB2_3610 Depth=2
	v_bfrev_b32_e32 v99, 1
	s_mov_b32 s11, exec_lo
	v_cmpx_ne_u16_e32 0x80, v98
	s_cbranch_execz .LBB2_3906
; %bb.3899:                             ;   in Loop: Header=BB2_3610 Depth=2
	v_and_b32_e32 v99, 0x7c, v87
	v_and_b32_e32 v119, 3, v87
	s_delay_alu instid0(VALU_DEP_2) | instskip(SKIP_1) | instid1(SALU_CYCLE_1)
	v_cmp_ne_u32_e32 vcc_lo, 0x7c, v99
                                        ; implicit-def: $vgpr99
	s_and_saveexec_b32 s13, vcc_lo
	s_xor_b32 s13, exec_lo, s13
	s_cbranch_execz .LBB2_3903
; %bb.3900:                             ;   in Loop: Header=BB2_3610 Depth=2
	v_bfe_u32 v87, v87, 2, 5
	s_mov_b32 s44, exec_lo
	s_delay_alu instid0(VALU_DEP_1)
	v_cmpx_eq_u32_e32 0, v87
	s_cbranch_execz .LBB2_3902
; %bb.3901:                             ;   in Loop: Header=BB2_3610 Depth=2
	v_clz_i32_u32_e32 v87, v119
	s_delay_alu instid0(VALU_DEP_1) | instskip(SKIP_1) | instid1(VALU_DEP_2)
	v_min_u32_e32 v87, 32, v87
	v_mov_b32_e32 v99, v37
	v_subrev_nc_u32_e32 v119, 29, v87
	v_sub_nc_u32_e32 v87, 30, v87
	s_delay_alu instid0(VALU_DEP_2) | instskip(NEXT) | instid1(VALU_DEP_1)
	v_lshlrev_b64_e32 v[98:99], v119, v[98:99]
	v_and_b32_e32 v119, 3, v98
.LBB2_3902:                             ;   in Loop: Header=BB2_3610 Depth=2
	s_or_b32 exec_lo, exec_lo, s44
	v_lshlrev_b32_e32 v86, 16, v86
	s_delay_alu instid0(VALU_DEP_1) | instskip(NEXT) | instid1(VALU_DEP_1)
	v_and_b32_e32 v86, 0x80000000, v86
	v_lshl_add_u32 v86, v87, 23, v86
	s_delay_alu instid0(VALU_DEP_1) | instskip(NEXT) | instid1(VALU_DEP_1)
	v_lshl_or_b32 v86, v119, 21, v86
                                        ; implicit-def: $vgpr119
	v_add_nc_u32_e32 v99, 0x38000000, v86
                                        ; implicit-def: $vgpr86_vgpr87
.LBB2_3903:                             ;   in Loop: Header=BB2_3610 Depth=2
	s_and_not1_saveexec_b32 s13, s13
; %bb.3904:                             ;   in Loop: Header=BB2_3610 Depth=2
	v_cmp_lt_i16_e32 vcc_lo, -1, v86
	v_cndmask_b32_e32 v86, 0xff800000, v45, vcc_lo
	v_cmp_eq_u32_e32 vcc_lo, 0, v119
	s_delay_alu instid0(VALU_DEP_2)
	v_cndmask_b32_e32 v99, 0x7f800001, v86, vcc_lo
; %bb.3905:                             ;   in Loop: Header=BB2_3610 Depth=2
	s_or_b32 exec_lo, exec_lo, s13
.LBB2_3906:                             ;   in Loop: Header=BB2_3610 Depth=2
	s_delay_alu instid0(SALU_CYCLE_1)
	s_or_b32 exec_lo, exec_lo, s11
.LBB2_3907:                             ;   in Loop: Header=BB2_3610 Depth=2
	s_delay_alu instid0(SALU_CYCLE_1)
	s_or_b32 exec_lo, exec_lo, s12
	s_mov_b32 s11, 0
	s_mov_b32 s12, exec_lo
	v_cmpx_lt_i16_e32 0x7f, v96
	s_xor_b32 s12, exec_lo, s12
	s_cbranch_execz .LBB2_4475
; %bb.3908:                             ;   in Loop: Header=BB2_3610 Depth=2
	s_mov_b32 s11, -1
	s_mov_b32 s13, exec_lo
	v_cmpx_eq_u16_e32 0x80, v96
; %bb.3909:                             ;   in Loop: Header=BB2_3610 Depth=2
	s_xor_b32 s11, exec_lo, -1
; %bb.3910:                             ;   in Loop: Header=BB2_3610 Depth=2
	s_or_b32 exec_lo, exec_lo, s13
	s_delay_alu instid0(SALU_CYCLE_1)
	s_and_b32 s11, s11, exec_lo
                                        ; implicit-def: $vgpr96
	s_or_saveexec_b32 s12, s12
	v_bfrev_b32_e32 v86, 1
	s_xor_b32 exec_lo, exec_lo, s12
	s_cbranch_execnz .LBB2_4476
.LBB2_3911:                             ;   in Loop: Header=BB2_3610 Depth=2
	s_or_b32 exec_lo, exec_lo, s12
	s_and_saveexec_b32 s12, s11
.LBB2_3912:                             ;   in Loop: Header=BB2_3610 Depth=2
	v_dual_cndmask_b32 v36, v36, v117, s10 :: v_dual_cndmask_b32 v30, v30, v118, s10
	s_delay_alu instid0(VALU_DEP_1) | instskip(NEXT) | instid1(VALU_DEP_1)
	v_lshl_add_u32 v36, v36, 23, v97
	v_lshl_or_b32 v30, v30, 21, v36
	s_delay_alu instid0(VALU_DEP_1)
	v_cndmask_b32_e64 v86, v30, v116, s7
.LBB2_3913:                             ;   in Loop: Header=BB2_3610 Depth=2
	s_or_b32 exec_lo, exec_lo, s12
	s_delay_alu instid0(VALU_DEP_1) | instskip(NEXT) | instid1(VALU_DEP_1)
	v_dual_max_num_f32 v30, v86, v86 :: v_dual_max_num_f32 v36, v99, v99
	v_min_num_f32_e32 v99, v36, v30
.LBB2_3914:                             ;   in Loop: Header=BB2_3610 Depth=2
	s_delay_alu instid0(VALU_DEP_1) | instskip(SKIP_3) | instid1(VALU_DEP_2)
	v_and_b32_e32 v86, 0x7f800000, v99
	v_dual_mov_b32 v87, v37 :: v_dual_lshrrev_b32 v30, 24, v99
	v_and_b32_e32 v36, 0x7fffff, v99
                                        ; implicit-def: $vgpr98
	s_mov_b32 s7, exec_lo
	v_cmpx_ne_u64_e32 0x7f800000, v[86:87]
	s_xor_b32 s10, exec_lo, s7
	s_cbranch_execz .LBB2_3928
; %bb.3915:                             ;   in Loop: Header=BB2_3610 Depth=2
	v_and_b32_e32 v86, 0x7fffffff, v99
	v_mov_b32_e32 v87, v37
	v_and_b32_e32 v30, 0x80, v30
                                        ; implicit-def: $vgpr98
	s_mov_b32 s7, exec_lo
	s_delay_alu instid0(VALU_DEP_2)
	v_cmpx_gt_u64_e32 0x47600001, v[86:87]
	s_xor_b32 s11, exec_lo, s7
	s_cbranch_execz .LBB2_3925
; %bb.3916:                             ;   in Loop: Header=BB2_3610 Depth=2
	v_mov_b32_e32 v98, 0
	s_mov_b32 s12, exec_lo
	v_cmpx_ne_u32_e32 0, v99
	s_cbranch_execz .LBB2_3924
; %bb.3917:                             ;   in Loop: Header=BB2_3610 Depth=2
	v_bfe_u32 v98, v99, 23, 8
	v_or_b32_e32 v96, 0x800000, v36
	s_delay_alu instid0(VALU_DEP_2) | instskip(SKIP_1) | instid1(VALU_DEP_2)
	v_sub_nc_u32_e32 v86, 0x71, v98
	v_cmp_gt_u32_e32 vcc_lo, 0x72, v98
	v_cndmask_b32_e32 v86, 0, v86, vcc_lo
	v_cmp_eq_u32_e32 vcc_lo, 0, v98
	s_delay_alu instid0(VALU_DEP_2) | instskip(NEXT) | instid1(VALU_DEP_1)
	v_cndmask_b32_e64 v99, v86, 0x70, vcc_lo
	v_dual_cndmask_b32 v36, v96, v36, vcc_lo :: v_dual_add_nc_u32 v86, 21, v99
	v_add_nc_u32_e32 v97, 20, v99
	s_delay_alu instid0(VALU_DEP_2) | instskip(NEXT) | instid1(VALU_DEP_2)
	v_lshlrev_b64_e64 v[86:87], v86, -1
	v_lshlrev_b64_e64 v[96:97], v97, 1
	s_delay_alu instid0(VALU_DEP_2) | instskip(NEXT) | instid1(VALU_DEP_3)
	v_bfi_b32 v117, v87, 0, 0
	v_bfi_b32 v116, v86, 0, v36
	v_lshrrev_b64 v[86:87], v99, v[36:37]
	s_delay_alu instid0(VALU_DEP_2) | instskip(NEXT) | instid1(VALU_DEP_2)
	v_cmp_eq_u64_e64 s7, v[116:117], v[96:97]
	v_mov_b64_e32 v[96:97], v[86:87]
	s_and_saveexec_b32 s13, s7
; %bb.3918:                             ;   in Loop: Header=BB2_3610 Depth=2
	v_bfe_u32 v36, v86, 21, 1
	s_delay_alu instid0(VALU_DEP_1) | instskip(NEXT) | instid1(VALU_DEP_1)
	v_add_nc_u64_e32 v[96:97], v[86:87], v[36:37]
	v_add_nc_u64_e32 v[96:97], -1, v[96:97]
; %bb.3919:                             ;   in Loop: Header=BB2_3610 Depth=2
	s_or_b32 exec_lo, exec_lo, s13
	v_add_nc_u32_e32 v36, 0xffffff81, v98
	v_lshrrev_b32_e32 v87, 23, v86
	s_mov_b32 s7, exec_lo
	s_delay_alu instid0(VALU_DEP_2) | instskip(NEXT) | instid1(VALU_DEP_1)
	v_cndmask_b32_e64 v36, v36, 0xffffff82, vcc_lo
	v_add3_u32 v97, v99, v36, v87
	v_and_b32_e32 v36, 0x1fffff, v96
                                        ; implicit-def: $vgpr96
	s_delay_alu instid0(VALU_DEP_1) | instskip(NEXT) | instid1(VALU_DEP_1)
	v_dual_add_nc_u32 v98, 14, v97 :: v_dual_add_nc_u32 v36, v36, v86
                                        ; implicit-def: $vgpr86_vgpr87
	v_cmpx_ne_u32_e32 0, v98
	s_xor_b32 s7, exec_lo, s7
; %bb.3920:                             ;   in Loop: Header=BB2_3610 Depth=2
	s_delay_alu instid0(VALU_DEP_2) | instskip(SKIP_1) | instid1(VALU_DEP_1)
	v_cmp_lt_u64_e32 vcc_lo, 0xffffff, v[36:37]
	v_add_nc_u32_e32 v86, 15, v97
	v_cndmask_b32_e32 v96, v98, v86, vcc_lo
	v_cndmask_b32_e64 v86, 0, 1, vcc_lo
	s_delay_alu instid0(VALU_DEP_1)
	v_lshrrev_b64 v[86:87], v86, v[36:37]
; %bb.3921:                             ;   in Loop: Header=BB2_3610 Depth=2
	s_and_not1_saveexec_b32 s7, s7
; %bb.3922:                             ;   in Loop: Header=BB2_3610 Depth=2
	v_mov_b64_e32 v[86:87], v[36:37]
	v_bfe_u32 v96, v36, 23, 1
; %bb.3923:                             ;   in Loop: Header=BB2_3610 Depth=2
	s_or_b32 exec_lo, exec_lo, s7
	s_delay_alu instid0(VALU_DEP_2) | instskip(NEXT) | instid1(VALU_DEP_2)
	v_lshrrev_b64 v[86:87], 21, v[86:87]
	v_cmp_gt_i32_e32 vcc_lo, 32, v96
	v_min_i32_e32 v36, 31, v96
	v_cmp_eq_u32_e64 s7, 0, v96
	s_delay_alu instid0(VALU_DEP_2) | instskip(SKIP_1) | instid1(VALU_DEP_2)
	v_dual_cndmask_b32 v87, 0, v87 :: v_dual_lshlrev_b32 v36, 2, v36
	v_cndmask_b32_e32 v86, 3, v86, vcc_lo
	v_and_b32_e32 v36, 0xfc, v36
	s_delay_alu instid0(VALU_DEP_2) | instskip(NEXT) | instid1(VALU_DEP_2)
	v_cmp_eq_u64_e32 vcc_lo, 0, v[86:87]
	v_and_or_b32 v36, v86, 3, v36
	s_and_b32 s7, s7, vcc_lo
	s_delay_alu instid0(VALU_DEP_1) | instid1(SALU_CYCLE_1)
	v_cndmask_b32_e64 v36, v36, 0, s7
	s_delay_alu instid0(VALU_DEP_1)
	v_or_b32_e32 v98, v36, v30
.LBB2_3924:                             ;   in Loop: Header=BB2_3610 Depth=2
	s_or_b32 exec_lo, exec_lo, s12
                                        ; implicit-def: $vgpr30
.LBB2_3925:                             ;   in Loop: Header=BB2_3610 Depth=2
	s_and_not1_saveexec_b32 s7, s11
; %bb.3926:                             ;   in Loop: Header=BB2_3610 Depth=2
	v_or_b32_e32 v98, 0x7b, v30
; %bb.3927:                             ;   in Loop: Header=BB2_3610 Depth=2
	s_or_b32 exec_lo, exec_lo, s7
                                        ; implicit-def: $vgpr99
                                        ; implicit-def: $vgpr30
.LBB2_3928:                             ;   in Loop: Header=BB2_3610 Depth=2
	s_and_not1_saveexec_b32 s7, s10
	s_cbranch_execz .LBB2_3934
; %bb.3929:                             ;   in Loop: Header=BB2_3610 Depth=2
	s_mov_b32 s10, exec_lo
                                        ; implicit-def: $vgpr98
	v_cmpx_ne_u64_e32 0, v[36:37]
	s_xor_b32 s10, exec_lo, s10
; %bb.3930:                             ;   in Loop: Header=BB2_3610 Depth=2
	v_or_b32_e32 v98, 0x7f, v30
                                        ; implicit-def: $vgpr99
; %bb.3931:                             ;   in Loop: Header=BB2_3610 Depth=2
	s_and_not1_saveexec_b32 s10, s10
; %bb.3932:                             ;   in Loop: Header=BB2_3610 Depth=2
	v_cmp_lt_i32_e32 vcc_lo, -1, v99
	v_cndmask_b32_e32 v98, 0xfc, v46, vcc_lo
; %bb.3933:                             ;   in Loop: Header=BB2_3610 Depth=2
	s_or_b32 exec_lo, exec_lo, s10
.LBB2_3934:                             ;   in Loop: Header=BB2_3610 Depth=2
	s_delay_alu instid0(SALU_CYCLE_1) | instskip(SKIP_4) | instid1(VALU_DEP_3)
	s_or_b32 exec_lo, exec_lo, s7
	v_bfe_u32 v36, v15, 16, 2
	v_dual_lshrrev_b32 v96, 16, v15 :: v_dual_lshlrev_b32 v99, 8, v15
	v_and_b32_e32 v87, 0x7c0000, v15
	s_mov_b32 s12, -1
	v_clz_i32_u32_e32 v86, v36
	s_delay_alu instid0(VALU_DEP_3) | instskip(NEXT) | instid1(VALU_DEP_3)
	v_bfe_i32 v116, v96, 0, 8
	v_cmp_eq_u32_e64 s7, 0x7c0000, v87
	v_and_or_b32 v87, v99, s27, 0x38000000
	s_delay_alu instid0(VALU_DEP_4) | instskip(SKIP_3) | instid1(VALU_DEP_4)
	v_min_u32_e32 v97, 32, v86
	v_lshrrev_b32_e32 v30, 16, v11
	v_cmp_lt_i16_e32 vcc_lo, -1, v116
	v_bfe_u32 v86, v15, 18, 5
	v_subrev_nc_u32_e32 v118, 29, v97
	s_delay_alu instid0(VALU_DEP_2) | instskip(NEXT) | instid1(VALU_DEP_2)
	v_cmp_eq_u32_e64 s10, 0, v86
	v_lshlrev_b64_e32 v[118:119], v118, v[96:97]
	v_cndmask_b32_e32 v96, 0xff800000, v45, vcc_lo
	v_sub_nc_u32_e32 v97, 30, v97
	v_and_b32_e32 v117, 0xff, v30
	v_cmp_eq_u32_e32 vcc_lo, 0, v36
	v_and_b32_e32 v99, 3, v118
	s_delay_alu instid0(VALU_DEP_3)
	v_cmp_ne_u16_e64 s11, 0, v117
	v_cndmask_b32_e32 v96, 0x7f800001, v96, vcc_lo
	s_and_b32 vcc_lo, exec_lo, s43
                                        ; implicit-def: $vgpr118
	s_cbranch_vccz .LBB2_3952
; %bb.3935:                             ;   in Loop: Header=BB2_3610 Depth=2
	v_mov_b32_e32 v118, 0
	s_and_saveexec_b32 s12, s11
	s_cbranch_execz .LBB2_3945
; %bb.3936:                             ;   in Loop: Header=BB2_3610 Depth=2
	v_bfrev_b32_e32 v118, 1
	s_mov_b32 s13, exec_lo
	v_cmpx_ne_u16_e32 0x80, v117
	s_cbranch_execz .LBB2_3944
; %bb.3937:                             ;   in Loop: Header=BB2_3610 Depth=2
	v_and_b32_e32 v118, 0x7c0000, v11
	v_bfe_u32 v119, v11, 16, 2
	s_delay_alu instid0(VALU_DEP_2) | instskip(SKIP_1) | instid1(SALU_CYCLE_1)
	v_cmp_ne_u32_e32 vcc_lo, 0x7c0000, v118
                                        ; implicit-def: $vgpr118
	s_and_saveexec_b32 s44, vcc_lo
	s_xor_b32 s44, exec_lo, s44
	s_cbranch_execz .LBB2_3941
; %bb.3938:                             ;   in Loop: Header=BB2_3610 Depth=2
	v_bfe_u32 v118, v11, 18, 5
	s_mov_b32 s45, exec_lo
	s_delay_alu instid0(VALU_DEP_1)
	v_cmpx_eq_u32_e32 0, v118
; %bb.3939:                             ;   in Loop: Header=BB2_3610 Depth=2
	v_clz_i32_u32_e32 v118, v119
	s_delay_alu instid0(VALU_DEP_1) | instskip(NEXT) | instid1(VALU_DEP_1)
	v_min_u32_e32 v118, 32, v118
	v_subrev_nc_u32_e32 v119, 29, v118
	s_delay_alu instid0(VALU_DEP_1) | instskip(NEXT) | instid1(VALU_DEP_1)
	v_lshlrev_b64_e32 v[40:41], v119, v[30:31]
	v_dual_sub_nc_u32 v118, 30, v118 :: v_dual_bitop2_b32 v119, 3, v40 bitop3:0x40
; %bb.3940:                             ;   in Loop: Header=BB2_3610 Depth=2
	s_or_b32 exec_lo, exec_lo, s45
	v_lshlrev_b32_e32 v40, 24, v30
	s_delay_alu instid0(VALU_DEP_1) | instskip(NEXT) | instid1(VALU_DEP_1)
	v_and_b32_e32 v40, 0x80000000, v40
	v_lshl_add_u32 v118, v118, 23, v40
	s_delay_alu instid0(VALU_DEP_1) | instskip(NEXT) | instid1(VALU_DEP_1)
	v_lshl_or_b32 v118, v119, 21, v118
                                        ; implicit-def: $vgpr119
	v_add_nc_u32_e32 v118, 0x38000000, v118
.LBB2_3941:                             ;   in Loop: Header=BB2_3610 Depth=2
	s_and_not1_saveexec_b32 s44, s44
; %bb.3942:                             ;   in Loop: Header=BB2_3610 Depth=2
	v_bfe_i32 v118, v30, 0, 8
	s_delay_alu instid0(VALU_DEP_1) | instskip(SKIP_2) | instid1(VALU_DEP_2)
	v_cmp_lt_i16_e32 vcc_lo, -1, v118
	v_cndmask_b32_e32 v118, 0xff800000, v45, vcc_lo
	v_cmp_eq_u32_e32 vcc_lo, 0, v119
	v_cndmask_b32_e32 v118, 0x7f800001, v118, vcc_lo
; %bb.3943:                             ;   in Loop: Header=BB2_3610 Depth=2
	s_or_b32 exec_lo, exec_lo, s44
.LBB2_3944:                             ;   in Loop: Header=BB2_3610 Depth=2
	s_delay_alu instid0(SALU_CYCLE_1)
	s_or_b32 exec_lo, exec_lo, s13
.LBB2_3945:                             ;   in Loop: Header=BB2_3610 Depth=2
	s_delay_alu instid0(SALU_CYCLE_1) | instskip(SKIP_3) | instid1(VALU_DEP_1)
	s_or_b32 exec_lo, exec_lo, s12
	v_and_b32_e32 v40, 0xff, v116
	s_mov_b32 s12, 0
	s_mov_b32 s13, exec_lo
	v_cmpx_lt_i16_e32 0x7f, v40
	s_xor_b32 s13, exec_lo, s13
	s_cbranch_execz .LBB2_4477
; %bb.3946:                             ;   in Loop: Header=BB2_3610 Depth=2
	s_mov_b32 s12, -1
	s_mov_b32 s44, exec_lo
	v_cmpx_eq_u16_e32 0x80, v40
; %bb.3947:                             ;   in Loop: Header=BB2_3610 Depth=2
	s_xor_b32 s12, exec_lo, -1
; %bb.3948:                             ;   in Loop: Header=BB2_3610 Depth=2
	s_or_b32 exec_lo, exec_lo, s44
	s_delay_alu instid0(SALU_CYCLE_1)
	s_and_b32 s12, s12, exec_lo
                                        ; implicit-def: $vgpr40
	s_or_saveexec_b32 s13, s13
	v_bfrev_b32_e32 v119, 1
	s_xor_b32 exec_lo, exec_lo, s13
	s_cbranch_execnz .LBB2_4478
.LBB2_3949:                             ;   in Loop: Header=BB2_3610 Depth=2
	s_or_b32 exec_lo, exec_lo, s13
	s_and_saveexec_b32 s13, s12
.LBB2_3950:                             ;   in Loop: Header=BB2_3610 Depth=2
	v_dual_cndmask_b32 v119, v86, v97, s10 :: v_dual_cndmask_b32 v40, v36, v99, s10
	s_delay_alu instid0(VALU_DEP_1) | instskip(NEXT) | instid1(VALU_DEP_1)
	v_lshl_add_u32 v119, v119, 23, v87
	v_lshl_or_b32 v119, v40, 21, v119
	s_delay_alu instid0(VALU_DEP_1)
	v_cndmask_b32_e64 v119, v119, v96, s7
.LBB2_3951:                             ;   in Loop: Header=BB2_3610 Depth=2
	s_or_b32 exec_lo, exec_lo, s13
	s_delay_alu instid0(VALU_DEP_1) | instskip(SKIP_1) | instid1(VALU_DEP_1)
	v_dual_max_num_f32 v119, v119, v119 :: v_dual_max_num_f32 v118, v118, v118
	s_mov_b32 s12, 0
	v_max_num_f32_e32 v118, v118, v119
.LBB2_3952:                             ;   in Loop: Header=BB2_3610 Depth=2
	s_and_b32 vcc_lo, exec_lo, s12
	s_cbranch_vccz .LBB2_3970
; %bb.3953:                             ;   in Loop: Header=BB2_3610 Depth=2
	v_mov_b32_e32 v118, 0
	s_and_saveexec_b32 s12, s11
	s_cbranch_execz .LBB2_3963
; %bb.3954:                             ;   in Loop: Header=BB2_3610 Depth=2
	v_bfrev_b32_e32 v118, 1
	s_mov_b32 s11, exec_lo
	v_cmpx_ne_u16_e32 0x80, v117
	s_cbranch_execz .LBB2_3962
; %bb.3955:                             ;   in Loop: Header=BB2_3610 Depth=2
	v_and_b32_e32 v118, 0x7c0000, v11
	v_bfe_u32 v117, v11, 16, 2
	s_delay_alu instid0(VALU_DEP_2) | instskip(SKIP_1) | instid1(SALU_CYCLE_1)
	v_cmp_ne_u32_e32 vcc_lo, 0x7c0000, v118
                                        ; implicit-def: $vgpr118
	s_and_saveexec_b32 s13, vcc_lo
	s_xor_b32 s13, exec_lo, s13
	s_cbranch_execz .LBB2_3959
; %bb.3956:                             ;   in Loop: Header=BB2_3610 Depth=2
	v_bfe_u32 v118, v11, 18, 5
	s_mov_b32 s44, exec_lo
	s_delay_alu instid0(VALU_DEP_1)
	v_cmpx_eq_u32_e32 0, v118
; %bb.3957:                             ;   in Loop: Header=BB2_3610 Depth=2
	v_clz_i32_u32_e32 v117, v117
	s_delay_alu instid0(VALU_DEP_1) | instskip(NEXT) | instid1(VALU_DEP_1)
	v_min_u32_e32 v117, 32, v117
	v_subrev_nc_u32_e32 v118, 29, v117
	s_delay_alu instid0(VALU_DEP_1) | instskip(NEXT) | instid1(VALU_DEP_1)
	v_lshlrev_b64_e32 v[40:41], v118, v[30:31]
	v_dual_sub_nc_u32 v118, 30, v117 :: v_dual_bitop2_b32 v117, 3, v40 bitop3:0x40
; %bb.3958:                             ;   in Loop: Header=BB2_3610 Depth=2
	s_or_b32 exec_lo, exec_lo, s44
	v_lshlrev_b32_e32 v30, 24, v30
	s_delay_alu instid0(VALU_DEP_1) | instskip(NEXT) | instid1(VALU_DEP_1)
	v_and_b32_e32 v30, 0x80000000, v30
	v_lshl_add_u32 v30, v118, 23, v30
	s_delay_alu instid0(VALU_DEP_1) | instskip(NEXT) | instid1(VALU_DEP_1)
	v_lshl_or_b32 v30, v117, 21, v30
                                        ; implicit-def: $vgpr117
	v_add_nc_u32_e32 v118, 0x38000000, v30
                                        ; implicit-def: $vgpr30
.LBB2_3959:                             ;   in Loop: Header=BB2_3610 Depth=2
	s_and_not1_saveexec_b32 s13, s13
; %bb.3960:                             ;   in Loop: Header=BB2_3610 Depth=2
	v_bfe_i32 v30, v30, 0, 8
	s_delay_alu instid0(VALU_DEP_1) | instskip(SKIP_2) | instid1(VALU_DEP_2)
	v_cmp_lt_i16_e32 vcc_lo, -1, v30
	v_cndmask_b32_e32 v30, 0xff800000, v45, vcc_lo
	v_cmp_eq_u32_e32 vcc_lo, 0, v117
	v_cndmask_b32_e32 v118, 0x7f800001, v30, vcc_lo
; %bb.3961:                             ;   in Loop: Header=BB2_3610 Depth=2
	s_or_b32 exec_lo, exec_lo, s13
.LBB2_3962:                             ;   in Loop: Header=BB2_3610 Depth=2
	s_delay_alu instid0(SALU_CYCLE_1)
	s_or_b32 exec_lo, exec_lo, s11
.LBB2_3963:                             ;   in Loop: Header=BB2_3610 Depth=2
	s_delay_alu instid0(SALU_CYCLE_1) | instskip(SKIP_3) | instid1(VALU_DEP_1)
	s_or_b32 exec_lo, exec_lo, s12
	v_and_b32_e32 v116, 0xff, v116
	s_mov_b32 s11, 0
	s_mov_b32 s12, exec_lo
	v_cmpx_lt_i16_e32 0x7f, v116
	s_xor_b32 s12, exec_lo, s12
	s_cbranch_execz .LBB2_4479
; %bb.3964:                             ;   in Loop: Header=BB2_3610 Depth=2
	s_mov_b32 s11, -1
	s_mov_b32 s13, exec_lo
	v_cmpx_eq_u16_e32 0x80, v116
; %bb.3965:                             ;   in Loop: Header=BB2_3610 Depth=2
	s_xor_b32 s11, exec_lo, -1
; %bb.3966:                             ;   in Loop: Header=BB2_3610 Depth=2
	s_or_b32 exec_lo, exec_lo, s13
	s_delay_alu instid0(SALU_CYCLE_1)
	s_and_b32 s11, s11, exec_lo
                                        ; implicit-def: $vgpr116
	s_or_saveexec_b32 s12, s12
	v_bfrev_b32_e32 v30, 1
	s_xor_b32 exec_lo, exec_lo, s12
	s_cbranch_execnz .LBB2_4480
.LBB2_3967:                             ;   in Loop: Header=BB2_3610 Depth=2
	s_or_b32 exec_lo, exec_lo, s12
	s_and_saveexec_b32 s12, s11
.LBB2_3968:                             ;   in Loop: Header=BB2_3610 Depth=2
	v_dual_cndmask_b32 v30, v86, v97, s10 :: v_dual_cndmask_b32 v36, v36, v99, s10
	s_delay_alu instid0(VALU_DEP_1) | instskip(NEXT) | instid1(VALU_DEP_1)
	v_lshl_add_u32 v30, v30, 23, v87
	v_lshl_or_b32 v30, v36, 21, v30
	s_delay_alu instid0(VALU_DEP_1)
	v_cndmask_b32_e64 v30, v30, v96, s7
.LBB2_3969:                             ;   in Loop: Header=BB2_3610 Depth=2
	s_or_b32 exec_lo, exec_lo, s12
	s_delay_alu instid0(VALU_DEP_1) | instskip(SKIP_1) | instid1(VALU_DEP_1)
	v_max_num_f32_e32 v30, v30, v30
	v_max_num_f32_e32 v36, v118, v118
	v_min_num_f32_e32 v118, v36, v30
.LBB2_3970:                             ;   in Loop: Header=BB2_3610 Depth=2
	s_delay_alu instid0(VALU_DEP_1) | instskip(SKIP_3) | instid1(VALU_DEP_2)
	v_and_b32_e32 v86, 0x7f800000, v118
	v_dual_mov_b32 v87, v37 :: v_dual_lshrrev_b32 v30, 24, v118
	v_and_b32_e32 v36, 0x7fffff, v118
                                        ; implicit-def: $vgpr96
	s_mov_b32 s7, exec_lo
	v_cmpx_ne_u64_e32 0x7f800000, v[86:87]
	s_xor_b32 s10, exec_lo, s7
	s_cbranch_execz .LBB2_3984
; %bb.3971:                             ;   in Loop: Header=BB2_3610 Depth=2
	v_and_b32_e32 v86, 0x7fffffff, v118
	v_mov_b32_e32 v87, v37
	v_and_b32_e32 v30, 0x80, v30
                                        ; implicit-def: $vgpr96
	s_mov_b32 s7, exec_lo
	s_delay_alu instid0(VALU_DEP_2)
	v_cmpx_gt_u64_e32 0x47600001, v[86:87]
	s_xor_b32 s11, exec_lo, s7
	s_cbranch_execz .LBB2_3981
; %bb.3972:                             ;   in Loop: Header=BB2_3610 Depth=2
	v_mov_b32_e32 v96, 0
	s_mov_b32 s12, exec_lo
	v_cmpx_ne_u32_e32 0, v118
	s_cbranch_execz .LBB2_3980
; %bb.3973:                             ;   in Loop: Header=BB2_3610 Depth=2
	v_bfe_u32 v99, v118, 23, 8
	v_or_b32_e32 v96, 0x800000, v36
	s_delay_alu instid0(VALU_DEP_2) | instskip(SKIP_1) | instid1(VALU_DEP_2)
	v_sub_nc_u32_e32 v86, 0x71, v99
	v_cmp_gt_u32_e32 vcc_lo, 0x72, v99
	v_cndmask_b32_e32 v86, 0, v86, vcc_lo
	v_cmp_eq_u32_e32 vcc_lo, 0, v99
	s_delay_alu instid0(VALU_DEP_2) | instskip(SKIP_1) | instid1(VALU_DEP_2)
	v_cndmask_b32_e64 v116, v86, 0x70, vcc_lo
	v_cndmask_b32_e32 v36, v96, v36, vcc_lo
	v_dual_add_nc_u32 v86, 21, v116 :: v_dual_add_nc_u32 v97, 20, v116
	s_delay_alu instid0(VALU_DEP_1) | instskip(NEXT) | instid1(VALU_DEP_2)
	v_lshlrev_b64_e64 v[86:87], v86, -1
	v_lshlrev_b64_e64 v[96:97], v97, 1
	s_delay_alu instid0(VALU_DEP_2) | instskip(NEXT) | instid1(VALU_DEP_3)
	v_bfi_b32 v119, v87, 0, 0
	v_bfi_b32 v118, v86, 0, v36
	v_lshrrev_b64 v[86:87], v116, v[36:37]
	s_delay_alu instid0(VALU_DEP_2) | instskip(NEXT) | instid1(VALU_DEP_2)
	v_cmp_eq_u64_e64 s7, v[118:119], v[96:97]
	v_mov_b64_e32 v[96:97], v[86:87]
	s_and_saveexec_b32 s13, s7
; %bb.3974:                             ;   in Loop: Header=BB2_3610 Depth=2
	v_bfe_u32 v36, v86, 21, 1
	s_delay_alu instid0(VALU_DEP_1) | instskip(NEXT) | instid1(VALU_DEP_1)
	v_add_nc_u64_e32 v[96:97], v[86:87], v[36:37]
	v_add_nc_u64_e32 v[96:97], -1, v[96:97]
; %bb.3975:                             ;   in Loop: Header=BB2_3610 Depth=2
	s_or_b32 exec_lo, exec_lo, s13
	v_add_nc_u32_e32 v36, 0xffffff81, v99
	v_lshrrev_b32_e32 v87, 23, v86
	s_mov_b32 s7, exec_lo
	s_delay_alu instid0(VALU_DEP_2) | instskip(NEXT) | instid1(VALU_DEP_1)
	v_cndmask_b32_e64 v36, v36, 0xffffff82, vcc_lo
	v_add3_u32 v97, v116, v36, v87
	v_and_b32_e32 v36, 0x1fffff, v96
                                        ; implicit-def: $vgpr96
	s_delay_alu instid0(VALU_DEP_1) | instskip(NEXT) | instid1(VALU_DEP_1)
	v_dual_add_nc_u32 v99, 14, v97 :: v_dual_add_nc_u32 v36, v36, v86
                                        ; implicit-def: $vgpr86_vgpr87
	v_cmpx_ne_u32_e32 0, v99
	s_xor_b32 s7, exec_lo, s7
; %bb.3976:                             ;   in Loop: Header=BB2_3610 Depth=2
	s_delay_alu instid0(VALU_DEP_2) | instskip(SKIP_1) | instid1(VALU_DEP_1)
	v_cmp_lt_u64_e32 vcc_lo, 0xffffff, v[36:37]
	v_add_nc_u32_e32 v86, 15, v97
	v_cndmask_b32_e32 v96, v99, v86, vcc_lo
	v_cndmask_b32_e64 v86, 0, 1, vcc_lo
	s_delay_alu instid0(VALU_DEP_1)
	v_lshrrev_b64 v[86:87], v86, v[36:37]
; %bb.3977:                             ;   in Loop: Header=BB2_3610 Depth=2
	s_and_not1_saveexec_b32 s7, s7
; %bb.3978:                             ;   in Loop: Header=BB2_3610 Depth=2
	v_mov_b64_e32 v[86:87], v[36:37]
	v_bfe_u32 v96, v36, 23, 1
; %bb.3979:                             ;   in Loop: Header=BB2_3610 Depth=2
	s_or_b32 exec_lo, exec_lo, s7
	s_delay_alu instid0(VALU_DEP_2) | instskip(NEXT) | instid1(VALU_DEP_2)
	v_lshrrev_b64 v[86:87], 21, v[86:87]
	v_cmp_gt_i32_e32 vcc_lo, 32, v96
	v_min_i32_e32 v36, 31, v96
	v_cmp_eq_u32_e64 s7, 0, v96
	s_delay_alu instid0(VALU_DEP_2) | instskip(SKIP_1) | instid1(VALU_DEP_2)
	v_dual_cndmask_b32 v87, 0, v87 :: v_dual_lshlrev_b32 v36, 2, v36
	v_cndmask_b32_e32 v86, 3, v86, vcc_lo
	v_and_b32_e32 v36, 0xfc, v36
	s_delay_alu instid0(VALU_DEP_2) | instskip(NEXT) | instid1(VALU_DEP_2)
	v_cmp_eq_u64_e32 vcc_lo, 0, v[86:87]
	v_and_or_b32 v36, v86, 3, v36
	s_and_b32 s7, s7, vcc_lo
	s_delay_alu instid0(VALU_DEP_1) | instid1(SALU_CYCLE_1)
	v_cndmask_b32_e64 v36, v36, 0, s7
	s_delay_alu instid0(VALU_DEP_1)
	v_or_b32_e32 v96, v36, v30
.LBB2_3980:                             ;   in Loop: Header=BB2_3610 Depth=2
	s_or_b32 exec_lo, exec_lo, s12
                                        ; implicit-def: $vgpr30
.LBB2_3981:                             ;   in Loop: Header=BB2_3610 Depth=2
	s_and_not1_saveexec_b32 s7, s11
; %bb.3982:                             ;   in Loop: Header=BB2_3610 Depth=2
	v_or_b32_e32 v96, 0x7b, v30
; %bb.3983:                             ;   in Loop: Header=BB2_3610 Depth=2
	s_or_b32 exec_lo, exec_lo, s7
                                        ; implicit-def: $vgpr118
                                        ; implicit-def: $vgpr30
.LBB2_3984:                             ;   in Loop: Header=BB2_3610 Depth=2
	s_and_not1_saveexec_b32 s7, s10
	s_cbranch_execz .LBB2_3990
; %bb.3985:                             ;   in Loop: Header=BB2_3610 Depth=2
	s_mov_b32 s10, exec_lo
                                        ; implicit-def: $vgpr96
	v_cmpx_ne_u64_e32 0, v[36:37]
	s_xor_b32 s10, exec_lo, s10
; %bb.3986:                             ;   in Loop: Header=BB2_3610 Depth=2
	v_or_b32_e32 v96, 0x7f, v30
                                        ; implicit-def: $vgpr118
; %bb.3987:                             ;   in Loop: Header=BB2_3610 Depth=2
	s_and_not1_saveexec_b32 s10, s10
; %bb.3988:                             ;   in Loop: Header=BB2_3610 Depth=2
	v_cmp_lt_i32_e32 vcc_lo, -1, v118
	v_cndmask_b32_e32 v96, 0xfc, v46, vcc_lo
; %bb.3989:                             ;   in Loop: Header=BB2_3610 Depth=2
	s_or_b32 exec_lo, exec_lo, s10
.LBB2_3990:                             ;   in Loop: Header=BB2_3610 Depth=2
	s_delay_alu instid0(SALU_CYCLE_1)
	s_or_b32 exec_lo, exec_lo, s7
	v_bfe_u32 v36, v15, 24, 2
	v_lshrrev_b32_e32 v116, 24, v15
	v_cmp_lt_i64_e32 vcc_lo, -1, v[14:15]
	v_cmp_gt_u64_e64 s7, s[16:17], v[14:15]
	v_and_b32_e32 v99, 0x7c000000, v15
	v_clz_i32_u32_e32 v86, v36
	v_cmp_lt_u64_e64 s13, s[18:19], v[10:11]
	v_and_or_b32 v87, v15, s27, 0x38000000
	s_mov_b32 s44, -1
	v_cndmask_b32_e32 v14, 0xff800000, v45, vcc_lo
	v_min_u32_e32 v97, 32, v86
	v_bfe_u32 v86, v15, 26, 5
	v_cmp_eq_u32_e32 vcc_lo, 0, v36
	v_lshrrev_b32_e32 v30, 24, v11
	v_cmp_eq_u32_e64 s11, 0x7c000000, v99
	v_subrev_nc_u32_e32 v117, 29, v97
	v_cmp_eq_u32_e64 s12, 0, v86
	v_dual_cndmask_b32 v14, 0x7f800001, v14 :: v_dual_sub_nc_u32 v15, 30, v97
	s_and_b32 vcc_lo, exec_lo, s43
	v_lshlrev_b64_e32 v[118:119], v117, v[116:117]
                                        ; implicit-def: $vgpr99
	s_delay_alu instid0(VALU_DEP_1)
	v_and_b32_e32 v97, 3, v118
	v_cmp_eq_u32_e64 s10, 0x80, v116
	s_cbranch_vccz .LBB2_4002
; %bb.3991:                             ;   in Loop: Header=BB2_3610 Depth=2
	v_mov_b32_e32 v99, 0
	s_and_saveexec_b32 s44, s13
	s_cbranch_execz .LBB2_4001
; %bb.3992:                             ;   in Loop: Header=BB2_3610 Depth=2
	v_bfrev_b32_e32 v99, 1
	s_mov_b32 s45, exec_lo
	v_cmpx_ne_u32_e32 0x80, v30
	s_cbranch_execz .LBB2_4000
; %bb.3993:                             ;   in Loop: Header=BB2_3610 Depth=2
	v_and_b32_e32 v99, 0x7c000000, v11
	v_bfe_u32 v116, v11, 24, 2
	s_delay_alu instid0(VALU_DEP_2) | instskip(SKIP_1) | instid1(SALU_CYCLE_1)
	v_cmp_ne_u32_e32 vcc_lo, 0x7c000000, v99
                                        ; implicit-def: $vgpr99
	s_and_saveexec_b32 s46, vcc_lo
	s_xor_b32 s46, exec_lo, s46
	s_cbranch_execz .LBB2_3997
; %bb.3994:                             ;   in Loop: Header=BB2_3610 Depth=2
	v_bfe_u32 v99, v11, 26, 5
	s_mov_b32 s47, exec_lo
	s_delay_alu instid0(VALU_DEP_1)
	v_cmpx_eq_u32_e32 0, v99
; %bb.3995:                             ;   in Loop: Header=BB2_3610 Depth=2
	v_clz_i32_u32_e32 v99, v116
	s_delay_alu instid0(VALU_DEP_1) | instskip(NEXT) | instid1(VALU_DEP_1)
	v_min_u32_e32 v99, 32, v99
	v_subrev_nc_u32_e32 v116, 29, v99
	s_delay_alu instid0(VALU_DEP_1) | instskip(NEXT) | instid1(VALU_DEP_1)
	v_lshlrev_b64_e32 v[116:117], v116, v[30:31]
	v_dual_sub_nc_u32 v99, 30, v99 :: v_dual_bitop2_b32 v116, 3, v116 bitop3:0x40
; %bb.3996:                             ;   in Loop: Header=BB2_3610 Depth=2
	s_or_b32 exec_lo, exec_lo, s47
	v_and_b32_e32 v117, 0x80000000, v11
	s_delay_alu instid0(VALU_DEP_1) | instskip(NEXT) | instid1(VALU_DEP_1)
	v_lshl_add_u32 v99, v99, 23, v117
	v_lshl_or_b32 v99, v116, 21, v99
                                        ; implicit-def: $vgpr116
	s_delay_alu instid0(VALU_DEP_1)
	v_add_nc_u32_e32 v99, 0x38000000, v99
.LBB2_3997:                             ;   in Loop: Header=BB2_3610 Depth=2
	s_and_not1_saveexec_b32 s46, s46
; %bb.3998:                             ;   in Loop: Header=BB2_3610 Depth=2
	v_cmp_lt_i64_e32 vcc_lo, -1, v[10:11]
	v_cndmask_b32_e32 v99, 0xff800000, v45, vcc_lo
	v_cmp_eq_u32_e32 vcc_lo, 0, v116
	s_delay_alu instid0(VALU_DEP_2)
	v_cndmask_b32_e32 v99, 0x7f800001, v99, vcc_lo
; %bb.3999:                             ;   in Loop: Header=BB2_3610 Depth=2
	s_or_b32 exec_lo, exec_lo, s46
.LBB2_4000:                             ;   in Loop: Header=BB2_3610 Depth=2
	s_delay_alu instid0(SALU_CYCLE_1)
	s_or_b32 exec_lo, exec_lo, s45
.LBB2_4001:                             ;   in Loop: Header=BB2_3610 Depth=2
	s_delay_alu instid0(SALU_CYCLE_1) | instskip(SKIP_3) | instid1(VALU_DEP_2)
	s_or_b32 exec_lo, exec_lo, s44
	v_dual_cndmask_b32 v116, v86, v15, s12 :: v_dual_cndmask_b32 v117, v36, v97, s12
	s_mov_b32 s44, 0
	v_max_num_f32_e32 v99, v99, v99
	v_lshl_add_u32 v116, v116, 23, v87
	s_delay_alu instid0(VALU_DEP_1) | instskip(NEXT) | instid1(VALU_DEP_1)
	v_lshl_or_b32 v116, v117, 21, v116
	v_cndmask_b32_e64 v116, v116, v14, s11
	s_delay_alu instid0(VALU_DEP_1) | instskip(NEXT) | instid1(VALU_DEP_1)
	v_cndmask_b32_e64 v116, v116, 0x80000000, s10
	v_cndmask_b32_e64 v116, v116, 0, s7
	s_delay_alu instid0(VALU_DEP_1) | instskip(NEXT) | instid1(VALU_DEP_1)
	v_max_num_f32_e32 v116, v116, v116
	v_max_num_f32_e32 v99, v99, v116
.LBB2_4002:                             ;   in Loop: Header=BB2_3610 Depth=2
	s_and_b32 vcc_lo, exec_lo, s44
	s_cbranch_vccz .LBB2_4014
; %bb.4003:                             ;   in Loop: Header=BB2_3610 Depth=2
	v_mov_b32_e32 v99, 0
	s_and_saveexec_b32 s44, s13
	s_cbranch_execz .LBB2_4013
; %bb.4004:                             ;   in Loop: Header=BB2_3610 Depth=2
	v_bfrev_b32_e32 v99, 1
	s_mov_b32 s13, exec_lo
	v_cmpx_ne_u32_e32 0x80, v30
	s_cbranch_execz .LBB2_4012
; %bb.4005:                             ;   in Loop: Header=BB2_3610 Depth=2
	v_and_b32_e32 v99, 0x7c000000, v11
	v_bfe_u32 v116, v11, 24, 2
	s_delay_alu instid0(VALU_DEP_2) | instskip(SKIP_1) | instid1(SALU_CYCLE_1)
	v_cmp_ne_u32_e32 vcc_lo, 0x7c000000, v99
                                        ; implicit-def: $vgpr99
	s_and_saveexec_b32 s45, vcc_lo
	s_xor_b32 s45, exec_lo, s45
	s_cbranch_execz .LBB2_4009
; %bb.4006:                             ;   in Loop: Header=BB2_3610 Depth=2
	v_bfe_u32 v99, v11, 26, 5
	s_mov_b32 s46, exec_lo
	s_delay_alu instid0(VALU_DEP_1)
	v_cmpx_eq_u32_e32 0, v99
; %bb.4007:                             ;   in Loop: Header=BB2_3610 Depth=2
	v_clz_i32_u32_e32 v99, v116
	s_delay_alu instid0(VALU_DEP_1) | instskip(NEXT) | instid1(VALU_DEP_1)
	v_min_u32_e32 v99, 32, v99
	v_subrev_nc_u32_e32 v116, 29, v99
	s_delay_alu instid0(VALU_DEP_1) | instskip(NEXT) | instid1(VALU_DEP_1)
	v_lshlrev_b64_e32 v[116:117], v116, v[30:31]
	v_dual_sub_nc_u32 v99, 30, v99 :: v_dual_bitop2_b32 v116, 3, v116 bitop3:0x40
; %bb.4008:                             ;   in Loop: Header=BB2_3610 Depth=2
	s_or_b32 exec_lo, exec_lo, s46
	v_and_b32_e32 v30, 0x80000000, v11
	s_delay_alu instid0(VALU_DEP_1) | instskip(NEXT) | instid1(VALU_DEP_1)
	v_lshl_add_u32 v30, v99, 23, v30
	v_lshl_or_b32 v30, v116, 21, v30
                                        ; implicit-def: $vgpr116
	s_delay_alu instid0(VALU_DEP_1)
	v_add_nc_u32_e32 v99, 0x38000000, v30
.LBB2_4009:                             ;   in Loop: Header=BB2_3610 Depth=2
	s_and_not1_saveexec_b32 s45, s45
; %bb.4010:                             ;   in Loop: Header=BB2_3610 Depth=2
	v_cmp_lt_i64_e32 vcc_lo, -1, v[10:11]
	v_cndmask_b32_e32 v10, 0xff800000, v45, vcc_lo
	v_cmp_eq_u32_e32 vcc_lo, 0, v116
	s_delay_alu instid0(VALU_DEP_2)
	v_cndmask_b32_e32 v99, 0x7f800001, v10, vcc_lo
; %bb.4011:                             ;   in Loop: Header=BB2_3610 Depth=2
	s_or_b32 exec_lo, exec_lo, s45
.LBB2_4012:                             ;   in Loop: Header=BB2_3610 Depth=2
	s_delay_alu instid0(SALU_CYCLE_1)
	s_or_b32 exec_lo, exec_lo, s13
.LBB2_4013:                             ;   in Loop: Header=BB2_3610 Depth=2
	s_delay_alu instid0(SALU_CYCLE_1) | instskip(SKIP_1) | instid1(VALU_DEP_1)
	s_or_b32 exec_lo, exec_lo, s44
	v_dual_cndmask_b32 v10, v86, v15, s12 :: v_dual_cndmask_b32 v11, v36, v97, s12
	v_lshl_add_u32 v10, v10, 23, v87
	s_delay_alu instid0(VALU_DEP_1) | instskip(NEXT) | instid1(VALU_DEP_1)
	v_lshl_or_b32 v10, v11, 21, v10
	v_dual_max_num_f32 v11, v99, v99 :: v_dual_cndmask_b32 v10, v10, v14, s11
	s_delay_alu instid0(VALU_DEP_1) | instskip(NEXT) | instid1(VALU_DEP_1)
	v_cndmask_b32_e64 v10, v10, 0x80000000, s10
	v_cndmask_b32_e64 v10, v10, 0, s7
	s_delay_alu instid0(VALU_DEP_1) | instskip(NEXT) | instid1(VALU_DEP_1)
	v_max_num_f32_e32 v10, v10, v10
	v_min_num_f32_e32 v99, v11, v10
.LBB2_4014:                             ;   in Loop: Header=BB2_3610 Depth=2
	s_delay_alu instid0(VALU_DEP_1) | instskip(SKIP_2) | instid1(VALU_DEP_2)
	v_and_b32_e32 v10, 0x7f800000, v99
	v_mov_b32_e32 v11, v37
	v_and_b32_e32 v36, 0x7fffff, v99
                                        ; implicit-def: $vgpr30
	v_cmp_ne_u64_e32 vcc_lo, 0x7f800000, v[10:11]
	v_lshrrev_b32_e32 v10, 24, v99
	s_and_saveexec_b32 s7, vcc_lo
	s_delay_alu instid0(SALU_CYCLE_1)
	s_xor_b32 s10, exec_lo, s7
	s_cbranch_execz .LBB2_4028
; %bb.4015:                             ;   in Loop: Header=BB2_3610 Depth=2
	v_and_b32_e32 v14, 0x7fffffff, v99
	v_mov_b32_e32 v15, v37
	v_and_b32_e32 v86, 0x80, v10
                                        ; implicit-def: $vgpr30
	s_mov_b32 s7, exec_lo
	s_delay_alu instid0(VALU_DEP_2)
	v_cmpx_gt_u64_e32 0x47600001, v[14:15]
	s_xor_b32 s11, exec_lo, s7
	s_cbranch_execz .LBB2_4025
; %bb.4016:                             ;   in Loop: Header=BB2_3610 Depth=2
	v_mov_b32_e32 v30, 0
	s_mov_b32 s12, exec_lo
	v_cmpx_ne_u32_e32 0, v99
	s_cbranch_execz .LBB2_4024
; %bb.4017:                             ;   in Loop: Header=BB2_3610 Depth=2
	v_bfe_u32 v30, v99, 23, 8
	v_or_b32_e32 v14, 0x800000, v36
	s_delay_alu instid0(VALU_DEP_2) | instskip(SKIP_1) | instid1(VALU_DEP_2)
	v_sub_nc_u32_e32 v10, 0x71, v30
	v_cmp_gt_u32_e32 vcc_lo, 0x72, v30
	v_cndmask_b32_e32 v10, 0, v10, vcc_lo
	v_cmp_eq_u32_e32 vcc_lo, 0, v30
	s_delay_alu instid0(VALU_DEP_2) | instskip(NEXT) | instid1(VALU_DEP_1)
	v_cndmask_b32_e64 v87, v10, 0x70, vcc_lo
	v_dual_cndmask_b32 v36, v14, v36, vcc_lo :: v_dual_add_nc_u32 v10, 21, v87
	v_add_nc_u32_e32 v15, 20, v87
	s_delay_alu instid0(VALU_DEP_2) | instskip(NEXT) | instid1(VALU_DEP_2)
	v_lshlrev_b64_e64 v[10:11], v10, -1
	v_lshlrev_b64_e64 v[14:15], v15, 1
	s_delay_alu instid0(VALU_DEP_2) | instskip(NEXT) | instid1(VALU_DEP_3)
	v_bfi_b32 v117, v11, 0, 0
	v_bfi_b32 v116, v10, 0, v36
	v_lshrrev_b64 v[10:11], v87, v[36:37]
	s_delay_alu instid0(VALU_DEP_2) | instskip(NEXT) | instid1(VALU_DEP_2)
	v_cmp_eq_u64_e64 s7, v[116:117], v[14:15]
	v_mov_b64_e32 v[14:15], v[10:11]
	s_and_saveexec_b32 s13, s7
; %bb.4018:                             ;   in Loop: Header=BB2_3610 Depth=2
	v_bfe_u32 v36, v10, 21, 1
	s_delay_alu instid0(VALU_DEP_1) | instskip(NEXT) | instid1(VALU_DEP_1)
	v_add_nc_u64_e32 v[14:15], v[10:11], v[36:37]
	v_add_nc_u64_e32 v[14:15], -1, v[14:15]
; %bb.4019:                             ;   in Loop: Header=BB2_3610 Depth=2
	s_or_b32 exec_lo, exec_lo, s13
	v_add_nc_u32_e32 v11, 0xffffff81, v30
	v_lshrrev_b32_e32 v15, 23, v10
	s_mov_b32 s7, exec_lo
	s_delay_alu instid0(VALU_DEP_2) | instskip(NEXT) | instid1(VALU_DEP_1)
	v_cndmask_b32_e64 v11, v11, 0xffffff82, vcc_lo
	v_add3_u32 v15, v87, v11, v15
	v_and_b32_e32 v11, 0x1fffff, v14
                                        ; implicit-def: $vgpr14
	s_delay_alu instid0(VALU_DEP_1) | instskip(NEXT) | instid1(VALU_DEP_1)
	v_dual_add_nc_u32 v30, 14, v15 :: v_dual_add_nc_u32 v36, v11, v10
                                        ; implicit-def: $vgpr10_vgpr11
	v_cmpx_ne_u32_e32 0, v30
	s_xor_b32 s7, exec_lo, s7
; %bb.4020:                             ;   in Loop: Header=BB2_3610 Depth=2
	s_delay_alu instid0(VALU_DEP_2) | instskip(SKIP_1) | instid1(VALU_DEP_1)
	v_cmp_lt_u64_e32 vcc_lo, 0xffffff, v[36:37]
	v_add_nc_u32_e32 v10, 15, v15
	v_cndmask_b32_e32 v14, v30, v10, vcc_lo
	v_cndmask_b32_e64 v10, 0, 1, vcc_lo
	s_delay_alu instid0(VALU_DEP_1)
	v_lshrrev_b64 v[10:11], v10, v[36:37]
; %bb.4021:                             ;   in Loop: Header=BB2_3610 Depth=2
	s_and_not1_saveexec_b32 s7, s7
; %bb.4022:                             ;   in Loop: Header=BB2_3610 Depth=2
	v_mov_b64_e32 v[10:11], v[36:37]
	v_bfe_u32 v14, v36, 23, 1
; %bb.4023:                             ;   in Loop: Header=BB2_3610 Depth=2
	s_or_b32 exec_lo, exec_lo, s7
	s_delay_alu instid0(VALU_DEP_2) | instskip(NEXT) | instid1(VALU_DEP_2)
	v_lshrrev_b64 v[10:11], 21, v[10:11]
	v_cmp_gt_i32_e32 vcc_lo, 32, v14
	v_min_i32_e32 v15, 31, v14
	v_cmp_eq_u32_e64 s7, 0, v14
	s_delay_alu instid0(VALU_DEP_4) | instskip(NEXT) | instid1(VALU_DEP_3)
	v_cndmask_b32_e32 v11, 0, v11, vcc_lo
	v_dual_cndmask_b32 v10, 3, v10 :: v_dual_lshlrev_b32 v15, 2, v15
	s_delay_alu instid0(VALU_DEP_1) | instskip(NEXT) | instid1(VALU_DEP_2)
	v_and_b32_e32 v15, 0xfc, v15
	v_cmp_eq_u64_e32 vcc_lo, 0, v[10:11]
	s_delay_alu instid0(VALU_DEP_2)
	v_and_or_b32 v10, v10, 3, v15
	s_and_b32 s7, s7, vcc_lo
	s_delay_alu instid0(VALU_DEP_1) | instid1(SALU_CYCLE_1)
	v_cndmask_b32_e64 v10, v10, 0, s7
	s_delay_alu instid0(VALU_DEP_1)
	v_or_b32_e32 v30, v10, v86
.LBB2_4024:                             ;   in Loop: Header=BB2_3610 Depth=2
	s_or_b32 exec_lo, exec_lo, s12
                                        ; implicit-def: $vgpr86
.LBB2_4025:                             ;   in Loop: Header=BB2_3610 Depth=2
	s_and_not1_saveexec_b32 s7, s11
; %bb.4026:                             ;   in Loop: Header=BB2_3610 Depth=2
	v_or_b32_e32 v30, 0x7b, v86
; %bb.4027:                             ;   in Loop: Header=BB2_3610 Depth=2
	s_or_b32 exec_lo, exec_lo, s7
                                        ; implicit-def: $vgpr99
                                        ; implicit-def: $vgpr10
.LBB2_4028:                             ;   in Loop: Header=BB2_3610 Depth=2
	s_and_not1_saveexec_b32 s7, s10
	s_cbranch_execz .LBB2_4034
; %bb.4029:                             ;   in Loop: Header=BB2_3610 Depth=2
	s_mov_b32 s10, exec_lo
                                        ; implicit-def: $vgpr30
	v_cmpx_ne_u64_e32 0, v[36:37]
	s_xor_b32 s10, exec_lo, s10
; %bb.4030:                             ;   in Loop: Header=BB2_3610 Depth=2
	v_or_b32_e32 v30, 0x7f, v10
                                        ; implicit-def: $vgpr99
; %bb.4031:                             ;   in Loop: Header=BB2_3610 Depth=2
	s_and_not1_saveexec_b32 s10, s10
; %bb.4032:                             ;   in Loop: Header=BB2_3610 Depth=2
	v_cmp_lt_i32_e32 vcc_lo, -1, v99
	v_cndmask_b32_e32 v30, 0xfc, v46, vcc_lo
; %bb.4033:                             ;   in Loop: Header=BB2_3610 Depth=2
	s_or_b32 exec_lo, exec_lo, s10
.LBB2_4034:                             ;   in Loop: Header=BB2_3610 Depth=2
	s_delay_alu instid0(SALU_CYCLE_1) | instskip(SKIP_4) | instid1(VALU_DEP_4)
	s_or_b32 exec_lo, exec_lo, s7
	v_dual_lshlrev_b32 v15, 24, v16 :: v_dual_bitop2_b32 v10, 3, v16 bitop3:0x40
	v_bfe_i32 v87, v16, 0, 8
	v_and_b32_e32 v14, 0x7c, v16
	v_and_b32_e32 v86, 0xff, v12
	v_clz_i32_u32_e32 v11, v10
	v_bfe_i32 v97, v12, 0, 8
	v_cmp_lt_i16_e32 vcc_lo, -1, v87
	v_cmp_eq_u32_e64 s7, 0x7c, v14
	v_and_or_b32 v14, v15, s27, 0x38000000
	v_min_u32_e32 v36, 32, v11
	v_bfe_u32 v11, v16, 2, 5
	v_cndmask_b32_e32 v118, 0xff800000, v45, vcc_lo
	v_cmp_eq_u32_e32 vcc_lo, 0, v10
	v_cmp_ne_u16_e64 s11, 0, v86
	v_subrev_nc_u32_e32 v99, 29, v36
	v_cmp_eq_u32_e64 s10, 0, v11
	v_dual_cndmask_b32 v15, 0x7f800001, v118 :: v_dual_sub_nc_u32 v36, 30, v36
	s_and_b32 vcc_lo, exec_lo, s43
	v_lshlrev_b64_e32 v[116:117], v99, v[16:17]
	s_mov_b32 s12, -1
                                        ; implicit-def: $vgpr99
	s_delay_alu instid0(VALU_DEP_1)
	v_and_b32_e32 v86, 3, v116
	s_cbranch_vccz .LBB2_4052
; %bb.4035:                             ;   in Loop: Header=BB2_3610 Depth=2
	v_mov_b32_e32 v99, 0
	s_and_saveexec_b32 s12, s11
	s_cbranch_execz .LBB2_4045
; %bb.4036:                             ;   in Loop: Header=BB2_3610 Depth=2
	v_bfrev_b32_e32 v99, 1
	s_mov_b32 s13, exec_lo
	v_cmpx_ne_u16_e32 0xff80, v97
	s_cbranch_execz .LBB2_4044
; %bb.4037:                             ;   in Loop: Header=BB2_3610 Depth=2
	v_and_b32_e32 v99, 0x7c, v12
	v_and_b32_e32 v116, 3, v12
	s_delay_alu instid0(VALU_DEP_2) | instskip(SKIP_1) | instid1(SALU_CYCLE_1)
	v_cmp_ne_u32_e32 vcc_lo, 0x7c, v99
                                        ; implicit-def: $vgpr99
	s_and_saveexec_b32 s44, vcc_lo
	s_xor_b32 s44, exec_lo, s44
	s_cbranch_execz .LBB2_4041
; %bb.4038:                             ;   in Loop: Header=BB2_3610 Depth=2
	v_bfe_u32 v99, v12, 2, 5
	s_mov_b32 s45, exec_lo
	s_delay_alu instid0(VALU_DEP_1)
	v_cmpx_eq_u32_e32 0, v99
; %bb.4039:                             ;   in Loop: Header=BB2_3610 Depth=2
	v_clz_i32_u32_e32 v99, v116
	s_delay_alu instid0(VALU_DEP_1) | instskip(NEXT) | instid1(VALU_DEP_1)
	v_min_u32_e32 v99, 32, v99
	v_subrev_nc_u32_e32 v116, 29, v99
	s_delay_alu instid0(VALU_DEP_1) | instskip(NEXT) | instid1(VALU_DEP_1)
	v_lshlrev_b64_e32 v[116:117], v116, v[12:13]
	v_dual_sub_nc_u32 v99, 30, v99 :: v_dual_bitop2_b32 v116, 3, v116 bitop3:0x40
; %bb.4040:                             ;   in Loop: Header=BB2_3610 Depth=2
	s_or_b32 exec_lo, exec_lo, s45
	v_lshlrev_b32_e32 v117, 24, v12
	s_delay_alu instid0(VALU_DEP_1) | instskip(NEXT) | instid1(VALU_DEP_1)
	v_and_b32_e32 v117, 0x80000000, v117
	v_lshl_add_u32 v99, v99, 23, v117
	s_delay_alu instid0(VALU_DEP_1) | instskip(NEXT) | instid1(VALU_DEP_1)
	v_lshl_or_b32 v99, v116, 21, v99
                                        ; implicit-def: $vgpr116
	v_add_nc_u32_e32 v99, 0x38000000, v99
.LBB2_4041:                             ;   in Loop: Header=BB2_3610 Depth=2
	s_and_not1_saveexec_b32 s44, s44
; %bb.4042:                             ;   in Loop: Header=BB2_3610 Depth=2
	v_cmp_lt_i16_e32 vcc_lo, -1, v97
	v_cndmask_b32_e32 v99, 0xff800000, v45, vcc_lo
	v_cmp_eq_u32_e32 vcc_lo, 0, v116
	s_delay_alu instid0(VALU_DEP_2)
	v_cndmask_b32_e32 v99, 0x7f800001, v99, vcc_lo
; %bb.4043:                             ;   in Loop: Header=BB2_3610 Depth=2
	s_or_b32 exec_lo, exec_lo, s44
.LBB2_4044:                             ;   in Loop: Header=BB2_3610 Depth=2
	s_delay_alu instid0(SALU_CYCLE_1)
	s_or_b32 exec_lo, exec_lo, s13
.LBB2_4045:                             ;   in Loop: Header=BB2_3610 Depth=2
	s_delay_alu instid0(SALU_CYCLE_1) | instskip(SKIP_3) | instid1(VALU_DEP_1)
	s_or_b32 exec_lo, exec_lo, s12
	v_and_b32_e32 v117, 0xff, v87
	s_mov_b32 s12, 0
	s_mov_b32 s13, exec_lo
	v_cmpx_lt_i16_e32 0x7f, v117
	s_xor_b32 s13, exec_lo, s13
	s_cbranch_execz .LBB2_4481
; %bb.4046:                             ;   in Loop: Header=BB2_3610 Depth=2
	s_mov_b32 s12, -1
	s_mov_b32 s44, exec_lo
	v_cmpx_eq_u16_e32 0x80, v117
; %bb.4047:                             ;   in Loop: Header=BB2_3610 Depth=2
	s_xor_b32 s12, exec_lo, -1
; %bb.4048:                             ;   in Loop: Header=BB2_3610 Depth=2
	s_or_b32 exec_lo, exec_lo, s44
	s_delay_alu instid0(SALU_CYCLE_1)
	s_and_b32 s12, s12, exec_lo
                                        ; implicit-def: $vgpr117
	s_or_saveexec_b32 s13, s13
	v_bfrev_b32_e32 v116, 1
	s_xor_b32 exec_lo, exec_lo, s13
	s_cbranch_execnz .LBB2_4482
.LBB2_4049:                             ;   in Loop: Header=BB2_3610 Depth=2
	s_or_b32 exec_lo, exec_lo, s13
	s_and_saveexec_b32 s13, s12
.LBB2_4050:                             ;   in Loop: Header=BB2_3610 Depth=2
	v_dual_cndmask_b32 v116, v11, v36, s10 :: v_dual_cndmask_b32 v117, v10, v86, s10
	s_delay_alu instid0(VALU_DEP_1) | instskip(NEXT) | instid1(VALU_DEP_1)
	v_lshl_add_u32 v116, v116, 23, v14
	v_lshl_or_b32 v116, v117, 21, v116
	s_delay_alu instid0(VALU_DEP_1)
	v_cndmask_b32_e64 v116, v116, v15, s7
.LBB2_4051:                             ;   in Loop: Header=BB2_3610 Depth=2
	s_or_b32 exec_lo, exec_lo, s13
	s_delay_alu instid0(VALU_DEP_1) | instskip(SKIP_1) | instid1(VALU_DEP_1)
	v_dual_max_num_f32 v116, v116, v116 :: v_dual_max_num_f32 v99, v99, v99
	s_mov_b32 s12, 0
	v_max_num_f32_e32 v99, v99, v116
.LBB2_4052:                             ;   in Loop: Header=BB2_3610 Depth=2
	s_and_b32 vcc_lo, exec_lo, s12
	s_cbranch_vccz .LBB2_4070
; %bb.4053:                             ;   in Loop: Header=BB2_3610 Depth=2
	v_mov_b32_e32 v99, 0
	s_and_saveexec_b32 s12, s11
	s_cbranch_execz .LBB2_4063
; %bb.4054:                             ;   in Loop: Header=BB2_3610 Depth=2
	v_bfrev_b32_e32 v99, 1
	s_mov_b32 s11, exec_lo
	v_cmpx_ne_u16_e32 0xff80, v97
	s_cbranch_execz .LBB2_4062
; %bb.4055:                             ;   in Loop: Header=BB2_3610 Depth=2
	v_and_b32_e32 v99, 0x7c, v12
	v_and_b32_e32 v116, 3, v12
	s_delay_alu instid0(VALU_DEP_2) | instskip(SKIP_1) | instid1(SALU_CYCLE_1)
	v_cmp_ne_u32_e32 vcc_lo, 0x7c, v99
                                        ; implicit-def: $vgpr99
	s_and_saveexec_b32 s13, vcc_lo
	s_xor_b32 s13, exec_lo, s13
	s_cbranch_execz .LBB2_4059
; %bb.4056:                             ;   in Loop: Header=BB2_3610 Depth=2
	v_bfe_u32 v97, v12, 2, 5
	s_mov_b32 s44, exec_lo
	s_delay_alu instid0(VALU_DEP_1)
	v_cmpx_eq_u32_e32 0, v97
; %bb.4057:                             ;   in Loop: Header=BB2_3610 Depth=2
	v_clz_i32_u32_e32 v97, v116
	s_delay_alu instid0(VALU_DEP_1) | instskip(NEXT) | instid1(VALU_DEP_1)
	v_min_u32_e32 v97, 32, v97
	v_subrev_nc_u32_e32 v99, 29, v97
	s_delay_alu instid0(VALU_DEP_1) | instskip(NEXT) | instid1(VALU_DEP_1)
	v_lshlrev_b64_e32 v[116:117], v99, v[12:13]
	v_dual_sub_nc_u32 v97, 30, v97 :: v_dual_bitop2_b32 v116, 3, v116 bitop3:0x40
; %bb.4058:                             ;   in Loop: Header=BB2_3610 Depth=2
	s_or_b32 exec_lo, exec_lo, s44
	v_lshlrev_b32_e32 v99, 24, v12
	s_delay_alu instid0(VALU_DEP_1) | instskip(NEXT) | instid1(VALU_DEP_1)
	v_and_b32_e32 v99, 0x80000000, v99
	v_lshl_add_u32 v97, v97, 23, v99
	s_delay_alu instid0(VALU_DEP_1) | instskip(NEXT) | instid1(VALU_DEP_1)
	v_lshl_or_b32 v97, v116, 21, v97
                                        ; implicit-def: $vgpr116
	v_add_nc_u32_e32 v99, 0x38000000, v97
                                        ; implicit-def: $vgpr97
.LBB2_4059:                             ;   in Loop: Header=BB2_3610 Depth=2
	s_and_not1_saveexec_b32 s13, s13
; %bb.4060:                             ;   in Loop: Header=BB2_3610 Depth=2
	v_cmp_lt_i16_e32 vcc_lo, -1, v97
	v_cndmask_b32_e32 v97, 0xff800000, v45, vcc_lo
	v_cmp_eq_u32_e32 vcc_lo, 0, v116
	s_delay_alu instid0(VALU_DEP_2)
	v_cndmask_b32_e32 v99, 0x7f800001, v97, vcc_lo
; %bb.4061:                             ;   in Loop: Header=BB2_3610 Depth=2
	s_or_b32 exec_lo, exec_lo, s13
.LBB2_4062:                             ;   in Loop: Header=BB2_3610 Depth=2
	s_delay_alu instid0(SALU_CYCLE_1)
	s_or_b32 exec_lo, exec_lo, s11
.LBB2_4063:                             ;   in Loop: Header=BB2_3610 Depth=2
	s_delay_alu instid0(SALU_CYCLE_1) | instskip(SKIP_3) | instid1(VALU_DEP_1)
	s_or_b32 exec_lo, exec_lo, s12
	v_and_b32_e32 v97, 0xff, v87
	s_mov_b32 s11, 0
	s_mov_b32 s12, exec_lo
	v_cmpx_lt_i16_e32 0x7f, v97
	s_xor_b32 s12, exec_lo, s12
	s_cbranch_execz .LBB2_4483
; %bb.4064:                             ;   in Loop: Header=BB2_3610 Depth=2
	s_mov_b32 s11, -1
	s_mov_b32 s13, exec_lo
	v_cmpx_eq_u16_e32 0x80, v97
; %bb.4065:                             ;   in Loop: Header=BB2_3610 Depth=2
	s_xor_b32 s11, exec_lo, -1
; %bb.4066:                             ;   in Loop: Header=BB2_3610 Depth=2
	s_or_b32 exec_lo, exec_lo, s13
	s_delay_alu instid0(SALU_CYCLE_1)
	s_and_b32 s11, s11, exec_lo
                                        ; implicit-def: $vgpr97
	s_or_saveexec_b32 s12, s12
	v_bfrev_b32_e32 v87, 1
	s_xor_b32 exec_lo, exec_lo, s12
	s_cbranch_execnz .LBB2_4484
.LBB2_4067:                             ;   in Loop: Header=BB2_3610 Depth=2
	s_or_b32 exec_lo, exec_lo, s12
	s_and_saveexec_b32 s12, s11
.LBB2_4068:                             ;   in Loop: Header=BB2_3610 Depth=2
	v_dual_cndmask_b32 v11, v11, v36, s10 :: v_dual_cndmask_b32 v10, v10, v86, s10
	s_delay_alu instid0(VALU_DEP_1) | instskip(NEXT) | instid1(VALU_DEP_1)
	v_lshl_add_u32 v11, v11, 23, v14
	v_lshl_or_b32 v10, v10, 21, v11
	s_delay_alu instid0(VALU_DEP_1)
	v_cndmask_b32_e64 v87, v10, v15, s7
.LBB2_4069:                             ;   in Loop: Header=BB2_3610 Depth=2
	s_or_b32 exec_lo, exec_lo, s12
	s_delay_alu instid0(VALU_DEP_1) | instskip(SKIP_1) | instid1(VALU_DEP_1)
	v_max_num_f32_e32 v10, v87, v87
	v_max_num_f32_e32 v11, v99, v99
	v_min_num_f32_e32 v99, v11, v10
.LBB2_4070:                             ;   in Loop: Header=BB2_3610 Depth=2
	s_delay_alu instid0(VALU_DEP_1) | instskip(SKIP_2) | instid1(VALU_DEP_2)
	v_and_b32_e32 v10, 0x7f800000, v99
	v_mov_b32_e32 v11, v37
	v_and_b32_e32 v36, 0x7fffff, v99
                                        ; implicit-def: $vgpr97
	v_cmp_ne_u64_e32 vcc_lo, 0x7f800000, v[10:11]
	v_lshrrev_b32_e32 v10, 24, v99
	s_and_saveexec_b32 s7, vcc_lo
	s_delay_alu instid0(SALU_CYCLE_1)
	s_xor_b32 s10, exec_lo, s7
	s_cbranch_execz .LBB2_4084
; %bb.4071:                             ;   in Loop: Header=BB2_3610 Depth=2
	v_and_b32_e32 v14, 0x7fffffff, v99
	v_mov_b32_e32 v15, v37
	v_and_b32_e32 v86, 0x80, v10
                                        ; implicit-def: $vgpr97
	s_mov_b32 s7, exec_lo
	s_delay_alu instid0(VALU_DEP_2)
	v_cmpx_gt_u64_e32 0x47600001, v[14:15]
	s_xor_b32 s11, exec_lo, s7
	s_cbranch_execz .LBB2_4081
; %bb.4072:                             ;   in Loop: Header=BB2_3610 Depth=2
	v_mov_b32_e32 v97, 0
	s_mov_b32 s12, exec_lo
	v_cmpx_ne_u32_e32 0, v99
	s_cbranch_execz .LBB2_4080
; %bb.4073:                             ;   in Loop: Header=BB2_3610 Depth=2
	v_bfe_u32 v87, v99, 23, 8
	v_or_b32_e32 v14, 0x800000, v36
	s_delay_alu instid0(VALU_DEP_2) | instskip(SKIP_1) | instid1(VALU_DEP_2)
	v_sub_nc_u32_e32 v10, 0x71, v87
	v_cmp_gt_u32_e32 vcc_lo, 0x72, v87
	v_cndmask_b32_e32 v10, 0, v10, vcc_lo
	v_cmp_eq_u32_e32 vcc_lo, 0, v87
	s_delay_alu instid0(VALU_DEP_2) | instskip(NEXT) | instid1(VALU_DEP_1)
	v_cndmask_b32_e64 v97, v10, 0x70, vcc_lo
	v_dual_cndmask_b32 v36, v14, v36, vcc_lo :: v_dual_add_nc_u32 v10, 21, v97
	v_add_nc_u32_e32 v15, 20, v97
	s_delay_alu instid0(VALU_DEP_2) | instskip(NEXT) | instid1(VALU_DEP_2)
	v_lshlrev_b64_e64 v[10:11], v10, -1
	v_lshlrev_b64_e64 v[14:15], v15, 1
	s_delay_alu instid0(VALU_DEP_2) | instskip(NEXT) | instid1(VALU_DEP_3)
	v_bfi_b32 v117, v11, 0, 0
	v_bfi_b32 v116, v10, 0, v36
	v_lshrrev_b64 v[10:11], v97, v[36:37]
	s_delay_alu instid0(VALU_DEP_2) | instskip(NEXT) | instid1(VALU_DEP_2)
	v_cmp_eq_u64_e64 s7, v[116:117], v[14:15]
	v_mov_b64_e32 v[14:15], v[10:11]
	s_and_saveexec_b32 s13, s7
; %bb.4074:                             ;   in Loop: Header=BB2_3610 Depth=2
	v_bfe_u32 v36, v10, 21, 1
	s_delay_alu instid0(VALU_DEP_1) | instskip(NEXT) | instid1(VALU_DEP_1)
	v_add_nc_u64_e32 v[14:15], v[10:11], v[36:37]
	v_add_nc_u64_e32 v[14:15], -1, v[14:15]
; %bb.4075:                             ;   in Loop: Header=BB2_3610 Depth=2
	s_or_b32 exec_lo, exec_lo, s13
	v_add_nc_u32_e32 v11, 0xffffff81, v87
	v_lshrrev_b32_e32 v15, 23, v10
	s_mov_b32 s7, exec_lo
	s_delay_alu instid0(VALU_DEP_2) | instskip(NEXT) | instid1(VALU_DEP_1)
	v_cndmask_b32_e64 v11, v11, 0xffffff82, vcc_lo
	v_add3_u32 v15, v97, v11, v15
	v_and_b32_e32 v11, 0x1fffff, v14
                                        ; implicit-def: $vgpr14
	s_delay_alu instid0(VALU_DEP_1) | instskip(NEXT) | instid1(VALU_DEP_1)
	v_dual_add_nc_u32 v87, 14, v15 :: v_dual_add_nc_u32 v36, v11, v10
                                        ; implicit-def: $vgpr10_vgpr11
	v_cmpx_ne_u32_e32 0, v87
	s_xor_b32 s7, exec_lo, s7
; %bb.4076:                             ;   in Loop: Header=BB2_3610 Depth=2
	s_delay_alu instid0(VALU_DEP_2) | instskip(SKIP_1) | instid1(VALU_DEP_1)
	v_cmp_lt_u64_e32 vcc_lo, 0xffffff, v[36:37]
	v_add_nc_u32_e32 v10, 15, v15
	v_cndmask_b32_e32 v14, v87, v10, vcc_lo
	v_cndmask_b32_e64 v10, 0, 1, vcc_lo
	s_delay_alu instid0(VALU_DEP_1)
	v_lshrrev_b64 v[10:11], v10, v[36:37]
; %bb.4077:                             ;   in Loop: Header=BB2_3610 Depth=2
	s_and_not1_saveexec_b32 s7, s7
; %bb.4078:                             ;   in Loop: Header=BB2_3610 Depth=2
	v_mov_b64_e32 v[10:11], v[36:37]
	v_bfe_u32 v14, v36, 23, 1
; %bb.4079:                             ;   in Loop: Header=BB2_3610 Depth=2
	s_or_b32 exec_lo, exec_lo, s7
	s_delay_alu instid0(VALU_DEP_2) | instskip(NEXT) | instid1(VALU_DEP_2)
	v_lshrrev_b64 v[10:11], 21, v[10:11]
	v_cmp_gt_i32_e32 vcc_lo, 32, v14
	v_min_i32_e32 v15, 31, v14
	v_cmp_eq_u32_e64 s7, 0, v14
	s_delay_alu instid0(VALU_DEP_4) | instskip(NEXT) | instid1(VALU_DEP_3)
	v_cndmask_b32_e32 v11, 0, v11, vcc_lo
	v_dual_cndmask_b32 v10, 3, v10 :: v_dual_lshlrev_b32 v15, 2, v15
	s_delay_alu instid0(VALU_DEP_1) | instskip(NEXT) | instid1(VALU_DEP_2)
	v_and_b32_e32 v15, 0xfc, v15
	v_cmp_eq_u64_e32 vcc_lo, 0, v[10:11]
	s_delay_alu instid0(VALU_DEP_2)
	v_and_or_b32 v10, v10, 3, v15
	s_and_b32 s7, s7, vcc_lo
	s_delay_alu instid0(VALU_DEP_1) | instid1(SALU_CYCLE_1)
	v_cndmask_b32_e64 v10, v10, 0, s7
	s_delay_alu instid0(VALU_DEP_1)
	v_or_b32_e32 v97, v10, v86
.LBB2_4080:                             ;   in Loop: Header=BB2_3610 Depth=2
	s_or_b32 exec_lo, exec_lo, s12
                                        ; implicit-def: $vgpr86
.LBB2_4081:                             ;   in Loop: Header=BB2_3610 Depth=2
	s_and_not1_saveexec_b32 s7, s11
; %bb.4082:                             ;   in Loop: Header=BB2_3610 Depth=2
	v_or_b32_e32 v97, 0x7b, v86
; %bb.4083:                             ;   in Loop: Header=BB2_3610 Depth=2
	s_or_b32 exec_lo, exec_lo, s7
                                        ; implicit-def: $vgpr99
                                        ; implicit-def: $vgpr10
.LBB2_4084:                             ;   in Loop: Header=BB2_3610 Depth=2
	s_and_not1_saveexec_b32 s7, s10
	s_cbranch_execz .LBB2_4090
; %bb.4085:                             ;   in Loop: Header=BB2_3610 Depth=2
	s_mov_b32 s10, exec_lo
                                        ; implicit-def: $vgpr97
	v_cmpx_ne_u64_e32 0, v[36:37]
	s_xor_b32 s10, exec_lo, s10
; %bb.4086:                             ;   in Loop: Header=BB2_3610 Depth=2
	v_or_b32_e32 v97, 0x7f, v10
                                        ; implicit-def: $vgpr99
; %bb.4087:                             ;   in Loop: Header=BB2_3610 Depth=2
	s_and_not1_saveexec_b32 s10, s10
; %bb.4088:                             ;   in Loop: Header=BB2_3610 Depth=2
	v_cmp_lt_i32_e32 vcc_lo, -1, v99
	v_cndmask_b32_e32 v97, 0xfc, v46, vcc_lo
; %bb.4089:                             ;   in Loop: Header=BB2_3610 Depth=2
	s_or_b32 exec_lo, exec_lo, s10
.LBB2_4090:                             ;   in Loop: Header=BB2_3610 Depth=2
	s_delay_alu instid0(SALU_CYCLE_1) | instskip(SKIP_3) | instid1(VALU_DEP_2)
	s_or_b32 exec_lo, exec_lo, s7
	v_lshrrev_b16 v36, 8, v16
	v_cmp_lt_i16_e32 vcc_lo, -1, v16
	s_mov_b32 s12, -1
	v_and_b32_e32 v11, 0xffff, v36
	v_dual_cndmask_b32 v87, 0xff800000, v45 :: v_dual_lshlrev_b32 v86, 24, v36
	s_delay_alu instid0(VALU_DEP_2) | instskip(SKIP_2) | instid1(VALU_DEP_4)
	v_and_b32_e32 v14, 3, v11
	v_and_b32_e32 v40, 0x7c, v11
	v_bfe_u32 v15, v11, 2, 5
                                        ; implicit-def: $vgpr11
	v_and_or_b32 v86, v86, s27, 0x38000000
	s_delay_alu instid0(VALU_DEP_4) | instskip(SKIP_3) | instid1(VALU_DEP_4)
	v_clz_i32_u32_e32 v10, v14
	v_cmp_eq_u32_e32 vcc_lo, 0, v14
	v_cmp_eq_u32_e64 s7, 0x7c, v40
	v_cmp_eq_u32_e64 s10, 0, v15
	v_min_u32_e32 v99, 32, v10
	v_lshrrev_b16 v10, 8, v12
	v_cndmask_b32_e32 v87, 0x7f800001, v87, vcc_lo
	s_and_b32 vcc_lo, exec_lo, s43
	s_delay_alu instid0(VALU_DEP_3) | instskip(NEXT) | instid1(VALU_DEP_3)
	v_subrev_nc_u32_e32 v116, 29, v99
	v_and_b32_e32 v117, 0xffff, v10
	v_cmp_ne_u16_e64 s11, 0, v10
	s_delay_alu instid0(VALU_DEP_3) | instskip(NEXT) | instid1(VALU_DEP_1)
	v_lshlrev_b64_e32 v[118:119], v116, v[36:37]
	v_dual_sub_nc_u32 v99, 30, v99 :: v_dual_bitop2_b32 v116, 3, v118 bitop3:0x40
	s_cbranch_vccz .LBB2_4108
; %bb.4091:                             ;   in Loop: Header=BB2_3610 Depth=2
	v_mov_b32_e32 v11, 0
	s_and_saveexec_b32 s12, s11
	s_cbranch_execz .LBB2_4101
; %bb.4092:                             ;   in Loop: Header=BB2_3610 Depth=2
	v_bfrev_b32_e32 v11, 1
	s_mov_b32 s13, exec_lo
	v_cmpx_ne_u16_e32 0x80, v10
	s_cbranch_execz .LBB2_4100
; %bb.4093:                             ;   in Loop: Header=BB2_3610 Depth=2
	v_and_b32_e32 v11, 0x7c, v117
	v_and_b32_e32 v118, 3, v117
	s_delay_alu instid0(VALU_DEP_2) | instskip(SKIP_1) | instid1(SALU_CYCLE_1)
	v_cmp_ne_u32_e32 vcc_lo, 0x7c, v11
                                        ; implicit-def: $vgpr11
	s_and_saveexec_b32 s44, vcc_lo
	s_xor_b32 s44, exec_lo, s44
	s_cbranch_execz .LBB2_4097
; %bb.4094:                             ;   in Loop: Header=BB2_3610 Depth=2
	v_bfe_u32 v11, v117, 2, 5
	s_mov_b32 s45, exec_lo
	s_delay_alu instid0(VALU_DEP_1)
	v_cmpx_eq_u32_e32 0, v11
; %bb.4095:                             ;   in Loop: Header=BB2_3610 Depth=2
	v_clz_i32_u32_e32 v11, v118
	s_delay_alu instid0(VALU_DEP_1) | instskip(SKIP_1) | instid1(VALU_DEP_2)
	v_min_u32_e32 v40, 32, v11
	v_mov_b32_e32 v11, v37
	v_subrev_nc_u32_e32 v118, 29, v40
	s_delay_alu instid0(VALU_DEP_1) | instskip(NEXT) | instid1(VALU_DEP_1)
	v_lshlrev_b64_e32 v[118:119], v118, v[10:11]
	v_dual_sub_nc_u32 v11, 30, v40 :: v_dual_bitop2_b32 v118, 3, v118 bitop3:0x40
; %bb.4096:                             ;   in Loop: Header=BB2_3610 Depth=2
	s_or_b32 exec_lo, exec_lo, s45
	v_lshlrev_b32_e32 v119, 16, v12
	s_delay_alu instid0(VALU_DEP_1) | instskip(NEXT) | instid1(VALU_DEP_1)
	v_and_b32_e32 v119, 0x80000000, v119
	v_lshl_add_u32 v11, v11, 23, v119
	s_delay_alu instid0(VALU_DEP_1) | instskip(NEXT) | instid1(VALU_DEP_1)
	v_lshl_or_b32 v11, v118, 21, v11
                                        ; implicit-def: $vgpr118
	v_add_nc_u32_e32 v11, 0x38000000, v11
.LBB2_4097:                             ;   in Loop: Header=BB2_3610 Depth=2
	s_and_not1_saveexec_b32 s44, s44
; %bb.4098:                             ;   in Loop: Header=BB2_3610 Depth=2
	v_cmp_lt_i16_e32 vcc_lo, -1, v12
	v_cndmask_b32_e32 v11, 0xff800000, v45, vcc_lo
	v_cmp_eq_u32_e32 vcc_lo, 0, v118
	s_delay_alu instid0(VALU_DEP_2)
	v_cndmask_b32_e32 v11, 0x7f800001, v11, vcc_lo
; %bb.4099:                             ;   in Loop: Header=BB2_3610 Depth=2
	s_or_b32 exec_lo, exec_lo, s44
.LBB2_4100:                             ;   in Loop: Header=BB2_3610 Depth=2
	s_delay_alu instid0(SALU_CYCLE_1)
	s_or_b32 exec_lo, exec_lo, s13
.LBB2_4101:                             ;   in Loop: Header=BB2_3610 Depth=2
	s_delay_alu instid0(SALU_CYCLE_1)
	s_or_b32 exec_lo, exec_lo, s12
	s_mov_b32 s12, 0
	s_mov_b32 s13, exec_lo
	v_cmpx_lt_i16_e32 0x7f, v36
	s_xor_b32 s13, exec_lo, s13
	s_cbranch_execz .LBB2_4485
; %bb.4102:                             ;   in Loop: Header=BB2_3610 Depth=2
	s_mov_b32 s12, -1
	s_mov_b32 s44, exec_lo
	v_cmpx_eq_u16_e32 0x80, v36
; %bb.4103:                             ;   in Loop: Header=BB2_3610 Depth=2
	s_xor_b32 s12, exec_lo, -1
; %bb.4104:                             ;   in Loop: Header=BB2_3610 Depth=2
	s_or_b32 exec_lo, exec_lo, s44
	s_delay_alu instid0(SALU_CYCLE_1)
	s_and_b32 s12, s12, exec_lo
	s_or_saveexec_b32 s13, s13
	v_bfrev_b32_e32 v118, 1
	s_xor_b32 exec_lo, exec_lo, s13
	s_cbranch_execnz .LBB2_4486
.LBB2_4105:                             ;   in Loop: Header=BB2_3610 Depth=2
	s_or_b32 exec_lo, exec_lo, s13
	s_and_saveexec_b32 s13, s12
.LBB2_4106:                             ;   in Loop: Header=BB2_3610 Depth=2
	v_dual_cndmask_b32 v118, v15, v99, s10 :: v_dual_cndmask_b32 v119, v14, v116, s10
	s_delay_alu instid0(VALU_DEP_1) | instskip(NEXT) | instid1(VALU_DEP_1)
	v_lshl_add_u32 v118, v118, 23, v86
	v_lshl_or_b32 v118, v119, 21, v118
	s_delay_alu instid0(VALU_DEP_1)
	v_cndmask_b32_e64 v118, v118, v87, s7
.LBB2_4107:                             ;   in Loop: Header=BB2_3610 Depth=2
	s_or_b32 exec_lo, exec_lo, s13
	s_delay_alu instid0(VALU_DEP_1) | instskip(SKIP_1) | instid1(VALU_DEP_1)
	v_dual_max_num_f32 v118, v118, v118 :: v_dual_max_num_f32 v11, v11, v11
	s_mov_b32 s12, 0
	v_max_num_f32_e32 v11, v11, v118
.LBB2_4108:                             ;   in Loop: Header=BB2_3610 Depth=2
	s_and_b32 vcc_lo, exec_lo, s12
	s_cbranch_vccz .LBB2_4126
; %bb.4109:                             ;   in Loop: Header=BB2_3610 Depth=2
	v_mov_b32_e32 v11, 0
	s_and_saveexec_b32 s12, s11
	s_cbranch_execz .LBB2_4119
; %bb.4110:                             ;   in Loop: Header=BB2_3610 Depth=2
	v_bfrev_b32_e32 v11, 1
	s_mov_b32 s11, exec_lo
	v_cmpx_ne_u16_e32 0x80, v10
	s_cbranch_execz .LBB2_4118
; %bb.4111:                             ;   in Loop: Header=BB2_3610 Depth=2
	v_and_b32_e32 v11, 0x7c, v117
	v_and_b32_e32 v118, 3, v117
	s_delay_alu instid0(VALU_DEP_2) | instskip(SKIP_1) | instid1(SALU_CYCLE_1)
	v_cmp_ne_u32_e32 vcc_lo, 0x7c, v11
                                        ; implicit-def: $vgpr11
	s_and_saveexec_b32 s13, vcc_lo
	s_xor_b32 s13, exec_lo, s13
	s_cbranch_execz .LBB2_4115
; %bb.4112:                             ;   in Loop: Header=BB2_3610 Depth=2
	v_bfe_u32 v11, v117, 2, 5
	s_mov_b32 s44, exec_lo
	s_delay_alu instid0(VALU_DEP_1)
	v_cmpx_eq_u32_e32 0, v11
; %bb.4113:                             ;   in Loop: Header=BB2_3610 Depth=2
	v_clz_i32_u32_e32 v11, v118
	s_delay_alu instid0(VALU_DEP_1) | instskip(SKIP_1) | instid1(VALU_DEP_2)
	v_min_u32_e32 v117, 32, v11
	v_mov_b32_e32 v11, v37
	v_subrev_nc_u32_e32 v118, 29, v117
	s_delay_alu instid0(VALU_DEP_1) | instskip(NEXT) | instid1(VALU_DEP_1)
	v_lshlrev_b64_e32 v[10:11], v118, v[10:11]
	v_dual_sub_nc_u32 v11, 30, v117 :: v_dual_bitop2_b32 v118, 3, v10 bitop3:0x40
; %bb.4114:                             ;   in Loop: Header=BB2_3610 Depth=2
	s_or_b32 exec_lo, exec_lo, s44
	v_lshlrev_b32_e32 v10, 16, v12
	s_delay_alu instid0(VALU_DEP_1) | instskip(NEXT) | instid1(VALU_DEP_1)
	v_and_b32_e32 v10, 0x80000000, v10
	v_lshl_add_u32 v10, v11, 23, v10
	s_delay_alu instid0(VALU_DEP_1) | instskip(NEXT) | instid1(VALU_DEP_1)
	v_lshl_or_b32 v10, v118, 21, v10
                                        ; implicit-def: $vgpr118
	v_add_nc_u32_e32 v11, 0x38000000, v10
.LBB2_4115:                             ;   in Loop: Header=BB2_3610 Depth=2
	s_and_not1_saveexec_b32 s13, s13
; %bb.4116:                             ;   in Loop: Header=BB2_3610 Depth=2
	v_cmp_lt_i16_e32 vcc_lo, -1, v12
	v_cndmask_b32_e32 v10, 0xff800000, v45, vcc_lo
	v_cmp_eq_u32_e32 vcc_lo, 0, v118
	s_delay_alu instid0(VALU_DEP_2)
	v_cndmask_b32_e32 v11, 0x7f800001, v10, vcc_lo
; %bb.4117:                             ;   in Loop: Header=BB2_3610 Depth=2
	s_or_b32 exec_lo, exec_lo, s13
.LBB2_4118:                             ;   in Loop: Header=BB2_3610 Depth=2
	s_delay_alu instid0(SALU_CYCLE_1)
	s_or_b32 exec_lo, exec_lo, s11
.LBB2_4119:                             ;   in Loop: Header=BB2_3610 Depth=2
	s_delay_alu instid0(SALU_CYCLE_1)
	s_or_b32 exec_lo, exec_lo, s12
	s_mov_b32 s11, 0
	s_mov_b32 s12, exec_lo
	v_cmpx_lt_i16_e32 0x7f, v36
	s_xor_b32 s12, exec_lo, s12
	s_cbranch_execz .LBB2_4487
; %bb.4120:                             ;   in Loop: Header=BB2_3610 Depth=2
	s_mov_b32 s11, -1
	s_mov_b32 s13, exec_lo
	v_cmpx_eq_u16_e32 0x80, v36
; %bb.4121:                             ;   in Loop: Header=BB2_3610 Depth=2
	s_xor_b32 s11, exec_lo, -1
; %bb.4122:                             ;   in Loop: Header=BB2_3610 Depth=2
	s_or_b32 exec_lo, exec_lo, s13
	s_delay_alu instid0(SALU_CYCLE_1)
	s_and_b32 s11, s11, exec_lo
	s_or_saveexec_b32 s12, s12
	v_bfrev_b32_e32 v10, 1
	s_xor_b32 exec_lo, exec_lo, s12
	s_cbranch_execnz .LBB2_4488
.LBB2_4123:                             ;   in Loop: Header=BB2_3610 Depth=2
	s_or_b32 exec_lo, exec_lo, s12
	s_and_saveexec_b32 s12, s11
.LBB2_4124:                             ;   in Loop: Header=BB2_3610 Depth=2
	v_dual_cndmask_b32 v10, v15, v99, s10 :: v_dual_cndmask_b32 v14, v14, v116, s10
	s_delay_alu instid0(VALU_DEP_1) | instskip(NEXT) | instid1(VALU_DEP_1)
	v_lshl_add_u32 v10, v10, 23, v86
	v_lshl_or_b32 v10, v14, 21, v10
	s_delay_alu instid0(VALU_DEP_1)
	v_cndmask_b32_e64 v10, v10, v87, s7
.LBB2_4125:                             ;   in Loop: Header=BB2_3610 Depth=2
	s_or_b32 exec_lo, exec_lo, s12
	s_delay_alu instid0(VALU_DEP_1) | instskip(NEXT) | instid1(VALU_DEP_1)
	v_dual_max_num_f32 v10, v10, v10 :: v_dual_max_num_f32 v11, v11, v11
	v_min_num_f32_e32 v11, v11, v10
.LBB2_4126:                             ;   in Loop: Header=BB2_3610 Depth=2
	s_delay_alu instid0(VALU_DEP_1) | instskip(SKIP_3) | instid1(VALU_DEP_2)
	v_and_b32_e32 v14, 0x7f800000, v11
	v_dual_mov_b32 v15, v37 :: v_dual_lshrrev_b32 v10, 24, v11
	v_and_b32_e32 v36, 0x7fffff, v11
                                        ; implicit-def: $vgpr99
	s_mov_b32 s7, exec_lo
	v_cmpx_ne_u64_e32 0x7f800000, v[14:15]
	s_xor_b32 s10, exec_lo, s7
	s_cbranch_execz .LBB2_4140
; %bb.4127:                             ;   in Loop: Header=BB2_3610 Depth=2
	v_and_b32_e32 v14, 0x7fffffff, v11
	v_mov_b32_e32 v15, v37
	v_and_b32_e32 v86, 0x80, v10
                                        ; implicit-def: $vgpr99
	s_mov_b32 s7, exec_lo
	s_delay_alu instid0(VALU_DEP_2)
	v_cmpx_gt_u64_e32 0x47600001, v[14:15]
	s_xor_b32 s11, exec_lo, s7
	s_cbranch_execz .LBB2_4137
; %bb.4128:                             ;   in Loop: Header=BB2_3610 Depth=2
	v_mov_b32_e32 v99, 0
	s_mov_b32 s12, exec_lo
	v_cmpx_ne_u32_e32 0, v11
	s_cbranch_execz .LBB2_4136
; %bb.4129:                             ;   in Loop: Header=BB2_3610 Depth=2
	v_bfe_u32 v87, v11, 23, 8
	v_or_b32_e32 v14, 0x800000, v36
	s_delay_alu instid0(VALU_DEP_2) | instskip(SKIP_1) | instid1(VALU_DEP_2)
	v_sub_nc_u32_e32 v10, 0x71, v87
	v_cmp_gt_u32_e32 vcc_lo, 0x72, v87
	v_cndmask_b32_e32 v10, 0, v10, vcc_lo
	v_cmp_eq_u32_e32 vcc_lo, 0, v87
	s_delay_alu instid0(VALU_DEP_2) | instskip(NEXT) | instid1(VALU_DEP_1)
	v_cndmask_b32_e64 v99, v10, 0x70, vcc_lo
	v_dual_cndmask_b32 v36, v14, v36, vcc_lo :: v_dual_add_nc_u32 v10, 21, v99
	v_add_nc_u32_e32 v15, 20, v99
	s_delay_alu instid0(VALU_DEP_2) | instskip(NEXT) | instid1(VALU_DEP_2)
	v_lshlrev_b64_e64 v[10:11], v10, -1
	v_lshlrev_b64_e64 v[14:15], v15, 1
	s_delay_alu instid0(VALU_DEP_2) | instskip(NEXT) | instid1(VALU_DEP_3)
	v_bfi_b32 v117, v11, 0, 0
	v_bfi_b32 v116, v10, 0, v36
	v_lshrrev_b64 v[10:11], v99, v[36:37]
	s_delay_alu instid0(VALU_DEP_2) | instskip(NEXT) | instid1(VALU_DEP_2)
	v_cmp_eq_u64_e64 s7, v[116:117], v[14:15]
	v_mov_b64_e32 v[14:15], v[10:11]
	s_and_saveexec_b32 s13, s7
; %bb.4130:                             ;   in Loop: Header=BB2_3610 Depth=2
	v_bfe_u32 v36, v10, 21, 1
	s_delay_alu instid0(VALU_DEP_1) | instskip(NEXT) | instid1(VALU_DEP_1)
	v_add_nc_u64_e32 v[14:15], v[10:11], v[36:37]
	v_add_nc_u64_e32 v[14:15], -1, v[14:15]
; %bb.4131:                             ;   in Loop: Header=BB2_3610 Depth=2
	s_or_b32 exec_lo, exec_lo, s13
	v_add_nc_u32_e32 v11, 0xffffff81, v87
	v_lshrrev_b32_e32 v15, 23, v10
	s_mov_b32 s7, exec_lo
	s_delay_alu instid0(VALU_DEP_2) | instskip(NEXT) | instid1(VALU_DEP_1)
	v_cndmask_b32_e64 v11, v11, 0xffffff82, vcc_lo
	v_add3_u32 v15, v99, v11, v15
	v_and_b32_e32 v11, 0x1fffff, v14
                                        ; implicit-def: $vgpr14
	s_delay_alu instid0(VALU_DEP_1) | instskip(NEXT) | instid1(VALU_DEP_1)
	v_dual_add_nc_u32 v87, 14, v15 :: v_dual_add_nc_u32 v36, v11, v10
                                        ; implicit-def: $vgpr10_vgpr11
	v_cmpx_ne_u32_e32 0, v87
	s_xor_b32 s7, exec_lo, s7
; %bb.4132:                             ;   in Loop: Header=BB2_3610 Depth=2
	s_delay_alu instid0(VALU_DEP_2) | instskip(SKIP_1) | instid1(VALU_DEP_1)
	v_cmp_lt_u64_e32 vcc_lo, 0xffffff, v[36:37]
	v_add_nc_u32_e32 v10, 15, v15
	v_cndmask_b32_e32 v14, v87, v10, vcc_lo
	v_cndmask_b32_e64 v10, 0, 1, vcc_lo
	s_delay_alu instid0(VALU_DEP_1)
	v_lshrrev_b64 v[10:11], v10, v[36:37]
; %bb.4133:                             ;   in Loop: Header=BB2_3610 Depth=2
	s_and_not1_saveexec_b32 s7, s7
; %bb.4134:                             ;   in Loop: Header=BB2_3610 Depth=2
	v_mov_b64_e32 v[10:11], v[36:37]
	v_bfe_u32 v14, v36, 23, 1
; %bb.4135:                             ;   in Loop: Header=BB2_3610 Depth=2
	s_or_b32 exec_lo, exec_lo, s7
	s_delay_alu instid0(VALU_DEP_2) | instskip(NEXT) | instid1(VALU_DEP_2)
	v_lshrrev_b64 v[10:11], 21, v[10:11]
	v_cmp_gt_i32_e32 vcc_lo, 32, v14
	v_min_i32_e32 v15, 31, v14
	v_cmp_eq_u32_e64 s7, 0, v14
	s_delay_alu instid0(VALU_DEP_4) | instskip(NEXT) | instid1(VALU_DEP_3)
	v_cndmask_b32_e32 v11, 0, v11, vcc_lo
	v_dual_cndmask_b32 v10, 3, v10 :: v_dual_lshlrev_b32 v15, 2, v15
	s_delay_alu instid0(VALU_DEP_1) | instskip(NEXT) | instid1(VALU_DEP_2)
	v_and_b32_e32 v15, 0xfc, v15
	v_cmp_eq_u64_e32 vcc_lo, 0, v[10:11]
	s_delay_alu instid0(VALU_DEP_2)
	v_and_or_b32 v10, v10, 3, v15
	s_and_b32 s7, s7, vcc_lo
	s_delay_alu instid0(VALU_DEP_1) | instid1(SALU_CYCLE_1)
	v_cndmask_b32_e64 v10, v10, 0, s7
	s_delay_alu instid0(VALU_DEP_1)
	v_or_b32_e32 v99, v10, v86
.LBB2_4136:                             ;   in Loop: Header=BB2_3610 Depth=2
	s_or_b32 exec_lo, exec_lo, s12
                                        ; implicit-def: $vgpr86
.LBB2_4137:                             ;   in Loop: Header=BB2_3610 Depth=2
	s_and_not1_saveexec_b32 s7, s11
; %bb.4138:                             ;   in Loop: Header=BB2_3610 Depth=2
	v_or_b32_e32 v99, 0x7b, v86
; %bb.4139:                             ;   in Loop: Header=BB2_3610 Depth=2
	s_or_b32 exec_lo, exec_lo, s7
                                        ; implicit-def: $vgpr11
                                        ; implicit-def: $vgpr10
.LBB2_4140:                             ;   in Loop: Header=BB2_3610 Depth=2
	s_and_not1_saveexec_b32 s7, s10
	s_cbranch_execz .LBB2_4146
; %bb.4141:                             ;   in Loop: Header=BB2_3610 Depth=2
	s_mov_b32 s10, exec_lo
                                        ; implicit-def: $vgpr99
	v_cmpx_ne_u64_e32 0, v[36:37]
	s_xor_b32 s10, exec_lo, s10
; %bb.4142:                             ;   in Loop: Header=BB2_3610 Depth=2
	v_or_b32_e32 v99, 0x7f, v10
                                        ; implicit-def: $vgpr11
; %bb.4143:                             ;   in Loop: Header=BB2_3610 Depth=2
	s_and_not1_saveexec_b32 s10, s10
; %bb.4144:                             ;   in Loop: Header=BB2_3610 Depth=2
	v_cmp_lt_i32_e32 vcc_lo, -1, v11
	v_cndmask_b32_e32 v99, 0xfc, v46, vcc_lo
; %bb.4145:                             ;   in Loop: Header=BB2_3610 Depth=2
	s_or_b32 exec_lo, exec_lo, s10
.LBB2_4146:                             ;   in Loop: Header=BB2_3610 Depth=2
	s_delay_alu instid0(SALU_CYCLE_1) | instskip(SKIP_4) | instid1(VALU_DEP_3)
	s_or_b32 exec_lo, exec_lo, s7
	v_bfe_u32 v11, v16, 16, 2
	v_dual_lshrrev_b32 v36, 16, v16 :: v_dual_lshlrev_b32 v87, 8, v16
	v_and_b32_e32 v15, 0x7c0000, v16
	s_mov_b32 s12, -1
	v_clz_i32_u32_e32 v14, v11
	s_delay_alu instid0(VALU_DEP_3) | instskip(NEXT) | instid1(VALU_DEP_3)
	v_bfe_i32 v116, v36, 0, 8
	v_cmp_eq_u32_e64 s7, 0x7c0000, v15
	v_and_or_b32 v15, v87, s27, 0x38000000
	s_delay_alu instid0(VALU_DEP_4) | instskip(SKIP_3) | instid1(VALU_DEP_4)
	v_min_u32_e32 v86, 32, v14
	v_lshrrev_b32_e32 v10, 16, v12
	v_cmp_lt_i16_e32 vcc_lo, -1, v116
	v_bfe_u32 v14, v16, 18, 5
	v_subrev_nc_u32_e32 v118, 29, v86
	v_sub_nc_u32_e32 v86, 30, v86
	v_and_b32_e32 v117, 0xff, v10
	s_delay_alu instid0(VALU_DEP_4) | instskip(NEXT) | instid1(VALU_DEP_4)
	v_cmp_eq_u32_e64 s10, 0, v14
	v_lshlrev_b64_e32 v[118:119], v118, v[36:37]
	v_cndmask_b32_e32 v36, 0xff800000, v45, vcc_lo
	v_cmp_eq_u32_e32 vcc_lo, 0, v11
	v_cmp_ne_u16_e64 s11, 0, v117
	s_delay_alu instid0(VALU_DEP_3)
	v_cndmask_b32_e32 v36, 0x7f800001, v36, vcc_lo
	v_and_b32_e32 v87, 3, v118
	s_and_b32 vcc_lo, exec_lo, s43
                                        ; implicit-def: $vgpr118
	s_cbranch_vccz .LBB2_4164
; %bb.4147:                             ;   in Loop: Header=BB2_3610 Depth=2
	v_mov_b32_e32 v118, 0
	s_and_saveexec_b32 s12, s11
	s_cbranch_execz .LBB2_4157
; %bb.4148:                             ;   in Loop: Header=BB2_3610 Depth=2
	v_bfrev_b32_e32 v118, 1
	s_mov_b32 s13, exec_lo
	v_cmpx_ne_u16_e32 0x80, v117
	s_cbranch_execz .LBB2_4156
; %bb.4149:                             ;   in Loop: Header=BB2_3610 Depth=2
	v_and_b32_e32 v118, 0x7c0000, v12
	v_bfe_u32 v119, v12, 16, 2
	s_delay_alu instid0(VALU_DEP_2) | instskip(SKIP_1) | instid1(SALU_CYCLE_1)
	v_cmp_ne_u32_e32 vcc_lo, 0x7c0000, v118
                                        ; implicit-def: $vgpr118
	s_and_saveexec_b32 s44, vcc_lo
	s_xor_b32 s44, exec_lo, s44
	s_cbranch_execz .LBB2_4153
; %bb.4150:                             ;   in Loop: Header=BB2_3610 Depth=2
	v_bfe_u32 v118, v12, 18, 5
	s_mov_b32 s45, exec_lo
	s_delay_alu instid0(VALU_DEP_1)
	v_cmpx_eq_u32_e32 0, v118
; %bb.4151:                             ;   in Loop: Header=BB2_3610 Depth=2
	v_clz_i32_u32_e32 v118, v119
	s_delay_alu instid0(VALU_DEP_1) | instskip(NEXT) | instid1(VALU_DEP_1)
	v_min_u32_e32 v118, 32, v118
	v_subrev_nc_u32_e32 v119, 29, v118
	s_delay_alu instid0(VALU_DEP_1) | instskip(NEXT) | instid1(VALU_DEP_1)
	v_lshlrev_b64_e32 v[40:41], v119, v[10:11]
	v_dual_sub_nc_u32 v118, 30, v118 :: v_dual_bitop2_b32 v119, 3, v40 bitop3:0x40
; %bb.4152:                             ;   in Loop: Header=BB2_3610 Depth=2
	s_or_b32 exec_lo, exec_lo, s45
	v_lshlrev_b32_e32 v40, 24, v10
	s_delay_alu instid0(VALU_DEP_1) | instskip(NEXT) | instid1(VALU_DEP_1)
	v_and_b32_e32 v40, 0x80000000, v40
	v_lshl_add_u32 v118, v118, 23, v40
	s_delay_alu instid0(VALU_DEP_1) | instskip(NEXT) | instid1(VALU_DEP_1)
	v_lshl_or_b32 v118, v119, 21, v118
                                        ; implicit-def: $vgpr119
	v_add_nc_u32_e32 v118, 0x38000000, v118
.LBB2_4153:                             ;   in Loop: Header=BB2_3610 Depth=2
	s_and_not1_saveexec_b32 s44, s44
; %bb.4154:                             ;   in Loop: Header=BB2_3610 Depth=2
	v_bfe_i32 v118, v10, 0, 8
	s_delay_alu instid0(VALU_DEP_1) | instskip(SKIP_2) | instid1(VALU_DEP_2)
	v_cmp_lt_i16_e32 vcc_lo, -1, v118
	v_cndmask_b32_e32 v118, 0xff800000, v45, vcc_lo
	v_cmp_eq_u32_e32 vcc_lo, 0, v119
	v_cndmask_b32_e32 v118, 0x7f800001, v118, vcc_lo
; %bb.4155:                             ;   in Loop: Header=BB2_3610 Depth=2
	s_or_b32 exec_lo, exec_lo, s44
.LBB2_4156:                             ;   in Loop: Header=BB2_3610 Depth=2
	s_delay_alu instid0(SALU_CYCLE_1)
	s_or_b32 exec_lo, exec_lo, s13
.LBB2_4157:                             ;   in Loop: Header=BB2_3610 Depth=2
	s_delay_alu instid0(SALU_CYCLE_1) | instskip(SKIP_3) | instid1(VALU_DEP_1)
	s_or_b32 exec_lo, exec_lo, s12
	v_and_b32_e32 v40, 0xff, v116
	s_mov_b32 s12, 0
	s_mov_b32 s13, exec_lo
	v_cmpx_lt_i16_e32 0x7f, v40
	s_xor_b32 s13, exec_lo, s13
	s_cbranch_execz .LBB2_4489
; %bb.4158:                             ;   in Loop: Header=BB2_3610 Depth=2
	s_mov_b32 s12, -1
	s_mov_b32 s44, exec_lo
	v_cmpx_eq_u16_e32 0x80, v40
; %bb.4159:                             ;   in Loop: Header=BB2_3610 Depth=2
	s_xor_b32 s12, exec_lo, -1
; %bb.4160:                             ;   in Loop: Header=BB2_3610 Depth=2
	s_or_b32 exec_lo, exec_lo, s44
	s_delay_alu instid0(SALU_CYCLE_1)
	s_and_b32 s12, s12, exec_lo
                                        ; implicit-def: $vgpr40
	s_or_saveexec_b32 s13, s13
	v_bfrev_b32_e32 v119, 1
	s_xor_b32 exec_lo, exec_lo, s13
	s_cbranch_execnz .LBB2_4490
.LBB2_4161:                             ;   in Loop: Header=BB2_3610 Depth=2
	s_or_b32 exec_lo, exec_lo, s13
	s_and_saveexec_b32 s13, s12
.LBB2_4162:                             ;   in Loop: Header=BB2_3610 Depth=2
	v_dual_cndmask_b32 v119, v14, v86, s10 :: v_dual_cndmask_b32 v40, v11, v87, s10
	s_delay_alu instid0(VALU_DEP_1) | instskip(NEXT) | instid1(VALU_DEP_1)
	v_lshl_add_u32 v119, v119, 23, v15
	v_lshl_or_b32 v119, v40, 21, v119
	s_delay_alu instid0(VALU_DEP_1)
	v_cndmask_b32_e64 v119, v119, v36, s7
.LBB2_4163:                             ;   in Loop: Header=BB2_3610 Depth=2
	s_or_b32 exec_lo, exec_lo, s13
	s_delay_alu instid0(VALU_DEP_1) | instskip(SKIP_1) | instid1(VALU_DEP_1)
	v_dual_max_num_f32 v119, v119, v119 :: v_dual_max_num_f32 v118, v118, v118
	s_mov_b32 s12, 0
	v_max_num_f32_e32 v118, v118, v119
.LBB2_4164:                             ;   in Loop: Header=BB2_3610 Depth=2
	s_and_b32 vcc_lo, exec_lo, s12
	s_cbranch_vccz .LBB2_4182
; %bb.4165:                             ;   in Loop: Header=BB2_3610 Depth=2
	v_mov_b32_e32 v118, 0
	s_and_saveexec_b32 s12, s11
	s_cbranch_execz .LBB2_4175
; %bb.4166:                             ;   in Loop: Header=BB2_3610 Depth=2
	v_bfrev_b32_e32 v118, 1
	s_mov_b32 s11, exec_lo
	v_cmpx_ne_u16_e32 0x80, v117
	s_cbranch_execz .LBB2_4174
; %bb.4167:                             ;   in Loop: Header=BB2_3610 Depth=2
	v_and_b32_e32 v118, 0x7c0000, v12
	v_bfe_u32 v117, v12, 16, 2
	s_delay_alu instid0(VALU_DEP_2) | instskip(SKIP_1) | instid1(SALU_CYCLE_1)
	v_cmp_ne_u32_e32 vcc_lo, 0x7c0000, v118
                                        ; implicit-def: $vgpr118
	s_and_saveexec_b32 s13, vcc_lo
	s_xor_b32 s13, exec_lo, s13
	s_cbranch_execz .LBB2_4171
; %bb.4168:                             ;   in Loop: Header=BB2_3610 Depth=2
	v_bfe_u32 v118, v12, 18, 5
	s_mov_b32 s44, exec_lo
	s_delay_alu instid0(VALU_DEP_1)
	v_cmpx_eq_u32_e32 0, v118
; %bb.4169:                             ;   in Loop: Header=BB2_3610 Depth=2
	v_clz_i32_u32_e32 v117, v117
	s_delay_alu instid0(VALU_DEP_1) | instskip(NEXT) | instid1(VALU_DEP_1)
	v_min_u32_e32 v117, 32, v117
	v_subrev_nc_u32_e32 v118, 29, v117
	s_delay_alu instid0(VALU_DEP_1) | instskip(NEXT) | instid1(VALU_DEP_1)
	v_lshlrev_b64_e32 v[40:41], v118, v[10:11]
	v_dual_sub_nc_u32 v118, 30, v117 :: v_dual_bitop2_b32 v117, 3, v40 bitop3:0x40
; %bb.4170:                             ;   in Loop: Header=BB2_3610 Depth=2
	s_or_b32 exec_lo, exec_lo, s44
	v_lshlrev_b32_e32 v10, 24, v10
	s_delay_alu instid0(VALU_DEP_1) | instskip(NEXT) | instid1(VALU_DEP_1)
	v_and_b32_e32 v10, 0x80000000, v10
	v_lshl_add_u32 v10, v118, 23, v10
	s_delay_alu instid0(VALU_DEP_1) | instskip(NEXT) | instid1(VALU_DEP_1)
	v_lshl_or_b32 v10, v117, 21, v10
                                        ; implicit-def: $vgpr117
	v_add_nc_u32_e32 v118, 0x38000000, v10
                                        ; implicit-def: $vgpr10
.LBB2_4171:                             ;   in Loop: Header=BB2_3610 Depth=2
	s_and_not1_saveexec_b32 s13, s13
; %bb.4172:                             ;   in Loop: Header=BB2_3610 Depth=2
	v_bfe_i32 v10, v10, 0, 8
	s_delay_alu instid0(VALU_DEP_1) | instskip(SKIP_2) | instid1(VALU_DEP_2)
	v_cmp_lt_i16_e32 vcc_lo, -1, v10
	v_cndmask_b32_e32 v10, 0xff800000, v45, vcc_lo
	v_cmp_eq_u32_e32 vcc_lo, 0, v117
	v_cndmask_b32_e32 v118, 0x7f800001, v10, vcc_lo
; %bb.4173:                             ;   in Loop: Header=BB2_3610 Depth=2
	s_or_b32 exec_lo, exec_lo, s13
.LBB2_4174:                             ;   in Loop: Header=BB2_3610 Depth=2
	s_delay_alu instid0(SALU_CYCLE_1)
	s_or_b32 exec_lo, exec_lo, s11
.LBB2_4175:                             ;   in Loop: Header=BB2_3610 Depth=2
	s_delay_alu instid0(SALU_CYCLE_1) | instskip(SKIP_3) | instid1(VALU_DEP_1)
	s_or_b32 exec_lo, exec_lo, s12
	v_and_b32_e32 v116, 0xff, v116
	s_mov_b32 s11, 0
	s_mov_b32 s12, exec_lo
	v_cmpx_lt_i16_e32 0x7f, v116
	s_xor_b32 s12, exec_lo, s12
	s_cbranch_execz .LBB2_4491
; %bb.4176:                             ;   in Loop: Header=BB2_3610 Depth=2
	s_mov_b32 s11, -1
	s_mov_b32 s13, exec_lo
	v_cmpx_eq_u16_e32 0x80, v116
; %bb.4177:                             ;   in Loop: Header=BB2_3610 Depth=2
	s_xor_b32 s11, exec_lo, -1
; %bb.4178:                             ;   in Loop: Header=BB2_3610 Depth=2
	s_or_b32 exec_lo, exec_lo, s13
	s_delay_alu instid0(SALU_CYCLE_1)
	s_and_b32 s11, s11, exec_lo
                                        ; implicit-def: $vgpr116
	s_or_saveexec_b32 s12, s12
	v_bfrev_b32_e32 v10, 1
	s_xor_b32 exec_lo, exec_lo, s12
	s_cbranch_execnz .LBB2_4492
.LBB2_4179:                             ;   in Loop: Header=BB2_3610 Depth=2
	s_or_b32 exec_lo, exec_lo, s12
	s_and_saveexec_b32 s12, s11
.LBB2_4180:                             ;   in Loop: Header=BB2_3610 Depth=2
	v_dual_cndmask_b32 v10, v14, v86, s10 :: v_dual_cndmask_b32 v11, v11, v87, s10
	s_delay_alu instid0(VALU_DEP_1) | instskip(NEXT) | instid1(VALU_DEP_1)
	v_lshl_add_u32 v10, v10, 23, v15
	v_lshl_or_b32 v10, v11, 21, v10
	s_delay_alu instid0(VALU_DEP_1)
	v_cndmask_b32_e64 v10, v10, v36, s7
.LBB2_4181:                             ;   in Loop: Header=BB2_3610 Depth=2
	s_or_b32 exec_lo, exec_lo, s12
	s_delay_alu instid0(VALU_DEP_1) | instskip(SKIP_1) | instid1(VALU_DEP_1)
	v_max_num_f32_e32 v10, v10, v10
	v_max_num_f32_e32 v11, v118, v118
	v_min_num_f32_e32 v118, v11, v10
.LBB2_4182:                             ;   in Loop: Header=BB2_3610 Depth=2
	s_delay_alu instid0(VALU_DEP_1) | instskip(SKIP_2) | instid1(VALU_DEP_2)
	v_and_b32_e32 v10, 0x7f800000, v118
	v_mov_b32_e32 v11, v37
	v_and_b32_e32 v36, 0x7fffff, v118
                                        ; implicit-def: $vgpr116
	v_cmp_ne_u64_e32 vcc_lo, 0x7f800000, v[10:11]
	v_lshrrev_b32_e32 v10, 24, v118
	s_and_saveexec_b32 s7, vcc_lo
	s_delay_alu instid0(SALU_CYCLE_1)
	s_xor_b32 s10, exec_lo, s7
	s_cbranch_execz .LBB2_4196
; %bb.4183:                             ;   in Loop: Header=BB2_3610 Depth=2
	v_and_b32_e32 v14, 0x7fffffff, v118
	v_mov_b32_e32 v15, v37
	v_and_b32_e32 v86, 0x80, v10
                                        ; implicit-def: $vgpr116
	s_mov_b32 s7, exec_lo
	s_delay_alu instid0(VALU_DEP_2)
	v_cmpx_gt_u64_e32 0x47600001, v[14:15]
	s_xor_b32 s11, exec_lo, s7
	s_cbranch_execz .LBB2_4193
; %bb.4184:                             ;   in Loop: Header=BB2_3610 Depth=2
	v_mov_b32_e32 v116, 0
	s_mov_b32 s12, exec_lo
	v_cmpx_ne_u32_e32 0, v118
	s_cbranch_execz .LBB2_4192
; %bb.4185:                             ;   in Loop: Header=BB2_3610 Depth=2
	v_bfe_u32 v87, v118, 23, 8
	v_or_b32_e32 v14, 0x800000, v36
	s_delay_alu instid0(VALU_DEP_2) | instskip(SKIP_1) | instid1(VALU_DEP_2)
	v_sub_nc_u32_e32 v10, 0x71, v87
	v_cmp_gt_u32_e32 vcc_lo, 0x72, v87
	v_cndmask_b32_e32 v10, 0, v10, vcc_lo
	v_cmp_eq_u32_e32 vcc_lo, 0, v87
	s_delay_alu instid0(VALU_DEP_2) | instskip(SKIP_1) | instid1(VALU_DEP_2)
	v_cndmask_b32_e64 v116, v10, 0x70, vcc_lo
	v_cndmask_b32_e32 v36, v14, v36, vcc_lo
	v_dual_add_nc_u32 v10, 21, v116 :: v_dual_add_nc_u32 v15, 20, v116
	s_delay_alu instid0(VALU_DEP_1) | instskip(NEXT) | instid1(VALU_DEP_2)
	v_lshlrev_b64_e64 v[10:11], v10, -1
	v_lshlrev_b64_e64 v[14:15], v15, 1
	s_delay_alu instid0(VALU_DEP_2) | instskip(NEXT) | instid1(VALU_DEP_3)
	v_bfi_b32 v119, v11, 0, 0
	v_bfi_b32 v118, v10, 0, v36
	v_lshrrev_b64 v[10:11], v116, v[36:37]
	s_delay_alu instid0(VALU_DEP_2) | instskip(NEXT) | instid1(VALU_DEP_2)
	v_cmp_eq_u64_e64 s7, v[118:119], v[14:15]
	v_mov_b64_e32 v[14:15], v[10:11]
	s_and_saveexec_b32 s13, s7
; %bb.4186:                             ;   in Loop: Header=BB2_3610 Depth=2
	v_bfe_u32 v36, v10, 21, 1
	s_delay_alu instid0(VALU_DEP_1) | instskip(NEXT) | instid1(VALU_DEP_1)
	v_add_nc_u64_e32 v[14:15], v[10:11], v[36:37]
	v_add_nc_u64_e32 v[14:15], -1, v[14:15]
; %bb.4187:                             ;   in Loop: Header=BB2_3610 Depth=2
	s_or_b32 exec_lo, exec_lo, s13
	v_add_nc_u32_e32 v11, 0xffffff81, v87
	v_lshrrev_b32_e32 v15, 23, v10
	s_mov_b32 s7, exec_lo
	s_delay_alu instid0(VALU_DEP_2) | instskip(NEXT) | instid1(VALU_DEP_1)
	v_cndmask_b32_e64 v11, v11, 0xffffff82, vcc_lo
	v_add3_u32 v15, v116, v11, v15
	v_and_b32_e32 v11, 0x1fffff, v14
                                        ; implicit-def: $vgpr14
	s_delay_alu instid0(VALU_DEP_1) | instskip(NEXT) | instid1(VALU_DEP_1)
	v_dual_add_nc_u32 v87, 14, v15 :: v_dual_add_nc_u32 v36, v11, v10
                                        ; implicit-def: $vgpr10_vgpr11
	v_cmpx_ne_u32_e32 0, v87
	s_xor_b32 s7, exec_lo, s7
; %bb.4188:                             ;   in Loop: Header=BB2_3610 Depth=2
	s_delay_alu instid0(VALU_DEP_2) | instskip(SKIP_1) | instid1(VALU_DEP_1)
	v_cmp_lt_u64_e32 vcc_lo, 0xffffff, v[36:37]
	v_add_nc_u32_e32 v10, 15, v15
	v_cndmask_b32_e32 v14, v87, v10, vcc_lo
	v_cndmask_b32_e64 v10, 0, 1, vcc_lo
	s_delay_alu instid0(VALU_DEP_1)
	v_lshrrev_b64 v[10:11], v10, v[36:37]
; %bb.4189:                             ;   in Loop: Header=BB2_3610 Depth=2
	s_and_not1_saveexec_b32 s7, s7
; %bb.4190:                             ;   in Loop: Header=BB2_3610 Depth=2
	v_mov_b64_e32 v[10:11], v[36:37]
	v_bfe_u32 v14, v36, 23, 1
; %bb.4191:                             ;   in Loop: Header=BB2_3610 Depth=2
	s_or_b32 exec_lo, exec_lo, s7
	s_delay_alu instid0(VALU_DEP_2) | instskip(NEXT) | instid1(VALU_DEP_2)
	v_lshrrev_b64 v[10:11], 21, v[10:11]
	v_cmp_gt_i32_e32 vcc_lo, 32, v14
	v_min_i32_e32 v15, 31, v14
	v_cmp_eq_u32_e64 s7, 0, v14
	s_delay_alu instid0(VALU_DEP_4) | instskip(NEXT) | instid1(VALU_DEP_3)
	v_cndmask_b32_e32 v11, 0, v11, vcc_lo
	v_dual_cndmask_b32 v10, 3, v10 :: v_dual_lshlrev_b32 v15, 2, v15
	s_delay_alu instid0(VALU_DEP_1) | instskip(NEXT) | instid1(VALU_DEP_2)
	v_and_b32_e32 v15, 0xfc, v15
	v_cmp_eq_u64_e32 vcc_lo, 0, v[10:11]
	s_delay_alu instid0(VALU_DEP_2)
	v_and_or_b32 v10, v10, 3, v15
	s_and_b32 s7, s7, vcc_lo
	s_delay_alu instid0(VALU_DEP_1) | instid1(SALU_CYCLE_1)
	v_cndmask_b32_e64 v10, v10, 0, s7
	s_delay_alu instid0(VALU_DEP_1)
	v_or_b32_e32 v116, v10, v86
.LBB2_4192:                             ;   in Loop: Header=BB2_3610 Depth=2
	s_or_b32 exec_lo, exec_lo, s12
                                        ; implicit-def: $vgpr86
.LBB2_4193:                             ;   in Loop: Header=BB2_3610 Depth=2
	s_and_not1_saveexec_b32 s7, s11
; %bb.4194:                             ;   in Loop: Header=BB2_3610 Depth=2
	v_or_b32_e32 v116, 0x7b, v86
; %bb.4195:                             ;   in Loop: Header=BB2_3610 Depth=2
	s_or_b32 exec_lo, exec_lo, s7
                                        ; implicit-def: $vgpr118
                                        ; implicit-def: $vgpr10
.LBB2_4196:                             ;   in Loop: Header=BB2_3610 Depth=2
	s_and_not1_saveexec_b32 s7, s10
	s_cbranch_execz .LBB2_4202
; %bb.4197:                             ;   in Loop: Header=BB2_3610 Depth=2
	s_mov_b32 s10, exec_lo
                                        ; implicit-def: $vgpr116
	v_cmpx_ne_u64_e32 0, v[36:37]
	s_xor_b32 s10, exec_lo, s10
; %bb.4198:                             ;   in Loop: Header=BB2_3610 Depth=2
	v_or_b32_e32 v116, 0x7f, v10
                                        ; implicit-def: $vgpr118
; %bb.4199:                             ;   in Loop: Header=BB2_3610 Depth=2
	s_and_not1_saveexec_b32 s10, s10
; %bb.4200:                             ;   in Loop: Header=BB2_3610 Depth=2
	v_cmp_lt_i32_e32 vcc_lo, -1, v118
	v_cndmask_b32_e32 v116, 0xfc, v46, vcc_lo
; %bb.4201:                             ;   in Loop: Header=BB2_3610 Depth=2
	s_or_b32 exec_lo, exec_lo, s10
.LBB2_4202:                             ;   in Loop: Header=BB2_3610 Depth=2
	s_delay_alu instid0(SALU_CYCLE_1)
	s_or_b32 exec_lo, exec_lo, s7
	v_bfe_u32 v11, v16, 24, 2
	v_lshrrev_b32_e32 v36, 24, v16
	v_cmp_lt_i32_e32 vcc_lo, -1, v16
	v_and_b32_e32 v87, 0x7c000000, v16
	v_cmp_gt_u32_e64 s7, 0x1000000, v16
	v_clz_i32_u32_e32 v14, v11
	v_and_or_b32 v15, v16, s27, 0x38000000
	v_cndmask_b32_e32 v40, 0xff800000, v45, vcc_lo
	v_cmp_eq_u32_e32 vcc_lo, 0, v11
	v_cmp_lt_u32_e64 s13, 0xffffff, v12
	v_min_u32_e32 v86, 32, v14
	v_bfe_u32 v14, v16, 26, 5
	v_lshrrev_b32_e32 v10, 24, v12
	v_cmp_eq_u32_e64 s11, 0x7c000000, v87
	s_mov_b32 s44, -1
	v_subrev_nc_u32_e32 v117, 29, v86
	v_cmp_eq_u32_e64 s12, 0, v14
	v_sub_nc_u32_e32 v86, 30, v86
	s_delay_alu instid0(VALU_DEP_3) | instskip(NEXT) | instid1(VALU_DEP_1)
	v_lshlrev_b64_e32 v[118:119], v117, v[36:37]
	v_and_b32_e32 v87, 3, v118
	v_cmp_eq_u32_e64 s10, 0x80, v36
	v_cndmask_b32_e32 v36, 0x7f800001, v40, vcc_lo
	s_and_b32 vcc_lo, exec_lo, s43
                                        ; implicit-def: $vgpr118
	s_cbranch_vccz .LBB2_4214
; %bb.4203:                             ;   in Loop: Header=BB2_3610 Depth=2
	v_mov_b32_e32 v117, 0
	s_and_saveexec_b32 s44, s13
	s_cbranch_execz .LBB2_4213
; %bb.4204:                             ;   in Loop: Header=BB2_3610 Depth=2
	v_bfrev_b32_e32 v117, 1
	s_mov_b32 s45, exec_lo
	v_cmpx_ne_u32_e32 0x80, v10
	s_cbranch_execz .LBB2_4212
; %bb.4205:                             ;   in Loop: Header=BB2_3610 Depth=2
	v_and_b32_e32 v117, 0x7c000000, v12
	v_bfe_u32 v118, v12, 24, 2
	s_delay_alu instid0(VALU_DEP_2) | instskip(SKIP_1) | instid1(SALU_CYCLE_1)
	v_cmp_ne_u32_e32 vcc_lo, 0x7c000000, v117
                                        ; implicit-def: $vgpr117
	s_and_saveexec_b32 s46, vcc_lo
	s_xor_b32 s46, exec_lo, s46
	s_cbranch_execz .LBB2_4209
; %bb.4206:                             ;   in Loop: Header=BB2_3610 Depth=2
	v_bfe_u32 v117, v12, 26, 5
	s_mov_b32 s47, exec_lo
	s_delay_alu instid0(VALU_DEP_1)
	v_cmpx_eq_u32_e32 0, v117
; %bb.4207:                             ;   in Loop: Header=BB2_3610 Depth=2
	v_clz_i32_u32_e32 v117, v118
	s_delay_alu instid0(VALU_DEP_1) | instskip(NEXT) | instid1(VALU_DEP_1)
	v_min_u32_e32 v117, 32, v117
	v_subrev_nc_u32_e32 v118, 29, v117
	s_delay_alu instid0(VALU_DEP_1) | instskip(NEXT) | instid1(VALU_DEP_1)
	v_lshlrev_b64_e32 v[118:119], v118, v[10:11]
	v_dual_sub_nc_u32 v117, 30, v117 :: v_dual_bitop2_b32 v118, 3, v118 bitop3:0x40
; %bb.4208:                             ;   in Loop: Header=BB2_3610 Depth=2
	s_or_b32 exec_lo, exec_lo, s47
	v_and_b32_e32 v119, 0x80000000, v12
	s_delay_alu instid0(VALU_DEP_1) | instskip(NEXT) | instid1(VALU_DEP_1)
	v_lshl_add_u32 v117, v117, 23, v119
	v_lshl_or_b32 v117, v118, 21, v117
                                        ; implicit-def: $vgpr118
	s_delay_alu instid0(VALU_DEP_1)
	v_add_nc_u32_e32 v117, 0x38000000, v117
.LBB2_4209:                             ;   in Loop: Header=BB2_3610 Depth=2
	s_and_not1_saveexec_b32 s46, s46
; %bb.4210:                             ;   in Loop: Header=BB2_3610 Depth=2
	v_cmp_lt_i32_e32 vcc_lo, -1, v12
	v_cndmask_b32_e32 v117, 0xff800000, v45, vcc_lo
	v_cmp_eq_u32_e32 vcc_lo, 0, v118
	s_delay_alu instid0(VALU_DEP_2)
	v_cndmask_b32_e32 v117, 0x7f800001, v117, vcc_lo
; %bb.4211:                             ;   in Loop: Header=BB2_3610 Depth=2
	s_or_b32 exec_lo, exec_lo, s46
.LBB2_4212:                             ;   in Loop: Header=BB2_3610 Depth=2
	s_delay_alu instid0(SALU_CYCLE_1)
	s_or_b32 exec_lo, exec_lo, s45
.LBB2_4213:                             ;   in Loop: Header=BB2_3610 Depth=2
	s_delay_alu instid0(SALU_CYCLE_1) | instskip(SKIP_3) | instid1(VALU_DEP_2)
	s_or_b32 exec_lo, exec_lo, s44
	v_dual_cndmask_b32 v118, v14, v86, s12 :: v_dual_cndmask_b32 v119, v11, v87, s12
	s_mov_b32 s44, 0
	v_max_num_f32_e32 v117, v117, v117
	v_lshl_add_u32 v118, v118, 23, v15
	s_delay_alu instid0(VALU_DEP_1) | instskip(NEXT) | instid1(VALU_DEP_1)
	v_lshl_or_b32 v118, v119, 21, v118
	v_cndmask_b32_e64 v118, v118, v36, s11
	s_delay_alu instid0(VALU_DEP_1) | instskip(NEXT) | instid1(VALU_DEP_1)
	v_cndmask_b32_e64 v118, v118, 0x80000000, s10
	v_cndmask_b32_e64 v118, v118, 0, s7
	s_delay_alu instid0(VALU_DEP_1) | instskip(NEXT) | instid1(VALU_DEP_1)
	v_max_num_f32_e32 v118, v118, v118
	v_max_num_f32_e32 v118, v117, v118
.LBB2_4214:                             ;   in Loop: Header=BB2_3610 Depth=2
	s_and_b32 vcc_lo, exec_lo, s44
	s_cbranch_vccz .LBB2_4226
; %bb.4215:                             ;   in Loop: Header=BB2_3610 Depth=2
	v_mov_b32_e32 v117, 0
	s_and_saveexec_b32 s44, s13
	s_cbranch_execz .LBB2_4225
; %bb.4216:                             ;   in Loop: Header=BB2_3610 Depth=2
	v_bfrev_b32_e32 v117, 1
	s_mov_b32 s13, exec_lo
	v_cmpx_ne_u32_e32 0x80, v10
	s_cbranch_execz .LBB2_4224
; %bb.4217:                             ;   in Loop: Header=BB2_3610 Depth=2
	v_and_b32_e32 v117, 0x7c000000, v12
	v_bfe_u32 v118, v12, 24, 2
	s_delay_alu instid0(VALU_DEP_2) | instskip(SKIP_1) | instid1(SALU_CYCLE_1)
	v_cmp_ne_u32_e32 vcc_lo, 0x7c000000, v117
                                        ; implicit-def: $vgpr117
	s_and_saveexec_b32 s45, vcc_lo
	s_xor_b32 s45, exec_lo, s45
	s_cbranch_execz .LBB2_4221
; %bb.4218:                             ;   in Loop: Header=BB2_3610 Depth=2
	v_bfe_u32 v117, v12, 26, 5
	s_mov_b32 s46, exec_lo
	s_delay_alu instid0(VALU_DEP_1)
	v_cmpx_eq_u32_e32 0, v117
; %bb.4219:                             ;   in Loop: Header=BB2_3610 Depth=2
	v_clz_i32_u32_e32 v117, v118
	s_delay_alu instid0(VALU_DEP_1) | instskip(NEXT) | instid1(VALU_DEP_1)
	v_min_u32_e32 v117, 32, v117
	v_subrev_nc_u32_e32 v118, 29, v117
	s_delay_alu instid0(VALU_DEP_1) | instskip(NEXT) | instid1(VALU_DEP_1)
	v_lshlrev_b64_e32 v[118:119], v118, v[10:11]
	v_dual_sub_nc_u32 v117, 30, v117 :: v_dual_bitop2_b32 v118, 3, v118 bitop3:0x40
; %bb.4220:                             ;   in Loop: Header=BB2_3610 Depth=2
	s_or_b32 exec_lo, exec_lo, s46
	v_and_b32_e32 v10, 0x80000000, v12
	s_delay_alu instid0(VALU_DEP_1) | instskip(NEXT) | instid1(VALU_DEP_1)
	v_lshl_add_u32 v10, v117, 23, v10
	v_lshl_or_b32 v10, v118, 21, v10
                                        ; implicit-def: $vgpr118
	s_delay_alu instid0(VALU_DEP_1)
	v_add_nc_u32_e32 v117, 0x38000000, v10
.LBB2_4221:                             ;   in Loop: Header=BB2_3610 Depth=2
	s_and_not1_saveexec_b32 s45, s45
; %bb.4222:                             ;   in Loop: Header=BB2_3610 Depth=2
	v_cmp_lt_i32_e32 vcc_lo, -1, v12
	v_cndmask_b32_e32 v10, 0xff800000, v45, vcc_lo
	v_cmp_eq_u32_e32 vcc_lo, 0, v118
	s_delay_alu instid0(VALU_DEP_2)
	v_cndmask_b32_e32 v117, 0x7f800001, v10, vcc_lo
; %bb.4223:                             ;   in Loop: Header=BB2_3610 Depth=2
	s_or_b32 exec_lo, exec_lo, s45
.LBB2_4224:                             ;   in Loop: Header=BB2_3610 Depth=2
	s_delay_alu instid0(SALU_CYCLE_1)
	s_or_b32 exec_lo, exec_lo, s13
.LBB2_4225:                             ;   in Loop: Header=BB2_3610 Depth=2
	s_delay_alu instid0(SALU_CYCLE_1) | instskip(SKIP_1) | instid1(VALU_DEP_1)
	s_or_b32 exec_lo, exec_lo, s44
	v_dual_cndmask_b32 v10, v14, v86, s12 :: v_dual_cndmask_b32 v11, v11, v87, s12
	v_lshl_add_u32 v10, v10, 23, v15
	s_delay_alu instid0(VALU_DEP_1) | instskip(NEXT) | instid1(VALU_DEP_1)
	v_lshl_or_b32 v10, v11, 21, v10
	v_dual_max_num_f32 v11, v117, v117 :: v_dual_cndmask_b32 v10, v10, v36, s11
	s_delay_alu instid0(VALU_DEP_1) | instskip(NEXT) | instid1(VALU_DEP_1)
	v_cndmask_b32_e64 v10, v10, 0x80000000, s10
	v_cndmask_b32_e64 v10, v10, 0, s7
	s_delay_alu instid0(VALU_DEP_1) | instskip(NEXT) | instid1(VALU_DEP_1)
	v_max_num_f32_e32 v10, v10, v10
	v_min_num_f32_e32 v118, v11, v10
.LBB2_4226:                             ;   in Loop: Header=BB2_3610 Depth=2
	s_delay_alu instid0(VALU_DEP_1) | instskip(SKIP_2) | instid1(VALU_DEP_2)
	v_and_b32_e32 v10, 0x7f800000, v118
	v_mov_b32_e32 v11, v37
	v_and_b32_e32 v36, 0x7fffff, v118
                                        ; implicit-def: $vgpr117
	v_cmp_ne_u64_e32 vcc_lo, 0x7f800000, v[10:11]
	v_lshrrev_b32_e32 v10, 24, v118
	s_and_saveexec_b32 s7, vcc_lo
	s_delay_alu instid0(SALU_CYCLE_1)
	s_xor_b32 s10, exec_lo, s7
	s_cbranch_execz .LBB2_4240
; %bb.4227:                             ;   in Loop: Header=BB2_3610 Depth=2
	v_and_b32_e32 v14, 0x7fffffff, v118
	v_mov_b32_e32 v15, v37
	v_and_b32_e32 v86, 0x80, v10
                                        ; implicit-def: $vgpr117
	s_mov_b32 s7, exec_lo
	s_delay_alu instid0(VALU_DEP_2)
	v_cmpx_gt_u64_e32 0x47600001, v[14:15]
	s_xor_b32 s11, exec_lo, s7
	s_cbranch_execz .LBB2_4237
; %bb.4228:                             ;   in Loop: Header=BB2_3610 Depth=2
	v_mov_b32_e32 v117, 0
	s_mov_b32 s12, exec_lo
	v_cmpx_ne_u32_e32 0, v118
	s_cbranch_execz .LBB2_4236
; %bb.4229:                             ;   in Loop: Header=BB2_3610 Depth=2
	v_bfe_u32 v87, v118, 23, 8
	v_or_b32_e32 v14, 0x800000, v36
	s_delay_alu instid0(VALU_DEP_2) | instskip(SKIP_1) | instid1(VALU_DEP_2)
	v_sub_nc_u32_e32 v10, 0x71, v87
	v_cmp_gt_u32_e32 vcc_lo, 0x72, v87
	v_cndmask_b32_e32 v10, 0, v10, vcc_lo
	v_cmp_eq_u32_e32 vcc_lo, 0, v87
	s_delay_alu instid0(VALU_DEP_2) | instskip(NEXT) | instid1(VALU_DEP_1)
	v_cndmask_b32_e64 v117, v10, 0x70, vcc_lo
	v_dual_cndmask_b32 v36, v14, v36, vcc_lo :: v_dual_add_nc_u32 v10, 21, v117
	v_add_nc_u32_e32 v15, 20, v117
	s_delay_alu instid0(VALU_DEP_2) | instskip(NEXT) | instid1(VALU_DEP_2)
	v_lshlrev_b64_e64 v[10:11], v10, -1
	v_lshlrev_b64_e64 v[14:15], v15, 1
	s_delay_alu instid0(VALU_DEP_2) | instskip(NEXT) | instid1(VALU_DEP_3)
	v_bfi_b32 v119, v11, 0, 0
	v_bfi_b32 v118, v10, 0, v36
	v_lshrrev_b64 v[10:11], v117, v[36:37]
	s_delay_alu instid0(VALU_DEP_2) | instskip(NEXT) | instid1(VALU_DEP_2)
	v_cmp_eq_u64_e64 s7, v[118:119], v[14:15]
	v_mov_b64_e32 v[14:15], v[10:11]
	s_and_saveexec_b32 s13, s7
; %bb.4230:                             ;   in Loop: Header=BB2_3610 Depth=2
	v_bfe_u32 v36, v10, 21, 1
	s_delay_alu instid0(VALU_DEP_1) | instskip(NEXT) | instid1(VALU_DEP_1)
	v_add_nc_u64_e32 v[14:15], v[10:11], v[36:37]
	v_add_nc_u64_e32 v[14:15], -1, v[14:15]
; %bb.4231:                             ;   in Loop: Header=BB2_3610 Depth=2
	s_or_b32 exec_lo, exec_lo, s13
	v_add_nc_u32_e32 v11, 0xffffff81, v87
	v_lshrrev_b32_e32 v15, 23, v10
	s_mov_b32 s7, exec_lo
	s_delay_alu instid0(VALU_DEP_2) | instskip(NEXT) | instid1(VALU_DEP_1)
	v_cndmask_b32_e64 v11, v11, 0xffffff82, vcc_lo
	v_add3_u32 v15, v117, v11, v15
	v_and_b32_e32 v11, 0x1fffff, v14
                                        ; implicit-def: $vgpr14
	s_delay_alu instid0(VALU_DEP_1) | instskip(NEXT) | instid1(VALU_DEP_1)
	v_dual_add_nc_u32 v87, 14, v15 :: v_dual_add_nc_u32 v36, v11, v10
                                        ; implicit-def: $vgpr10_vgpr11
	v_cmpx_ne_u32_e32 0, v87
	s_xor_b32 s7, exec_lo, s7
; %bb.4232:                             ;   in Loop: Header=BB2_3610 Depth=2
	s_delay_alu instid0(VALU_DEP_2) | instskip(SKIP_1) | instid1(VALU_DEP_1)
	v_cmp_lt_u64_e32 vcc_lo, 0xffffff, v[36:37]
	v_add_nc_u32_e32 v10, 15, v15
	v_cndmask_b32_e32 v14, v87, v10, vcc_lo
	v_cndmask_b32_e64 v10, 0, 1, vcc_lo
	s_delay_alu instid0(VALU_DEP_1)
	v_lshrrev_b64 v[10:11], v10, v[36:37]
; %bb.4233:                             ;   in Loop: Header=BB2_3610 Depth=2
	s_and_not1_saveexec_b32 s7, s7
; %bb.4234:                             ;   in Loop: Header=BB2_3610 Depth=2
	v_mov_b64_e32 v[10:11], v[36:37]
	v_bfe_u32 v14, v36, 23, 1
; %bb.4235:                             ;   in Loop: Header=BB2_3610 Depth=2
	s_or_b32 exec_lo, exec_lo, s7
	s_delay_alu instid0(VALU_DEP_2) | instskip(NEXT) | instid1(VALU_DEP_2)
	v_lshrrev_b64 v[10:11], 21, v[10:11]
	v_cmp_gt_i32_e32 vcc_lo, 32, v14
	v_min_i32_e32 v15, 31, v14
	v_cmp_eq_u32_e64 s7, 0, v14
	s_delay_alu instid0(VALU_DEP_4) | instskip(NEXT) | instid1(VALU_DEP_3)
	v_cndmask_b32_e32 v11, 0, v11, vcc_lo
	v_dual_cndmask_b32 v10, 3, v10 :: v_dual_lshlrev_b32 v15, 2, v15
	s_delay_alu instid0(VALU_DEP_1) | instskip(NEXT) | instid1(VALU_DEP_2)
	v_and_b32_e32 v15, 0xfc, v15
	v_cmp_eq_u64_e32 vcc_lo, 0, v[10:11]
	s_delay_alu instid0(VALU_DEP_2)
	v_and_or_b32 v10, v10, 3, v15
	s_and_b32 s7, s7, vcc_lo
	s_delay_alu instid0(VALU_DEP_1) | instid1(SALU_CYCLE_1)
	v_cndmask_b32_e64 v10, v10, 0, s7
	s_delay_alu instid0(VALU_DEP_1)
	v_or_b32_e32 v117, v10, v86
.LBB2_4236:                             ;   in Loop: Header=BB2_3610 Depth=2
	s_or_b32 exec_lo, exec_lo, s12
                                        ; implicit-def: $vgpr86
.LBB2_4237:                             ;   in Loop: Header=BB2_3610 Depth=2
	s_and_not1_saveexec_b32 s7, s11
; %bb.4238:                             ;   in Loop: Header=BB2_3610 Depth=2
	v_or_b32_e32 v117, 0x7b, v86
; %bb.4239:                             ;   in Loop: Header=BB2_3610 Depth=2
	s_or_b32 exec_lo, exec_lo, s7
                                        ; implicit-def: $vgpr118
                                        ; implicit-def: $vgpr10
.LBB2_4240:                             ;   in Loop: Header=BB2_3610 Depth=2
	s_and_not1_saveexec_b32 s7, s10
	s_cbranch_execz .LBB2_4246
; %bb.4241:                             ;   in Loop: Header=BB2_3610 Depth=2
	s_mov_b32 s10, exec_lo
                                        ; implicit-def: $vgpr117
	v_cmpx_ne_u64_e32 0, v[36:37]
	s_xor_b32 s10, exec_lo, s10
; %bb.4242:                             ;   in Loop: Header=BB2_3610 Depth=2
	v_or_b32_e32 v117, 0x7f, v10
                                        ; implicit-def: $vgpr118
; %bb.4243:                             ;   in Loop: Header=BB2_3610 Depth=2
	s_and_not1_saveexec_b32 s10, s10
; %bb.4244:                             ;   in Loop: Header=BB2_3610 Depth=2
	v_cmp_lt_i32_e32 vcc_lo, -1, v118
	v_cndmask_b32_e32 v117, 0xfc, v46, vcc_lo
; %bb.4245:                             ;   in Loop: Header=BB2_3610 Depth=2
	s_or_b32 exec_lo, exec_lo, s10
.LBB2_4246:                             ;   in Loop: Header=BB2_3610 Depth=2
	s_delay_alu instid0(SALU_CYCLE_1) | instskip(SKIP_3) | instid1(VALU_DEP_3)
	s_or_b32 exec_lo, exec_lo, s7
	v_dual_mov_b32 v36, v13 :: v_dual_bitop2_b32 v14, 3, v17 bitop3:0x40
	v_bfe_i32 v119, v17, 0, 8
	v_dual_mov_b32 v10, v17 :: v_dual_mov_b32 v11, v37
	v_clz_i32_u32_e32 v15, v14
	v_and_b32_e32 v86, 0x7c, v17
	s_delay_alu instid0(VALU_DEP_4)
	v_cmp_lt_i16_e32 vcc_lo, -1, v119
	v_and_b32_e32 v40, 0xff, v13
	s_mov_b32 s12, -1
	v_min_u32_e32 v87, 32, v15
	v_bfe_u32 v15, v17, 2, 5
	v_lshlrev_b32_e32 v118, 24, v17
	v_cmp_eq_u32_e64 s7, 0x7c, v86
	v_cndmask_b32_e32 v86, 0xff800000, v45, vcc_lo
	v_subrev_nc_u32_e32 v41, 29, v87
	v_cmp_eq_u32_e32 vcc_lo, 0, v14
	v_cmp_eq_u32_e64 s10, 0, v15
	v_cmp_ne_u16_e64 s11, 0, v40
	v_sub_nc_u32_e32 v87, 30, v87
	v_lshlrev_b64_e32 v[60:61], v41, v[10:11]
	v_and_or_b32 v11, v118, s27, 0x38000000
	v_cndmask_b32_e32 v86, 0x7f800001, v86, vcc_lo
	s_and_b32 vcc_lo, exec_lo, s43
                                        ; implicit-def: $vgpr41
	s_delay_alu instid0(VALU_DEP_3)
	v_and_b32_e32 v118, 3, v60
	s_cbranch_vccz .LBB2_4264
; %bb.4247:                             ;   in Loop: Header=BB2_3610 Depth=2
	v_mov_b32_e32 v41, 0
	s_and_saveexec_b32 s12, s11
	s_cbranch_execz .LBB2_4257
; %bb.4248:                             ;   in Loop: Header=BB2_3610 Depth=2
	v_bfrev_b32_e32 v41, 1
	s_mov_b32 s13, exec_lo
	v_cmpx_ne_u16_e32 0x80, v40
	s_cbranch_execz .LBB2_4256
; %bb.4249:                             ;   in Loop: Header=BB2_3610 Depth=2
	v_and_b32_e32 v41, 0x7c, v13
	v_and_b32_e32 v60, 3, v13
	s_delay_alu instid0(VALU_DEP_2) | instskip(SKIP_1) | instid1(SALU_CYCLE_1)
	v_cmp_ne_u32_e32 vcc_lo, 0x7c, v41
                                        ; implicit-def: $vgpr41
	s_and_saveexec_b32 s44, vcc_lo
	s_xor_b32 s44, exec_lo, s44
	s_cbranch_execz .LBB2_4253
; %bb.4250:                             ;   in Loop: Header=BB2_3610 Depth=2
	v_bfe_u32 v41, v13, 2, 5
	s_mov_b32 s45, exec_lo
	s_delay_alu instid0(VALU_DEP_1)
	v_cmpx_eq_u32_e32 0, v41
; %bb.4251:                             ;   in Loop: Header=BB2_3610 Depth=2
	v_clz_i32_u32_e32 v41, v60
	s_delay_alu instid0(VALU_DEP_1) | instskip(NEXT) | instid1(VALU_DEP_1)
	v_min_u32_e32 v41, 32, v41
	v_subrev_nc_u32_e32 v60, 29, v41
	s_delay_alu instid0(VALU_DEP_1) | instskip(NEXT) | instid1(VALU_DEP_1)
	v_lshlrev_b64_e32 v[60:61], v60, v[36:37]
	v_dual_sub_nc_u32 v41, 30, v41 :: v_dual_bitop2_b32 v60, 3, v60 bitop3:0x40
; %bb.4252:                             ;   in Loop: Header=BB2_3610 Depth=2
	s_or_b32 exec_lo, exec_lo, s45
	v_lshlrev_b32_e32 v61, 24, v13
	s_delay_alu instid0(VALU_DEP_1) | instskip(NEXT) | instid1(VALU_DEP_1)
	v_and_b32_e32 v61, 0x80000000, v61
	v_lshl_add_u32 v41, v41, 23, v61
	s_delay_alu instid0(VALU_DEP_1) | instskip(NEXT) | instid1(VALU_DEP_1)
	v_lshl_or_b32 v41, v60, 21, v41
                                        ; implicit-def: $vgpr60
	v_add_nc_u32_e32 v41, 0x38000000, v41
.LBB2_4253:                             ;   in Loop: Header=BB2_3610 Depth=2
	s_and_not1_saveexec_b32 s44, s44
; %bb.4254:                             ;   in Loop: Header=BB2_3610 Depth=2
	v_bfe_i32 v41, v13, 0, 8
	s_delay_alu instid0(VALU_DEP_1) | instskip(SKIP_2) | instid1(VALU_DEP_2)
	v_cmp_lt_i16_e32 vcc_lo, -1, v41
	v_cndmask_b32_e32 v41, 0xff800000, v45, vcc_lo
	v_cmp_eq_u32_e32 vcc_lo, 0, v60
	v_cndmask_b32_e32 v41, 0x7f800001, v41, vcc_lo
; %bb.4255:                             ;   in Loop: Header=BB2_3610 Depth=2
	s_or_b32 exec_lo, exec_lo, s44
.LBB2_4256:                             ;   in Loop: Header=BB2_3610 Depth=2
	s_delay_alu instid0(SALU_CYCLE_1)
	s_or_b32 exec_lo, exec_lo, s13
.LBB2_4257:                             ;   in Loop: Header=BB2_3610 Depth=2
	s_delay_alu instid0(SALU_CYCLE_1) | instskip(SKIP_3) | instid1(VALU_DEP_1)
	s_or_b32 exec_lo, exec_lo, s12
	v_and_b32_e32 v61, 0xff, v119
	s_mov_b32 s12, 0
	s_mov_b32 s13, exec_lo
	v_cmpx_lt_i16_e32 0x7f, v61
	s_xor_b32 s13, exec_lo, s13
	s_cbranch_execz .LBB2_4493
; %bb.4258:                             ;   in Loop: Header=BB2_3610 Depth=2
	s_mov_b32 s12, -1
	s_mov_b32 s44, exec_lo
	v_cmpx_eq_u16_e32 0x80, v61
; %bb.4259:                             ;   in Loop: Header=BB2_3610 Depth=2
	s_xor_b32 s12, exec_lo, -1
; %bb.4260:                             ;   in Loop: Header=BB2_3610 Depth=2
	s_or_b32 exec_lo, exec_lo, s44
	s_delay_alu instid0(SALU_CYCLE_1)
	s_and_b32 s12, s12, exec_lo
                                        ; implicit-def: $vgpr61
	s_or_saveexec_b32 s13, s13
	v_bfrev_b32_e32 v60, 1
	s_xor_b32 exec_lo, exec_lo, s13
	s_cbranch_execnz .LBB2_4494
.LBB2_4261:                             ;   in Loop: Header=BB2_3610 Depth=2
	s_or_b32 exec_lo, exec_lo, s13
	s_and_saveexec_b32 s13, s12
.LBB2_4262:                             ;   in Loop: Header=BB2_3610 Depth=2
	v_dual_cndmask_b32 v60, v15, v87, s10 :: v_dual_cndmask_b32 v61, v14, v118, s10
	s_delay_alu instid0(VALU_DEP_1) | instskip(NEXT) | instid1(VALU_DEP_1)
	v_lshl_add_u32 v60, v60, 23, v11
	v_lshl_or_b32 v60, v61, 21, v60
	s_delay_alu instid0(VALU_DEP_1)
	v_cndmask_b32_e64 v60, v60, v86, s7
.LBB2_4263:                             ;   in Loop: Header=BB2_3610 Depth=2
	s_or_b32 exec_lo, exec_lo, s13
	s_delay_alu instid0(VALU_DEP_1) | instskip(SKIP_1) | instid1(VALU_DEP_1)
	v_dual_max_num_f32 v60, v60, v60 :: v_dual_max_num_f32 v41, v41, v41
	s_mov_b32 s12, 0
	v_max_num_f32_e32 v41, v41, v60
.LBB2_4264:                             ;   in Loop: Header=BB2_3610 Depth=2
	s_and_b32 vcc_lo, exec_lo, s12
	s_cbranch_vccz .LBB2_4282
; %bb.4265:                             ;   in Loop: Header=BB2_3610 Depth=2
	v_mov_b32_e32 v41, 0
	s_and_saveexec_b32 s12, s11
	s_cbranch_execz .LBB2_4275
; %bb.4266:                             ;   in Loop: Header=BB2_3610 Depth=2
	v_bfrev_b32_e32 v41, 1
	s_mov_b32 s11, exec_lo
	v_cmpx_ne_u16_e32 0x80, v40
	s_cbranch_execz .LBB2_4274
; %bb.4267:                             ;   in Loop: Header=BB2_3610 Depth=2
	v_and_b32_e32 v41, 0x7c, v13
	v_and_b32_e32 v40, 3, v13
	s_delay_alu instid0(VALU_DEP_2) | instskip(SKIP_1) | instid1(SALU_CYCLE_1)
	v_cmp_ne_u32_e32 vcc_lo, 0x7c, v41
                                        ; implicit-def: $vgpr41
	s_and_saveexec_b32 s13, vcc_lo
	s_xor_b32 s13, exec_lo, s13
	s_cbranch_execz .LBB2_4271
; %bb.4268:                             ;   in Loop: Header=BB2_3610 Depth=2
	v_bfe_u32 v41, v13, 2, 5
	s_mov_b32 s44, exec_lo
	s_delay_alu instid0(VALU_DEP_1)
	v_cmpx_eq_u32_e32 0, v41
; %bb.4269:                             ;   in Loop: Header=BB2_3610 Depth=2
	v_clz_i32_u32_e32 v40, v40
	s_delay_alu instid0(VALU_DEP_1) | instskip(NEXT) | instid1(VALU_DEP_1)
	v_min_u32_e32 v60, 32, v40
	v_subrev_nc_u32_e32 v40, 29, v60
	s_delay_alu instid0(VALU_DEP_1) | instskip(SKIP_1) | instid1(VALU_DEP_2)
	v_lshlrev_b64_e32 v[40:41], v40, v[36:37]
	v_sub_nc_u32_e32 v41, 30, v60
	v_and_b32_e32 v40, 3, v40
; %bb.4270:                             ;   in Loop: Header=BB2_3610 Depth=2
	s_or_b32 exec_lo, exec_lo, s44
	v_lshlrev_b32_e32 v60, 24, v13
	s_delay_alu instid0(VALU_DEP_1) | instskip(NEXT) | instid1(VALU_DEP_1)
	v_and_b32_e32 v60, 0x80000000, v60
	v_lshl_add_u32 v41, v41, 23, v60
	s_delay_alu instid0(VALU_DEP_1) | instskip(NEXT) | instid1(VALU_DEP_1)
	v_lshl_or_b32 v40, v40, 21, v41
	v_add_nc_u32_e32 v41, 0x38000000, v40
                                        ; implicit-def: $vgpr40
.LBB2_4271:                             ;   in Loop: Header=BB2_3610 Depth=2
	s_and_not1_saveexec_b32 s13, s13
; %bb.4272:                             ;   in Loop: Header=BB2_3610 Depth=2
	v_bfe_i32 v41, v13, 0, 8
	s_delay_alu instid0(VALU_DEP_1) | instskip(SKIP_2) | instid1(VALU_DEP_2)
	v_cmp_lt_i16_e32 vcc_lo, -1, v41
	v_cndmask_b32_e32 v41, 0xff800000, v45, vcc_lo
	v_cmp_eq_u32_e32 vcc_lo, 0, v40
	v_cndmask_b32_e32 v41, 0x7f800001, v41, vcc_lo
; %bb.4273:                             ;   in Loop: Header=BB2_3610 Depth=2
	s_or_b32 exec_lo, exec_lo, s13
.LBB2_4274:                             ;   in Loop: Header=BB2_3610 Depth=2
	s_delay_alu instid0(SALU_CYCLE_1)
	s_or_b32 exec_lo, exec_lo, s11
.LBB2_4275:                             ;   in Loop: Header=BB2_3610 Depth=2
	s_delay_alu instid0(SALU_CYCLE_1) | instskip(SKIP_3) | instid1(VALU_DEP_1)
	s_or_b32 exec_lo, exec_lo, s12
	v_and_b32_e32 v40, 0xff, v119
	s_mov_b32 s11, 0
	s_mov_b32 s12, exec_lo
	v_cmpx_lt_i16_e32 0x7f, v40
	s_xor_b32 s12, exec_lo, s12
	s_cbranch_execz .LBB2_4495
; %bb.4276:                             ;   in Loop: Header=BB2_3610 Depth=2
	s_mov_b32 s11, -1
	s_mov_b32 s13, exec_lo
	v_cmpx_eq_u16_e32 0x80, v40
; %bb.4277:                             ;   in Loop: Header=BB2_3610 Depth=2
	s_xor_b32 s11, exec_lo, -1
; %bb.4278:                             ;   in Loop: Header=BB2_3610 Depth=2
	s_or_b32 exec_lo, exec_lo, s13
	s_delay_alu instid0(SALU_CYCLE_1)
	s_and_b32 s11, s11, exec_lo
                                        ; implicit-def: $vgpr40
	s_or_saveexec_b32 s12, s12
	v_bfrev_b32_e32 v119, 1
	s_xor_b32 exec_lo, exec_lo, s12
	s_cbranch_execnz .LBB2_4496
.LBB2_4279:                             ;   in Loop: Header=BB2_3610 Depth=2
	s_or_b32 exec_lo, exec_lo, s12
	s_and_saveexec_b32 s12, s11
.LBB2_4280:                             ;   in Loop: Header=BB2_3610 Depth=2
	v_dual_cndmask_b32 v15, v15, v87, s10 :: v_dual_cndmask_b32 v14, v14, v118, s10
	s_delay_alu instid0(VALU_DEP_1) | instskip(NEXT) | instid1(VALU_DEP_1)
	v_lshl_add_u32 v11, v15, 23, v11
	v_lshl_or_b32 v11, v14, 21, v11
	s_delay_alu instid0(VALU_DEP_1)
	v_cndmask_b32_e64 v119, v11, v86, s7
.LBB2_4281:                             ;   in Loop: Header=BB2_3610 Depth=2
	s_or_b32 exec_lo, exec_lo, s12
	s_delay_alu instid0(VALU_DEP_1) | instskip(NEXT) | instid1(VALU_DEP_1)
	v_dual_max_num_f32 v11, v119, v119 :: v_dual_max_num_f32 v14, v41, v41
	v_min_num_f32_e32 v41, v14, v11
.LBB2_4282:                             ;   in Loop: Header=BB2_3610 Depth=2
	s_delay_alu instid0(VALU_DEP_1) | instskip(SKIP_4) | instid1(VALU_DEP_3)
	v_and_b32_e32 v86, 0x7f800000, v41
	v_dual_mov_b32 v87, v37 :: v_dual_mov_b32 v15, v37
	v_and_b32_e32 v14, 0x7fffff, v41
	v_lshrrev_b32_e32 v11, 24, v41
                                        ; implicit-def: $vgpr118
	s_mov_b32 s7, exec_lo
	v_cmpx_ne_u64_e32 0x7f800000, v[86:87]
	s_xor_b32 s10, exec_lo, s7
	s_cbranch_execz .LBB2_4296
; %bb.4283:                             ;   in Loop: Header=BB2_3610 Depth=2
	v_and_b32_e32 v86, 0x7fffffff, v41
	v_mov_b32_e32 v87, v37
	v_and_b32_e32 v11, 0x80, v11
                                        ; implicit-def: $vgpr118
	s_mov_b32 s7, exec_lo
	s_delay_alu instid0(VALU_DEP_2)
	v_cmpx_gt_u64_e32 0x47600001, v[86:87]
	s_xor_b32 s11, exec_lo, s7
	s_cbranch_execz .LBB2_4293
; %bb.4284:                             ;   in Loop: Header=BB2_3610 Depth=2
	v_mov_b32_e32 v118, 0
	s_mov_b32 s12, exec_lo
	v_cmpx_ne_u32_e32 0, v41
	s_cbranch_execz .LBB2_4292
; %bb.4285:                             ;   in Loop: Header=BB2_3610 Depth=2
	v_bfe_u32 v118, v41, 23, 8
	v_or_b32_e32 v40, 0x800000, v14
	s_delay_alu instid0(VALU_DEP_2) | instskip(SKIP_1) | instid1(VALU_DEP_2)
	v_sub_nc_u32_e32 v86, 0x71, v118
	v_cmp_gt_u32_e32 vcc_lo, 0x72, v118
	v_cndmask_b32_e32 v86, 0, v86, vcc_lo
	v_cmp_eq_u32_e32 vcc_lo, 0, v118
	s_delay_alu instid0(VALU_DEP_2) | instskip(NEXT) | instid1(VALU_DEP_1)
	v_cndmask_b32_e64 v119, v86, 0x70, vcc_lo
	v_dual_cndmask_b32 v14, v40, v14, vcc_lo :: v_dual_add_nc_u32 v86, 21, v119
	v_add_nc_u32_e32 v41, 20, v119
	s_delay_alu instid0(VALU_DEP_2) | instskip(NEXT) | instid1(VALU_DEP_2)
	v_lshlrev_b64_e64 v[86:87], v86, -1
	v_lshlrev_b64_e64 v[40:41], v41, 1
	s_delay_alu instid0(VALU_DEP_2) | instskip(SKIP_1) | instid1(VALU_DEP_4)
	v_bfi_b32 v86, v86, 0, v14
	v_lshrrev_b64 v[14:15], v119, v[14:15]
	v_bfi_b32 v87, v87, 0, 0
	s_delay_alu instid0(VALU_DEP_1) | instskip(NEXT) | instid1(VALU_DEP_3)
	v_cmp_eq_u64_e64 s7, v[86:87], v[40:41]
	v_mov_b64_e32 v[86:87], v[14:15]
	s_and_saveexec_b32 s13, s7
; %bb.4286:                             ;   in Loop: Header=BB2_3610 Depth=2
	v_bfe_u32 v86, v14, 21, 1
	v_mov_b32_e32 v87, v37
	s_delay_alu instid0(VALU_DEP_1) | instskip(NEXT) | instid1(VALU_DEP_1)
	v_add_nc_u64_e32 v[86:87], v[14:15], v[86:87]
	v_add_nc_u64_e32 v[86:87], -1, v[86:87]
; %bb.4287:                             ;   in Loop: Header=BB2_3610 Depth=2
	s_or_b32 exec_lo, exec_lo, s13
	v_add_nc_u32_e32 v15, 0xffffff81, v118
	v_lshrrev_b32_e32 v87, 23, v14
	s_mov_b32 s7, exec_lo
	s_delay_alu instid0(VALU_DEP_2) | instskip(NEXT) | instid1(VALU_DEP_1)
	v_cndmask_b32_e64 v15, v15, 0xffffff82, vcc_lo
	v_add3_u32 v87, v119, v15, v87
	v_and_b32_e32 v15, 0x1fffff, v86
                                        ; implicit-def: $vgpr86
	s_delay_alu instid0(VALU_DEP_1) | instskip(SKIP_1) | instid1(VALU_DEP_2)
	v_dual_add_nc_u32 v118, 14, v87 :: v_dual_add_nc_u32 v14, v15, v14
	v_mov_b32_e32 v15, v37
	v_cmpx_ne_u32_e32 0, v118
	s_xor_b32 s7, exec_lo, s7
; %bb.4288:                             ;   in Loop: Header=BB2_3610 Depth=2
	s_delay_alu instid0(VALU_DEP_2) | instskip(SKIP_2) | instid1(VALU_DEP_2)
	v_cmp_lt_u64_e32 vcc_lo, 0xffffff, v[14:15]
	v_add_nc_u32_e32 v86, 15, v87
	v_cndmask_b32_e64 v87, 0, 1, vcc_lo
	v_cndmask_b32_e32 v86, v118, v86, vcc_lo
	s_delay_alu instid0(VALU_DEP_2)
	v_lshrrev_b64 v[14:15], v87, v[14:15]
; %bb.4289:                             ;   in Loop: Header=BB2_3610 Depth=2
	s_and_not1_saveexec_b32 s7, s7
; %bb.4290:                             ;   in Loop: Header=BB2_3610 Depth=2
	s_delay_alu instid0(VALU_DEP_1)
	v_bfe_u32 v86, v14, 23, 1
; %bb.4291:                             ;   in Loop: Header=BB2_3610 Depth=2
	s_or_b32 exec_lo, exec_lo, s7
	s_delay_alu instid0(VALU_DEP_2) | instskip(NEXT) | instid1(VALU_DEP_2)
	v_lshrrev_b64 v[14:15], 21, v[14:15]
	v_cmp_gt_i32_e32 vcc_lo, 32, v86
	v_min_i32_e32 v87, 31, v86
	v_cmp_eq_u32_e64 s7, 0, v86
	s_delay_alu instid0(VALU_DEP_4) | instskip(NEXT) | instid1(VALU_DEP_3)
	v_cndmask_b32_e32 v15, 0, v15, vcc_lo
	v_dual_cndmask_b32 v14, 3, v14 :: v_dual_lshlrev_b32 v87, 2, v87
	s_delay_alu instid0(VALU_DEP_1) | instskip(NEXT) | instid1(VALU_DEP_2)
	v_and_b32_e32 v87, 0xfc, v87
	v_cmp_eq_u64_e32 vcc_lo, 0, v[14:15]
	s_delay_alu instid0(VALU_DEP_2)
	v_and_or_b32 v14, v14, 3, v87
	s_and_b32 s7, s7, vcc_lo
	s_delay_alu instid0(VALU_DEP_1) | instid1(SALU_CYCLE_1)
	v_cndmask_b32_e64 v14, v14, 0, s7
	s_delay_alu instid0(VALU_DEP_1)
	v_or_b32_e32 v118, v14, v11
.LBB2_4292:                             ;   in Loop: Header=BB2_3610 Depth=2
	s_or_b32 exec_lo, exec_lo, s12
                                        ; implicit-def: $vgpr11
.LBB2_4293:                             ;   in Loop: Header=BB2_3610 Depth=2
	s_and_not1_saveexec_b32 s7, s11
; %bb.4294:                             ;   in Loop: Header=BB2_3610 Depth=2
	v_or_b32_e32 v118, 0x7b, v11
; %bb.4295:                             ;   in Loop: Header=BB2_3610 Depth=2
	s_or_b32 exec_lo, exec_lo, s7
                                        ; implicit-def: $vgpr41
                                        ; implicit-def: $vgpr14_vgpr15
                                        ; implicit-def: $vgpr11
.LBB2_4296:                             ;   in Loop: Header=BB2_3610 Depth=2
	s_and_not1_saveexec_b32 s7, s10
	s_cbranch_execz .LBB2_4302
; %bb.4297:                             ;   in Loop: Header=BB2_3610 Depth=2
	s_mov_b32 s10, exec_lo
                                        ; implicit-def: $vgpr118
	v_cmpx_ne_u64_e32 0, v[14:15]
	s_xor_b32 s10, exec_lo, s10
; %bb.4298:                             ;   in Loop: Header=BB2_3610 Depth=2
	v_or_b32_e32 v118, 0x7f, v11
                                        ; implicit-def: $vgpr41
; %bb.4299:                             ;   in Loop: Header=BB2_3610 Depth=2
	s_and_not1_saveexec_b32 s10, s10
; %bb.4300:                             ;   in Loop: Header=BB2_3610 Depth=2
	v_cmp_lt_i32_e32 vcc_lo, -1, v41
	v_cndmask_b32_e32 v118, 0xfc, v46, vcc_lo
; %bb.4301:                             ;   in Loop: Header=BB2_3610 Depth=2
	s_or_b32 exec_lo, exec_lo, s10
.LBB2_4302:                             ;   in Loop: Header=BB2_3610 Depth=2
	s_delay_alu instid0(SALU_CYCLE_1) | instskip(SKIP_4) | instid1(VALU_DEP_3)
	s_or_b32 exec_lo, exec_lo, s7
	v_lshrrev_b16 v14, 8, v10
	v_cmp_lt_i16_e32 vcc_lo, -1, v10
	v_lshrrev_b16 v86, 8, v36
	s_mov_b32 s12, -1
	v_and_b32_e32 v87, 0xffff, v14
	v_lshlrev_b32_e32 v41, 24, v14
	s_delay_alu instid0(VALU_DEP_3) | instskip(SKIP_1) | instid1(VALU_DEP_4)
	v_and_b32_e32 v60, 0xffff, v86
	v_cmp_ne_u16_e64 s11, 0, v86
	v_and_b32_e32 v11, 3, v87
	v_and_b32_e32 v72, 0x7c, v87
	v_bfe_u32 v10, v87, 2, 5
	s_delay_alu instid0(VALU_DEP_3) | instskip(NEXT) | instid1(VALU_DEP_3)
	v_clz_i32_u32_e32 v15, v11
	v_cmp_eq_u32_e64 s7, 0x7c, v72
	s_delay_alu instid0(VALU_DEP_3) | instskip(NEXT) | instid1(VALU_DEP_3)
	v_cmp_eq_u32_e64 s10, 0, v10
	v_min_u32_e32 v40, 32, v15
	v_mov_b32_e32 v15, v37
	v_cndmask_b32_e32 v119, 0xff800000, v45, vcc_lo
	v_cmp_eq_u32_e32 vcc_lo, 0, v11
	s_delay_alu instid0(VALU_DEP_4) | instskip(NEXT) | instid1(VALU_DEP_3)
	v_subrev_nc_u32_e32 v61, 29, v40
	v_dual_cndmask_b32 v119, 0x7f800001, v119 :: v_dual_sub_nc_u32 v40, 30, v40
	s_and_b32 vcc_lo, exec_lo, s43
	s_delay_alu instid0(VALU_DEP_2) | instskip(SKIP_1) | instid1(VALU_DEP_2)
	v_lshlrev_b64_e32 v[62:63], v61, v[14:15]
	v_and_or_b32 v15, v41, s27, 0x38000000
                                        ; implicit-def: $vgpr61
	v_and_b32_e32 v41, 3, v62
	s_cbranch_vccz .LBB2_4320
; %bb.4303:                             ;   in Loop: Header=BB2_3610 Depth=2
	v_mov_b32_e32 v87, 0
	s_and_saveexec_b32 s12, s11
	s_cbranch_execz .LBB2_4313
; %bb.4304:                             ;   in Loop: Header=BB2_3610 Depth=2
	v_bfrev_b32_e32 v87, 1
	s_mov_b32 s13, exec_lo
	v_cmpx_ne_u16_e32 0x80, v86
	s_cbranch_execz .LBB2_4312
; %bb.4305:                             ;   in Loop: Header=BB2_3610 Depth=2
	v_and_b32_e32 v87, 0x7c, v60
	v_and_b32_e32 v61, 3, v60
	s_delay_alu instid0(VALU_DEP_2) | instskip(SKIP_1) | instid1(SALU_CYCLE_1)
	v_cmp_ne_u32_e32 vcc_lo, 0x7c, v87
                                        ; implicit-def: $vgpr87
	s_and_saveexec_b32 s44, vcc_lo
	s_xor_b32 s44, exec_lo, s44
	s_cbranch_execz .LBB2_4309
; %bb.4306:                             ;   in Loop: Header=BB2_3610 Depth=2
	v_bfe_u32 v87, v60, 2, 5
	s_mov_b32 s45, exec_lo
	s_delay_alu instid0(VALU_DEP_1)
	v_cmpx_eq_u32_e32 0, v87
; %bb.4307:                             ;   in Loop: Header=BB2_3610 Depth=2
	v_clz_i32_u32_e32 v87, v61
	s_delay_alu instid0(VALU_DEP_1) | instskip(SKIP_1) | instid1(VALU_DEP_2)
	v_min_u32_e32 v61, 32, v87
	v_mov_b32_e32 v87, v37
	v_subrev_nc_u32_e32 v62, 29, v61
	s_delay_alu instid0(VALU_DEP_1) | instskip(NEXT) | instid1(VALU_DEP_1)
	v_lshlrev_b64_e32 v[62:63], v62, v[86:87]
	v_dual_sub_nc_u32 v87, 30, v61 :: v_dual_bitop2_b32 v61, 3, v62 bitop3:0x40
; %bb.4308:                             ;   in Loop: Header=BB2_3610 Depth=2
	s_or_b32 exec_lo, exec_lo, s45
	v_lshlrev_b32_e32 v62, 16, v36
	s_delay_alu instid0(VALU_DEP_1) | instskip(NEXT) | instid1(VALU_DEP_1)
	v_and_b32_e32 v62, 0x80000000, v62
	v_lshl_add_u32 v87, v87, 23, v62
	s_delay_alu instid0(VALU_DEP_1) | instskip(NEXT) | instid1(VALU_DEP_1)
	v_lshl_or_b32 v87, v61, 21, v87
                                        ; implicit-def: $vgpr61
	v_add_nc_u32_e32 v87, 0x38000000, v87
.LBB2_4309:                             ;   in Loop: Header=BB2_3610 Depth=2
	s_and_not1_saveexec_b32 s44, s44
; %bb.4310:                             ;   in Loop: Header=BB2_3610 Depth=2
	v_cmp_lt_i16_e32 vcc_lo, -1, v36
	v_cndmask_b32_e32 v87, 0xff800000, v45, vcc_lo
	v_cmp_eq_u32_e32 vcc_lo, 0, v61
	s_delay_alu instid0(VALU_DEP_2)
	v_cndmask_b32_e32 v87, 0x7f800001, v87, vcc_lo
; %bb.4311:                             ;   in Loop: Header=BB2_3610 Depth=2
	s_or_b32 exec_lo, exec_lo, s44
.LBB2_4312:                             ;   in Loop: Header=BB2_3610 Depth=2
	s_delay_alu instid0(SALU_CYCLE_1)
	s_or_b32 exec_lo, exec_lo, s13
.LBB2_4313:                             ;   in Loop: Header=BB2_3610 Depth=2
	s_delay_alu instid0(SALU_CYCLE_1)
	s_or_b32 exec_lo, exec_lo, s12
	s_mov_b32 s12, 0
	s_mov_b32 s13, exec_lo
	v_cmpx_lt_i16_e32 0x7f, v14
	s_xor_b32 s13, exec_lo, s13
	s_cbranch_execz .LBB2_4497
; %bb.4314:                             ;   in Loop: Header=BB2_3610 Depth=2
	s_mov_b32 s12, -1
	s_mov_b32 s44, exec_lo
	v_cmpx_eq_u16_e32 0x80, v14
; %bb.4315:                             ;   in Loop: Header=BB2_3610 Depth=2
	s_xor_b32 s12, exec_lo, -1
; %bb.4316:                             ;   in Loop: Header=BB2_3610 Depth=2
	s_or_b32 exec_lo, exec_lo, s44
	s_delay_alu instid0(SALU_CYCLE_1)
	s_and_b32 s12, s12, exec_lo
	s_or_saveexec_b32 s13, s13
	v_bfrev_b32_e32 v61, 1
	s_xor_b32 exec_lo, exec_lo, s13
	s_cbranch_execnz .LBB2_4498
.LBB2_4317:                             ;   in Loop: Header=BB2_3610 Depth=2
	s_or_b32 exec_lo, exec_lo, s13
	s_and_saveexec_b32 s13, s12
.LBB2_4318:                             ;   in Loop: Header=BB2_3610 Depth=2
	v_dual_cndmask_b32 v61, v10, v40, s10 :: v_dual_cndmask_b32 v62, v11, v41, s10
	s_delay_alu instid0(VALU_DEP_1) | instskip(NEXT) | instid1(VALU_DEP_1)
	v_lshl_add_u32 v61, v61, 23, v15
	v_lshl_or_b32 v61, v62, 21, v61
	s_delay_alu instid0(VALU_DEP_1)
	v_cndmask_b32_e64 v61, v61, v119, s7
.LBB2_4319:                             ;   in Loop: Header=BB2_3610 Depth=2
	s_or_b32 exec_lo, exec_lo, s13
	s_delay_alu instid0(VALU_DEP_1) | instskip(SKIP_1) | instid1(VALU_DEP_1)
	v_dual_max_num_f32 v61, v61, v61 :: v_dual_max_num_f32 v87, v87, v87
	s_mov_b32 s12, 0
	v_max_num_f32_e32 v61, v87, v61
.LBB2_4320:                             ;   in Loop: Header=BB2_3610 Depth=2
	s_and_b32 vcc_lo, exec_lo, s12
	s_cbranch_vccz .LBB2_4338
; %bb.4321:                             ;   in Loop: Header=BB2_3610 Depth=2
	v_mov_b32_e32 v87, 0
	s_and_saveexec_b32 s12, s11
	s_cbranch_execz .LBB2_4331
; %bb.4322:                             ;   in Loop: Header=BB2_3610 Depth=2
	v_bfrev_b32_e32 v87, 1
	s_mov_b32 s11, exec_lo
	v_cmpx_ne_u16_e32 0x80, v86
	s_cbranch_execz .LBB2_4330
; %bb.4323:                             ;   in Loop: Header=BB2_3610 Depth=2
	v_and_b32_e32 v87, 0x7c, v60
	v_and_b32_e32 v61, 3, v60
	s_delay_alu instid0(VALU_DEP_2) | instskip(SKIP_1) | instid1(SALU_CYCLE_1)
	v_cmp_ne_u32_e32 vcc_lo, 0x7c, v87
                                        ; implicit-def: $vgpr87
	s_and_saveexec_b32 s13, vcc_lo
	s_xor_b32 s13, exec_lo, s13
	s_cbranch_execz .LBB2_4327
; %bb.4324:                             ;   in Loop: Header=BB2_3610 Depth=2
	v_bfe_u32 v87, v60, 2, 5
	s_mov_b32 s44, exec_lo
	s_delay_alu instid0(VALU_DEP_1)
	v_cmpx_eq_u32_e32 0, v87
; %bb.4325:                             ;   in Loop: Header=BB2_3610 Depth=2
	v_clz_i32_u32_e32 v87, v61
	s_delay_alu instid0(VALU_DEP_1) | instskip(SKIP_1) | instid1(VALU_DEP_2)
	v_min_u32_e32 v60, 32, v87
	v_mov_b32_e32 v87, v37
	v_subrev_nc_u32_e32 v61, 29, v60
	s_delay_alu instid0(VALU_DEP_1) | instskip(NEXT) | instid1(VALU_DEP_1)
	v_lshlrev_b64_e32 v[86:87], v61, v[86:87]
	v_dual_sub_nc_u32 v87, 30, v60 :: v_dual_bitop2_b32 v61, 3, v86 bitop3:0x40
; %bb.4326:                             ;   in Loop: Header=BB2_3610 Depth=2
	s_or_b32 exec_lo, exec_lo, s44
	v_lshlrev_b32_e32 v36, 16, v36
	s_delay_alu instid0(VALU_DEP_1) | instskip(NEXT) | instid1(VALU_DEP_1)
	v_and_b32_e32 v36, 0x80000000, v36
	v_lshl_add_u32 v36, v87, 23, v36
	s_delay_alu instid0(VALU_DEP_1) | instskip(NEXT) | instid1(VALU_DEP_1)
	v_lshl_or_b32 v36, v61, 21, v36
                                        ; implicit-def: $vgpr61
	v_add_nc_u32_e32 v87, 0x38000000, v36
.LBB2_4327:                             ;   in Loop: Header=BB2_3610 Depth=2
	s_and_not1_saveexec_b32 s13, s13
; %bb.4328:                             ;   in Loop: Header=BB2_3610 Depth=2
	v_cmp_lt_i16_e32 vcc_lo, -1, v36
	v_cndmask_b32_e32 v36, 0xff800000, v45, vcc_lo
	v_cmp_eq_u32_e32 vcc_lo, 0, v61
	s_delay_alu instid0(VALU_DEP_2)
	v_cndmask_b32_e32 v87, 0x7f800001, v36, vcc_lo
; %bb.4329:                             ;   in Loop: Header=BB2_3610 Depth=2
	s_or_b32 exec_lo, exec_lo, s13
.LBB2_4330:                             ;   in Loop: Header=BB2_3610 Depth=2
	s_delay_alu instid0(SALU_CYCLE_1)
	s_or_b32 exec_lo, exec_lo, s11
.LBB2_4331:                             ;   in Loop: Header=BB2_3610 Depth=2
	s_delay_alu instid0(SALU_CYCLE_1)
	s_or_b32 exec_lo, exec_lo, s12
	s_mov_b32 s11, 0
	s_mov_b32 s12, exec_lo
	v_cmpx_lt_i16_e32 0x7f, v14
	s_xor_b32 s12, exec_lo, s12
	s_cbranch_execz .LBB2_4499
; %bb.4332:                             ;   in Loop: Header=BB2_3610 Depth=2
	s_mov_b32 s11, -1
	s_mov_b32 s13, exec_lo
	v_cmpx_eq_u16_e32 0x80, v14
; %bb.4333:                             ;   in Loop: Header=BB2_3610 Depth=2
	s_xor_b32 s11, exec_lo, -1
; %bb.4334:                             ;   in Loop: Header=BB2_3610 Depth=2
	s_or_b32 exec_lo, exec_lo, s13
	s_delay_alu instid0(SALU_CYCLE_1)
	s_and_b32 s11, s11, exec_lo
                                        ; implicit-def: $vgpr14
	s_or_saveexec_b32 s12, s12
	v_bfrev_b32_e32 v36, 1
	s_xor_b32 exec_lo, exec_lo, s12
	s_cbranch_execnz .LBB2_4500
.LBB2_4335:                             ;   in Loop: Header=BB2_3610 Depth=2
	s_or_b32 exec_lo, exec_lo, s12
	s_and_saveexec_b32 s12, s11
.LBB2_4336:                             ;   in Loop: Header=BB2_3610 Depth=2
	v_dual_cndmask_b32 v10, v10, v40, s10 :: v_dual_cndmask_b32 v11, v11, v41, s10
	s_delay_alu instid0(VALU_DEP_1) | instskip(NEXT) | instid1(VALU_DEP_1)
	v_lshl_add_u32 v10, v10, 23, v15
	v_lshl_or_b32 v10, v11, 21, v10
	s_delay_alu instid0(VALU_DEP_1)
	v_cndmask_b32_e64 v36, v10, v119, s7
.LBB2_4337:                             ;   in Loop: Header=BB2_3610 Depth=2
	s_or_b32 exec_lo, exec_lo, s12
	s_delay_alu instid0(VALU_DEP_1) | instskip(NEXT) | instid1(VALU_DEP_1)
	v_dual_max_num_f32 v10, v36, v36 :: v_dual_max_num_f32 v11, v87, v87
	v_min_num_f32_e32 v61, v11, v10
.LBB2_4338:                             ;   in Loop: Header=BB2_3610 Depth=2
	s_delay_alu instid0(VALU_DEP_1) | instskip(SKIP_2) | instid1(VALU_DEP_2)
	v_and_b32_e32 v10, 0x7f800000, v61
	v_mov_b32_e32 v11, v37
	v_and_b32_e32 v36, 0x7fffff, v61
                                        ; implicit-def: $vgpr86
	v_cmp_ne_u64_e32 vcc_lo, 0x7f800000, v[10:11]
	v_lshrrev_b32_e32 v10, 24, v61
	s_and_saveexec_b32 s7, vcc_lo
	s_delay_alu instid0(SALU_CYCLE_1)
	s_xor_b32 s10, exec_lo, s7
	s_cbranch_execz .LBB2_4352
; %bb.4339:                             ;   in Loop: Header=BB2_3610 Depth=2
	v_and_b32_e32 v14, 0x7fffffff, v61
	v_mov_b32_e32 v15, v37
	v_and_b32_e32 v87, 0x80, v10
                                        ; implicit-def: $vgpr86
	s_mov_b32 s7, exec_lo
	s_delay_alu instid0(VALU_DEP_2)
	v_cmpx_gt_u64_e32 0x47600001, v[14:15]
	s_xor_b32 s11, exec_lo, s7
	s_cbranch_execz .LBB2_4349
; %bb.4340:                             ;   in Loop: Header=BB2_3610 Depth=2
	v_mov_b32_e32 v86, 0
	s_mov_b32 s12, exec_lo
	v_cmpx_ne_u32_e32 0, v61
	s_cbranch_execz .LBB2_4348
; %bb.4341:                             ;   in Loop: Header=BB2_3610 Depth=2
	v_bfe_u32 v86, v61, 23, 8
	v_or_b32_e32 v14, 0x800000, v36
	s_delay_alu instid0(VALU_DEP_2) | instskip(SKIP_1) | instid1(VALU_DEP_2)
	v_sub_nc_u32_e32 v10, 0x71, v86
	v_cmp_gt_u32_e32 vcc_lo, 0x72, v86
	v_cndmask_b32_e32 v10, 0, v10, vcc_lo
	v_cmp_eq_u32_e32 vcc_lo, 0, v86
	s_delay_alu instid0(VALU_DEP_2) | instskip(NEXT) | instid1(VALU_DEP_1)
	v_cndmask_b32_e64 v119, v10, 0x70, vcc_lo
	v_dual_cndmask_b32 v36, v14, v36, vcc_lo :: v_dual_add_nc_u32 v10, 21, v119
	v_add_nc_u32_e32 v15, 20, v119
	s_delay_alu instid0(VALU_DEP_2) | instskip(NEXT) | instid1(VALU_DEP_2)
	v_lshlrev_b64_e64 v[10:11], v10, -1
	v_lshlrev_b64_e64 v[14:15], v15, 1
	s_delay_alu instid0(VALU_DEP_2) | instskip(NEXT) | instid1(VALU_DEP_3)
	v_bfi_b32 v41, v11, 0, 0
	v_bfi_b32 v40, v10, 0, v36
	v_lshrrev_b64 v[10:11], v119, v[36:37]
	s_delay_alu instid0(VALU_DEP_2) | instskip(NEXT) | instid1(VALU_DEP_2)
	v_cmp_eq_u64_e64 s7, v[40:41], v[14:15]
	v_mov_b64_e32 v[14:15], v[10:11]
	s_and_saveexec_b32 s13, s7
; %bb.4342:                             ;   in Loop: Header=BB2_3610 Depth=2
	v_bfe_u32 v36, v10, 21, 1
	s_delay_alu instid0(VALU_DEP_1) | instskip(NEXT) | instid1(VALU_DEP_1)
	v_add_nc_u64_e32 v[14:15], v[10:11], v[36:37]
	v_add_nc_u64_e32 v[14:15], -1, v[14:15]
; %bb.4343:                             ;   in Loop: Header=BB2_3610 Depth=2
	s_or_b32 exec_lo, exec_lo, s13
	v_add_nc_u32_e32 v11, 0xffffff81, v86
	v_lshrrev_b32_e32 v15, 23, v10
	s_mov_b32 s7, exec_lo
	s_delay_alu instid0(VALU_DEP_2) | instskip(NEXT) | instid1(VALU_DEP_1)
	v_cndmask_b32_e64 v11, v11, 0xffffff82, vcc_lo
	v_add3_u32 v15, v119, v11, v15
	v_and_b32_e32 v11, 0x1fffff, v14
                                        ; implicit-def: $vgpr14
	s_delay_alu instid0(VALU_DEP_1) | instskip(NEXT) | instid1(VALU_DEP_1)
	v_dual_add_nc_u32 v86, 14, v15 :: v_dual_add_nc_u32 v36, v11, v10
                                        ; implicit-def: $vgpr10_vgpr11
	v_cmpx_ne_u32_e32 0, v86
	s_xor_b32 s7, exec_lo, s7
; %bb.4344:                             ;   in Loop: Header=BB2_3610 Depth=2
	s_delay_alu instid0(VALU_DEP_2) | instskip(SKIP_1) | instid1(VALU_DEP_1)
	v_cmp_lt_u64_e32 vcc_lo, 0xffffff, v[36:37]
	v_add_nc_u32_e32 v10, 15, v15
	v_cndmask_b32_e32 v14, v86, v10, vcc_lo
	v_cndmask_b32_e64 v10, 0, 1, vcc_lo
	s_delay_alu instid0(VALU_DEP_1)
	v_lshrrev_b64 v[10:11], v10, v[36:37]
; %bb.4345:                             ;   in Loop: Header=BB2_3610 Depth=2
	s_and_not1_saveexec_b32 s7, s7
; %bb.4346:                             ;   in Loop: Header=BB2_3610 Depth=2
	v_mov_b64_e32 v[10:11], v[36:37]
	v_bfe_u32 v14, v36, 23, 1
; %bb.4347:                             ;   in Loop: Header=BB2_3610 Depth=2
	s_or_b32 exec_lo, exec_lo, s7
	s_delay_alu instid0(VALU_DEP_2) | instskip(NEXT) | instid1(VALU_DEP_2)
	v_lshrrev_b64 v[10:11], 21, v[10:11]
	v_cmp_gt_i32_e32 vcc_lo, 32, v14
	v_min_i32_e32 v15, 31, v14
	v_cmp_eq_u32_e64 s7, 0, v14
	s_delay_alu instid0(VALU_DEP_4) | instskip(NEXT) | instid1(VALU_DEP_3)
	v_cndmask_b32_e32 v11, 0, v11, vcc_lo
	v_dual_cndmask_b32 v10, 3, v10 :: v_dual_lshlrev_b32 v15, 2, v15
	s_delay_alu instid0(VALU_DEP_1) | instskip(NEXT) | instid1(VALU_DEP_2)
	v_and_b32_e32 v15, 0xfc, v15
	v_cmp_eq_u64_e32 vcc_lo, 0, v[10:11]
	s_delay_alu instid0(VALU_DEP_2)
	v_and_or_b32 v10, v10, 3, v15
	s_and_b32 s7, s7, vcc_lo
	s_delay_alu instid0(VALU_DEP_1) | instid1(SALU_CYCLE_1)
	v_cndmask_b32_e64 v10, v10, 0, s7
	s_delay_alu instid0(VALU_DEP_1)
	v_or_b32_e32 v86, v10, v87
.LBB2_4348:                             ;   in Loop: Header=BB2_3610 Depth=2
	s_or_b32 exec_lo, exec_lo, s12
                                        ; implicit-def: $vgpr87
.LBB2_4349:                             ;   in Loop: Header=BB2_3610 Depth=2
	s_and_not1_saveexec_b32 s7, s11
; %bb.4350:                             ;   in Loop: Header=BB2_3610 Depth=2
	v_or_b32_e32 v86, 0x7b, v87
; %bb.4351:                             ;   in Loop: Header=BB2_3610 Depth=2
	s_or_b32 exec_lo, exec_lo, s7
                                        ; implicit-def: $vgpr61
                                        ; implicit-def: $vgpr10
.LBB2_4352:                             ;   in Loop: Header=BB2_3610 Depth=2
	s_and_not1_saveexec_b32 s7, s10
	s_cbranch_execz .LBB2_4358
; %bb.4353:                             ;   in Loop: Header=BB2_3610 Depth=2
	s_mov_b32 s10, exec_lo
                                        ; implicit-def: $vgpr86
	v_cmpx_ne_u64_e32 0, v[36:37]
	s_xor_b32 s10, exec_lo, s10
; %bb.4354:                             ;   in Loop: Header=BB2_3610 Depth=2
	v_or_b32_e32 v86, 0x7f, v10
                                        ; implicit-def: $vgpr61
; %bb.4355:                             ;   in Loop: Header=BB2_3610 Depth=2
	s_and_not1_saveexec_b32 s10, s10
; %bb.4356:                             ;   in Loop: Header=BB2_3610 Depth=2
	v_cmp_lt_i32_e32 vcc_lo, -1, v61
	v_cndmask_b32_e32 v86, 0xfc, v46, vcc_lo
; %bb.4357:                             ;   in Loop: Header=BB2_3610 Depth=2
	s_or_b32 exec_lo, exec_lo, s10
.LBB2_4358:                             ;   in Loop: Header=BB2_3610 Depth=2
	s_delay_alu instid0(SALU_CYCLE_1) | instskip(SKIP_4) | instid1(VALU_DEP_3)
	s_or_b32 exec_lo, exec_lo, s7
	v_bfe_u32 v11, v17, 16, 2
	v_dual_lshrrev_b32 v36, 16, v17 :: v_dual_lshlrev_b32 v119, 8, v17
	v_and_b32_e32 v15, 0x7c0000, v17
	s_mov_b32 s12, -1
	v_clz_i32_u32_e32 v14, v11
	s_delay_alu instid0(VALU_DEP_3) | instskip(NEXT) | instid1(VALU_DEP_3)
	v_bfe_i32 v40, v36, 0, 8
	v_cmp_eq_u32_e64 s7, 0x7c0000, v15
	v_and_or_b32 v15, v119, s27, 0x38000000
	s_delay_alu instid0(VALU_DEP_4) | instskip(SKIP_3) | instid1(VALU_DEP_4)
	v_min_u32_e32 v87, 32, v14
	v_lshrrev_b32_e32 v10, 16, v13
	v_cmp_lt_i16_e32 vcc_lo, -1, v40
	v_bfe_u32 v14, v17, 18, 5
	v_subrev_nc_u32_e32 v60, 29, v87
	v_sub_nc_u32_e32 v87, 30, v87
	v_and_b32_e32 v41, 0xff, v10
	s_delay_alu instid0(VALU_DEP_4) | instskip(NEXT) | instid1(VALU_DEP_4)
	v_cmp_eq_u32_e64 s10, 0, v14
	v_lshlrev_b64_e32 v[60:61], v60, v[36:37]
	v_cndmask_b32_e32 v36, 0xff800000, v45, vcc_lo
	v_cmp_eq_u32_e32 vcc_lo, 0, v11
	v_cmp_ne_u16_e64 s11, 0, v41
	s_delay_alu instid0(VALU_DEP_3)
	v_cndmask_b32_e32 v36, 0x7f800001, v36, vcc_lo
	v_and_b32_e32 v119, 3, v60
	s_and_b32 vcc_lo, exec_lo, s43
                                        ; implicit-def: $vgpr60
	s_cbranch_vccz .LBB2_4376
; %bb.4359:                             ;   in Loop: Header=BB2_3610 Depth=2
	v_mov_b32_e32 v60, 0
	s_and_saveexec_b32 s12, s11
	s_cbranch_execz .LBB2_4369
; %bb.4360:                             ;   in Loop: Header=BB2_3610 Depth=2
	v_bfrev_b32_e32 v60, 1
	s_mov_b32 s13, exec_lo
	v_cmpx_ne_u16_e32 0x80, v41
	s_cbranch_execz .LBB2_4368
; %bb.4361:                             ;   in Loop: Header=BB2_3610 Depth=2
	v_and_b32_e32 v60, 0x7c0000, v13
	v_bfe_u32 v61, v13, 16, 2
	s_delay_alu instid0(VALU_DEP_2) | instskip(SKIP_1) | instid1(SALU_CYCLE_1)
	v_cmp_ne_u32_e32 vcc_lo, 0x7c0000, v60
                                        ; implicit-def: $vgpr60
	s_and_saveexec_b32 s44, vcc_lo
	s_xor_b32 s44, exec_lo, s44
	s_cbranch_execz .LBB2_4365
; %bb.4362:                             ;   in Loop: Header=BB2_3610 Depth=2
	v_bfe_u32 v60, v13, 18, 5
	s_mov_b32 s45, exec_lo
	s_delay_alu instid0(VALU_DEP_1)
	v_cmpx_eq_u32_e32 0, v60
; %bb.4363:                             ;   in Loop: Header=BB2_3610 Depth=2
	v_clz_i32_u32_e32 v60, v61
	s_delay_alu instid0(VALU_DEP_1) | instskip(NEXT) | instid1(VALU_DEP_1)
	v_min_u32_e32 v60, 32, v60
	v_subrev_nc_u32_e32 v61, 29, v60
	s_delay_alu instid0(VALU_DEP_1) | instskip(NEXT) | instid1(VALU_DEP_1)
	v_lshlrev_b64_e32 v[62:63], v61, v[10:11]
	v_dual_sub_nc_u32 v60, 30, v60 :: v_dual_bitop2_b32 v61, 3, v62 bitop3:0x40
; %bb.4364:                             ;   in Loop: Header=BB2_3610 Depth=2
	s_or_b32 exec_lo, exec_lo, s45
	v_lshlrev_b32_e32 v62, 24, v10
	s_delay_alu instid0(VALU_DEP_1) | instskip(NEXT) | instid1(VALU_DEP_1)
	v_and_b32_e32 v62, 0x80000000, v62
	v_lshl_add_u32 v60, v60, 23, v62
	s_delay_alu instid0(VALU_DEP_1) | instskip(NEXT) | instid1(VALU_DEP_1)
	v_lshl_or_b32 v60, v61, 21, v60
                                        ; implicit-def: $vgpr61
	v_add_nc_u32_e32 v60, 0x38000000, v60
.LBB2_4365:                             ;   in Loop: Header=BB2_3610 Depth=2
	s_and_not1_saveexec_b32 s44, s44
; %bb.4366:                             ;   in Loop: Header=BB2_3610 Depth=2
	v_bfe_i32 v60, v10, 0, 8
	s_delay_alu instid0(VALU_DEP_1) | instskip(SKIP_2) | instid1(VALU_DEP_2)
	v_cmp_lt_i16_e32 vcc_lo, -1, v60
	v_cndmask_b32_e32 v60, 0xff800000, v45, vcc_lo
	v_cmp_eq_u32_e32 vcc_lo, 0, v61
	v_cndmask_b32_e32 v60, 0x7f800001, v60, vcc_lo
; %bb.4367:                             ;   in Loop: Header=BB2_3610 Depth=2
	s_or_b32 exec_lo, exec_lo, s44
.LBB2_4368:                             ;   in Loop: Header=BB2_3610 Depth=2
	s_delay_alu instid0(SALU_CYCLE_1)
	s_or_b32 exec_lo, exec_lo, s13
.LBB2_4369:                             ;   in Loop: Header=BB2_3610 Depth=2
	s_delay_alu instid0(SALU_CYCLE_1) | instskip(SKIP_3) | instid1(VALU_DEP_1)
	s_or_b32 exec_lo, exec_lo, s12
	v_and_b32_e32 v62, 0xff, v40
	s_mov_b32 s12, 0
	s_mov_b32 s13, exec_lo
	v_cmpx_lt_i16_e32 0x7f, v62
	s_xor_b32 s13, exec_lo, s13
	s_cbranch_execz .LBB2_4501
; %bb.4370:                             ;   in Loop: Header=BB2_3610 Depth=2
	s_mov_b32 s12, -1
	s_mov_b32 s44, exec_lo
	v_cmpx_eq_u16_e32 0x80, v62
; %bb.4371:                             ;   in Loop: Header=BB2_3610 Depth=2
	s_xor_b32 s12, exec_lo, -1
; %bb.4372:                             ;   in Loop: Header=BB2_3610 Depth=2
	s_or_b32 exec_lo, exec_lo, s44
	s_delay_alu instid0(SALU_CYCLE_1)
	s_and_b32 s12, s12, exec_lo
                                        ; implicit-def: $vgpr62
	s_or_saveexec_b32 s13, s13
	v_bfrev_b32_e32 v61, 1
	s_xor_b32 exec_lo, exec_lo, s13
	s_cbranch_execnz .LBB2_4502
.LBB2_4373:                             ;   in Loop: Header=BB2_3610 Depth=2
	s_or_b32 exec_lo, exec_lo, s13
	s_and_saveexec_b32 s13, s12
.LBB2_4374:                             ;   in Loop: Header=BB2_3610 Depth=2
	v_cndmask_b32_e64 v61, v14, v87, s10
	v_cndmask_b32_e64 v62, v11, v119, s10
	s_delay_alu instid0(VALU_DEP_2) | instskip(NEXT) | instid1(VALU_DEP_1)
	v_lshl_add_u32 v61, v61, 23, v15
	v_lshl_or_b32 v61, v62, 21, v61
	s_delay_alu instid0(VALU_DEP_1)
	v_cndmask_b32_e64 v61, v61, v36, s7
.LBB2_4375:                             ;   in Loop: Header=BB2_3610 Depth=2
	s_or_b32 exec_lo, exec_lo, s13
	s_delay_alu instid0(VALU_DEP_1) | instskip(SKIP_1) | instid1(VALU_DEP_1)
	v_dual_max_num_f32 v61, v61, v61 :: v_dual_max_num_f32 v60, v60, v60
	s_mov_b32 s12, 0
	v_max_num_f32_e32 v60, v60, v61
.LBB2_4376:                             ;   in Loop: Header=BB2_3610 Depth=2
	s_and_b32 vcc_lo, exec_lo, s12
	s_cbranch_vccz .LBB2_4394
; %bb.4377:                             ;   in Loop: Header=BB2_3610 Depth=2
	v_mov_b32_e32 v60, 0
	s_and_saveexec_b32 s12, s11
	s_cbranch_execz .LBB2_4387
; %bb.4378:                             ;   in Loop: Header=BB2_3610 Depth=2
	v_bfrev_b32_e32 v60, 1
	s_mov_b32 s11, exec_lo
	v_cmpx_ne_u16_e32 0x80, v41
	s_cbranch_execz .LBB2_4386
; %bb.4379:                             ;   in Loop: Header=BB2_3610 Depth=2
	v_and_b32_e32 v60, 0x7c0000, v13
	v_bfe_u32 v41, v13, 16, 2
	s_delay_alu instid0(VALU_DEP_2) | instskip(SKIP_1) | instid1(SALU_CYCLE_1)
	v_cmp_ne_u32_e32 vcc_lo, 0x7c0000, v60
                                        ; implicit-def: $vgpr60
	s_and_saveexec_b32 s13, vcc_lo
	s_xor_b32 s13, exec_lo, s13
	s_cbranch_execz .LBB2_4383
; %bb.4380:                             ;   in Loop: Header=BB2_3610 Depth=2
	v_bfe_u32 v60, v13, 18, 5
	s_mov_b32 s44, exec_lo
	s_delay_alu instid0(VALU_DEP_1)
	v_cmpx_eq_u32_e32 0, v60
; %bb.4381:                             ;   in Loop: Header=BB2_3610 Depth=2
	v_clz_i32_u32_e32 v41, v41
	s_delay_alu instid0(VALU_DEP_1) | instskip(NEXT) | instid1(VALU_DEP_1)
	v_min_u32_e32 v41, 32, v41
	v_subrev_nc_u32_e32 v60, 29, v41
	s_delay_alu instid0(VALU_DEP_1) | instskip(NEXT) | instid1(VALU_DEP_1)
	v_lshlrev_b64_e32 v[62:63], v60, v[10:11]
	v_dual_sub_nc_u32 v60, 30, v41 :: v_dual_bitop2_b32 v41, 3, v62 bitop3:0x40
; %bb.4382:                             ;   in Loop: Header=BB2_3610 Depth=2
	s_or_b32 exec_lo, exec_lo, s44
	v_lshlrev_b32_e32 v10, 24, v10
	s_delay_alu instid0(VALU_DEP_1) | instskip(NEXT) | instid1(VALU_DEP_1)
	v_and_b32_e32 v10, 0x80000000, v10
	v_lshl_add_u32 v10, v60, 23, v10
	s_delay_alu instid0(VALU_DEP_1) | instskip(NEXT) | instid1(VALU_DEP_1)
	v_lshl_or_b32 v10, v41, 21, v10
                                        ; implicit-def: $vgpr41
	v_add_nc_u32_e32 v60, 0x38000000, v10
                                        ; implicit-def: $vgpr10
.LBB2_4383:                             ;   in Loop: Header=BB2_3610 Depth=2
	s_and_not1_saveexec_b32 s13, s13
; %bb.4384:                             ;   in Loop: Header=BB2_3610 Depth=2
	v_bfe_i32 v10, v10, 0, 8
	s_delay_alu instid0(VALU_DEP_1) | instskip(SKIP_2) | instid1(VALU_DEP_2)
	v_cmp_lt_i16_e32 vcc_lo, -1, v10
	v_cndmask_b32_e32 v10, 0xff800000, v45, vcc_lo
	v_cmp_eq_u32_e32 vcc_lo, 0, v41
	v_cndmask_b32_e32 v60, 0x7f800001, v10, vcc_lo
; %bb.4385:                             ;   in Loop: Header=BB2_3610 Depth=2
	s_or_b32 exec_lo, exec_lo, s13
.LBB2_4386:                             ;   in Loop: Header=BB2_3610 Depth=2
	s_delay_alu instid0(SALU_CYCLE_1)
	s_or_b32 exec_lo, exec_lo, s11
.LBB2_4387:                             ;   in Loop: Header=BB2_3610 Depth=2
	s_delay_alu instid0(SALU_CYCLE_1) | instskip(SKIP_3) | instid1(VALU_DEP_1)
	s_or_b32 exec_lo, exec_lo, s12
	v_and_b32_e32 v40, 0xff, v40
	s_mov_b32 s11, 0
	s_mov_b32 s12, exec_lo
	v_cmpx_lt_i16_e32 0x7f, v40
	s_xor_b32 s12, exec_lo, s12
	s_cbranch_execz .LBB2_4503
; %bb.4388:                             ;   in Loop: Header=BB2_3610 Depth=2
	s_mov_b32 s11, -1
	s_mov_b32 s13, exec_lo
	v_cmpx_eq_u16_e32 0x80, v40
; %bb.4389:                             ;   in Loop: Header=BB2_3610 Depth=2
	s_xor_b32 s11, exec_lo, -1
; %bb.4390:                             ;   in Loop: Header=BB2_3610 Depth=2
	s_or_b32 exec_lo, exec_lo, s13
	s_delay_alu instid0(SALU_CYCLE_1)
	s_and_b32 s11, s11, exec_lo
                                        ; implicit-def: $vgpr40
	s_or_saveexec_b32 s12, s12
	v_bfrev_b32_e32 v10, 1
	s_xor_b32 exec_lo, exec_lo, s12
	s_cbranch_execnz .LBB2_4504
.LBB2_4391:                             ;   in Loop: Header=BB2_3610 Depth=2
	s_or_b32 exec_lo, exec_lo, s12
	s_and_saveexec_b32 s12, s11
.LBB2_4392:                             ;   in Loop: Header=BB2_3610 Depth=2
	v_cndmask_b32_e64 v10, v14, v87, s10
	v_cndmask_b32_e64 v11, v11, v119, s10
	s_delay_alu instid0(VALU_DEP_2) | instskip(NEXT) | instid1(VALU_DEP_1)
	v_lshl_add_u32 v10, v10, 23, v15
	v_lshl_or_b32 v10, v11, 21, v10
	s_delay_alu instid0(VALU_DEP_1)
	v_cndmask_b32_e64 v10, v10, v36, s7
.LBB2_4393:                             ;   in Loop: Header=BB2_3610 Depth=2
	s_or_b32 exec_lo, exec_lo, s12
	s_delay_alu instid0(VALU_DEP_1) | instskip(NEXT) | instid1(VALU_DEP_1)
	v_dual_max_num_f32 v10, v10, v10 :: v_dual_max_num_f32 v11, v60, v60
	v_min_num_f32_e32 v60, v11, v10
.LBB2_4394:                             ;   in Loop: Header=BB2_3610 Depth=2
	s_delay_alu instid0(VALU_DEP_1) | instskip(SKIP_2) | instid1(VALU_DEP_2)
	v_and_b32_e32 v10, 0x7f800000, v60
	v_mov_b32_e32 v11, v37
	v_and_b32_e32 v36, 0x7fffff, v60
                                        ; implicit-def: $vgpr14
	v_cmp_ne_u64_e32 vcc_lo, 0x7f800000, v[10:11]
	v_lshrrev_b32_e32 v10, 24, v60
	s_and_saveexec_b32 s7, vcc_lo
	s_delay_alu instid0(SALU_CYCLE_1)
	s_xor_b32 s10, exec_lo, s7
	s_cbranch_execz .LBB2_4408
; %bb.4395:                             ;   in Loop: Header=BB2_3610 Depth=2
	v_and_b32_e32 v14, 0x7fffffff, v60
	v_mov_b32_e32 v15, v37
	v_and_b32_e32 v87, 0x80, v10
	s_delay_alu instid0(VALU_DEP_2) | instskip(SKIP_1) | instid1(SALU_CYCLE_1)
	v_cmp_gt_u64_e32 vcc_lo, 0x47600001, v[14:15]
                                        ; implicit-def: $vgpr14
	s_and_saveexec_b32 s7, vcc_lo
	s_xor_b32 s11, exec_lo, s7
	s_cbranch_execz .LBB2_4405
; %bb.4396:                             ;   in Loop: Header=BB2_3610 Depth=2
	v_mov_b32_e32 v14, 0
	s_mov_b32 s12, exec_lo
	v_cmpx_ne_u32_e32 0, v60
	s_cbranch_execz .LBB2_4404
; %bb.4397:                             ;   in Loop: Header=BB2_3610 Depth=2
	v_bfe_u32 v119, v60, 23, 8
	v_or_b32_e32 v14, 0x800000, v36
	s_delay_alu instid0(VALU_DEP_2) | instskip(SKIP_1) | instid1(VALU_DEP_2)
	v_sub_nc_u32_e32 v10, 0x71, v119
	v_cmp_gt_u32_e32 vcc_lo, 0x72, v119
	v_cndmask_b32_e32 v10, 0, v10, vcc_lo
	v_cmp_eq_u32_e32 vcc_lo, 0, v119
	s_delay_alu instid0(VALU_DEP_2) | instskip(SKIP_1) | instid1(VALU_DEP_2)
	v_cndmask_b32_e64 v40, v10, 0x70, vcc_lo
	v_cndmask_b32_e32 v36, v14, v36, vcc_lo
	v_dual_add_nc_u32 v10, 21, v40 :: v_dual_add_nc_u32 v15, 20, v40
	s_delay_alu instid0(VALU_DEP_1) | instskip(NEXT) | instid1(VALU_DEP_2)
	v_lshlrev_b64_e64 v[10:11], v10, -1
	v_lshlrev_b64_e64 v[14:15], v15, 1
	s_delay_alu instid0(VALU_DEP_2) | instskip(NEXT) | instid1(VALU_DEP_3)
	v_bfi_b32 v61, v11, 0, 0
	v_bfi_b32 v60, v10, 0, v36
	v_lshrrev_b64 v[10:11], v40, v[36:37]
	s_delay_alu instid0(VALU_DEP_2) | instskip(NEXT) | instid1(VALU_DEP_2)
	v_cmp_eq_u64_e64 s7, v[60:61], v[14:15]
	v_mov_b64_e32 v[14:15], v[10:11]
	s_and_saveexec_b32 s13, s7
; %bb.4398:                             ;   in Loop: Header=BB2_3610 Depth=2
	v_bfe_u32 v36, v10, 21, 1
	s_delay_alu instid0(VALU_DEP_1) | instskip(NEXT) | instid1(VALU_DEP_1)
	v_add_nc_u64_e32 v[14:15], v[10:11], v[36:37]
	v_add_nc_u64_e32 v[14:15], -1, v[14:15]
; %bb.4399:                             ;   in Loop: Header=BB2_3610 Depth=2
	s_or_b32 exec_lo, exec_lo, s13
	v_add_nc_u32_e32 v11, 0xffffff81, v119
	v_lshrrev_b32_e32 v15, 23, v10
	s_mov_b32 s7, exec_lo
	s_delay_alu instid0(VALU_DEP_2) | instskip(NEXT) | instid1(VALU_DEP_1)
	v_cndmask_b32_e64 v11, v11, 0xffffff82, vcc_lo
	v_add3_u32 v15, v40, v11, v15
	v_and_b32_e32 v11, 0x1fffff, v14
                                        ; implicit-def: $vgpr14
	s_delay_alu instid0(VALU_DEP_1) | instskip(NEXT) | instid1(VALU_DEP_1)
	v_dual_add_nc_u32 v119, 14, v15 :: v_dual_add_nc_u32 v36, v11, v10
                                        ; implicit-def: $vgpr10_vgpr11
	v_cmpx_ne_u32_e32 0, v119
	s_xor_b32 s7, exec_lo, s7
; %bb.4400:                             ;   in Loop: Header=BB2_3610 Depth=2
	s_delay_alu instid0(VALU_DEP_2) | instskip(SKIP_1) | instid1(VALU_DEP_1)
	v_cmp_lt_u64_e32 vcc_lo, 0xffffff, v[36:37]
	v_add_nc_u32_e32 v10, 15, v15
	v_cndmask_b32_e32 v14, v119, v10, vcc_lo
	v_cndmask_b32_e64 v10, 0, 1, vcc_lo
	s_delay_alu instid0(VALU_DEP_1)
	v_lshrrev_b64 v[10:11], v10, v[36:37]
; %bb.4401:                             ;   in Loop: Header=BB2_3610 Depth=2
	s_and_not1_saveexec_b32 s7, s7
; %bb.4402:                             ;   in Loop: Header=BB2_3610 Depth=2
	v_mov_b64_e32 v[10:11], v[36:37]
	v_bfe_u32 v14, v36, 23, 1
; %bb.4403:                             ;   in Loop: Header=BB2_3610 Depth=2
	s_or_b32 exec_lo, exec_lo, s7
	s_delay_alu instid0(VALU_DEP_2) | instskip(NEXT) | instid1(VALU_DEP_2)
	v_lshrrev_b64 v[10:11], 21, v[10:11]
	v_cmp_gt_i32_e32 vcc_lo, 32, v14
	v_min_i32_e32 v15, 31, v14
	v_cmp_eq_u32_e64 s7, 0, v14
	s_delay_alu instid0(VALU_DEP_4) | instskip(NEXT) | instid1(VALU_DEP_3)
	v_cndmask_b32_e32 v11, 0, v11, vcc_lo
	v_dual_cndmask_b32 v10, 3, v10 :: v_dual_lshlrev_b32 v15, 2, v15
	s_delay_alu instid0(VALU_DEP_1) | instskip(NEXT) | instid1(VALU_DEP_2)
	v_and_b32_e32 v15, 0xfc, v15
	v_cmp_eq_u64_e32 vcc_lo, 0, v[10:11]
	s_delay_alu instid0(VALU_DEP_2)
	v_and_or_b32 v10, v10, 3, v15
	s_and_b32 s7, s7, vcc_lo
	s_delay_alu instid0(VALU_DEP_1) | instid1(SALU_CYCLE_1)
	v_cndmask_b32_e64 v10, v10, 0, s7
	s_delay_alu instid0(VALU_DEP_1)
	v_or_b32_e32 v14, v10, v87
.LBB2_4404:                             ;   in Loop: Header=BB2_3610 Depth=2
	s_or_b32 exec_lo, exec_lo, s12
                                        ; implicit-def: $vgpr87
.LBB2_4405:                             ;   in Loop: Header=BB2_3610 Depth=2
	s_and_not1_saveexec_b32 s7, s11
; %bb.4406:                             ;   in Loop: Header=BB2_3610 Depth=2
	v_or_b32_e32 v14, 0x7b, v87
; %bb.4407:                             ;   in Loop: Header=BB2_3610 Depth=2
	s_or_b32 exec_lo, exec_lo, s7
                                        ; implicit-def: $vgpr60
                                        ; implicit-def: $vgpr10
.LBB2_4408:                             ;   in Loop: Header=BB2_3610 Depth=2
	s_and_not1_saveexec_b32 s7, s10
	s_cbranch_execz .LBB2_4414
; %bb.4409:                             ;   in Loop: Header=BB2_3610 Depth=2
	s_mov_b32 s10, exec_lo
                                        ; implicit-def: $vgpr14
	v_cmpx_ne_u64_e32 0, v[36:37]
	s_xor_b32 s10, exec_lo, s10
; %bb.4410:                             ;   in Loop: Header=BB2_3610 Depth=2
	v_or_b32_e32 v14, 0x7f, v10
                                        ; implicit-def: $vgpr60
; %bb.4411:                             ;   in Loop: Header=BB2_3610 Depth=2
	s_and_not1_saveexec_b32 s10, s10
; %bb.4412:                             ;   in Loop: Header=BB2_3610 Depth=2
	v_cmp_lt_i32_e32 vcc_lo, -1, v60
	v_cndmask_b32_e32 v14, 0xfc, v46, vcc_lo
; %bb.4413:                             ;   in Loop: Header=BB2_3610 Depth=2
	s_or_b32 exec_lo, exec_lo, s10
.LBB2_4414:                             ;   in Loop: Header=BB2_3610 Depth=2
	s_delay_alu instid0(SALU_CYCLE_1)
	s_or_b32 exec_lo, exec_lo, s7
	v_bfe_u32 v11, v17, 24, 2
	v_lshrrev_b32_e32 v40, 24, v17
	v_cmp_lt_i64_e32 vcc_lo, -1, v[16:17]
	v_cmp_gt_u64_e64 s7, s[16:17], v[16:17]
	v_and_b32_e32 v119, 0x7c000000, v17
	v_clz_i32_u32_e32 v15, v11
	v_cmp_lt_u64_e64 s13, s[18:19], v[12:13]
	v_and_or_b32 v36, v17, s27, 0x38000000
	s_mov_b32 s44, -1
	v_cndmask_b32_e32 v16, 0xff800000, v45, vcc_lo
	v_min_u32_e32 v87, 32, v15
	v_bfe_u32 v15, v17, 26, 5
	v_cmp_eq_u32_e32 vcc_lo, 0, v11
	v_lshrrev_b32_e32 v10, 24, v13
	v_cmp_eq_u32_e64 s11, 0x7c000000, v119
	v_subrev_nc_u32_e32 v41, 29, v87
	v_cmp_eq_u32_e64 s12, 0, v15
	v_dual_cndmask_b32 v16, 0x7f800001, v16 :: v_dual_sub_nc_u32 v17, 30, v87
	s_and_b32 vcc_lo, exec_lo, s43
	v_lshlrev_b64_e32 v[60:61], v41, v[40:41]
                                        ; implicit-def: $vgpr119
	s_delay_alu instid0(VALU_DEP_1)
	v_and_b32_e32 v87, 3, v60
	v_cmp_eq_u32_e64 s10, 0x80, v40
	s_cbranch_vccz .LBB2_4426
; %bb.4415:                             ;   in Loop: Header=BB2_3610 Depth=2
	v_mov_b32_e32 v119, 0
	s_and_saveexec_b32 s44, s13
	s_cbranch_execz .LBB2_4425
; %bb.4416:                             ;   in Loop: Header=BB2_3610 Depth=2
	v_bfrev_b32_e32 v119, 1
	s_mov_b32 s45, exec_lo
	v_cmpx_ne_u32_e32 0x80, v10
	s_cbranch_execz .LBB2_4424
; %bb.4417:                             ;   in Loop: Header=BB2_3610 Depth=2
	v_and_b32_e32 v119, 0x7c000000, v13
	v_bfe_u32 v40, v13, 24, 2
	s_delay_alu instid0(VALU_DEP_2) | instskip(SKIP_1) | instid1(SALU_CYCLE_1)
	v_cmp_ne_u32_e32 vcc_lo, 0x7c000000, v119
                                        ; implicit-def: $vgpr119
	s_and_saveexec_b32 s46, vcc_lo
	s_xor_b32 s46, exec_lo, s46
	s_cbranch_execz .LBB2_4421
; %bb.4418:                             ;   in Loop: Header=BB2_3610 Depth=2
	v_bfe_u32 v119, v13, 26, 5
	s_mov_b32 s47, exec_lo
	s_delay_alu instid0(VALU_DEP_1)
	v_cmpx_eq_u32_e32 0, v119
; %bb.4419:                             ;   in Loop: Header=BB2_3610 Depth=2
	v_clz_i32_u32_e32 v119, v40
	s_delay_alu instid0(VALU_DEP_1) | instskip(NEXT) | instid1(VALU_DEP_1)
	v_min_u32_e32 v119, 32, v119
	v_subrev_nc_u32_e32 v40, 29, v119
	s_delay_alu instid0(VALU_DEP_1) | instskip(NEXT) | instid1(VALU_DEP_1)
	v_lshlrev_b64_e32 v[40:41], v40, v[10:11]
	v_dual_sub_nc_u32 v119, 30, v119 :: v_dual_bitop2_b32 v40, 3, v40 bitop3:0x40
; %bb.4420:                             ;   in Loop: Header=BB2_3610 Depth=2
	s_or_b32 exec_lo, exec_lo, s47
	v_and_b32_e32 v41, 0x80000000, v13
	s_delay_alu instid0(VALU_DEP_1) | instskip(NEXT) | instid1(VALU_DEP_1)
	v_lshl_add_u32 v119, v119, 23, v41
	v_lshl_or_b32 v119, v40, 21, v119
                                        ; implicit-def: $vgpr40
	s_delay_alu instid0(VALU_DEP_1)
	v_add_nc_u32_e32 v119, 0x38000000, v119
.LBB2_4421:                             ;   in Loop: Header=BB2_3610 Depth=2
	s_and_not1_saveexec_b32 s46, s46
; %bb.4422:                             ;   in Loop: Header=BB2_3610 Depth=2
	v_cmp_lt_i64_e32 vcc_lo, -1, v[12:13]
	v_cndmask_b32_e32 v119, 0xff800000, v45, vcc_lo
	v_cmp_eq_u32_e32 vcc_lo, 0, v40
	s_delay_alu instid0(VALU_DEP_2)
	v_cndmask_b32_e32 v119, 0x7f800001, v119, vcc_lo
; %bb.4423:                             ;   in Loop: Header=BB2_3610 Depth=2
	s_or_b32 exec_lo, exec_lo, s46
.LBB2_4424:                             ;   in Loop: Header=BB2_3610 Depth=2
	s_delay_alu instid0(SALU_CYCLE_1)
	s_or_b32 exec_lo, exec_lo, s45
.LBB2_4425:                             ;   in Loop: Header=BB2_3610 Depth=2
	s_delay_alu instid0(SALU_CYCLE_1) | instskip(SKIP_4) | instid1(VALU_DEP_3)
	s_or_b32 exec_lo, exec_lo, s44
	v_cndmask_b32_e64 v40, v15, v17, s12
	v_cndmask_b32_e64 v41, v11, v87, s12
	s_mov_b32 s44, 0
	v_max_num_f32_e32 v119, v119, v119
	v_lshl_add_u32 v40, v40, 23, v36
	s_delay_alu instid0(VALU_DEP_1) | instskip(NEXT) | instid1(VALU_DEP_1)
	v_lshl_or_b32 v40, v41, 21, v40
	v_cndmask_b32_e64 v40, v40, v16, s11
	s_delay_alu instid0(VALU_DEP_1) | instskip(NEXT) | instid1(VALU_DEP_1)
	v_cndmask_b32_e64 v40, v40, 0x80000000, s10
	v_cndmask_b32_e64 v40, v40, 0, s7
	s_delay_alu instid0(VALU_DEP_1) | instskip(NEXT) | instid1(VALU_DEP_1)
	v_max_num_f32_e32 v40, v40, v40
	v_max_num_f32_e32 v119, v119, v40
.LBB2_4426:                             ;   in Loop: Header=BB2_3610 Depth=2
	s_and_b32 vcc_lo, exec_lo, s44
	s_cbranch_vccz .LBB2_4438
; %bb.4427:                             ;   in Loop: Header=BB2_3610 Depth=2
	v_mov_b32_e32 v119, 0
	s_and_saveexec_b32 s44, s13
	s_cbranch_execz .LBB2_4437
; %bb.4428:                             ;   in Loop: Header=BB2_3610 Depth=2
	v_bfrev_b32_e32 v119, 1
	s_mov_b32 s13, exec_lo
	v_cmpx_ne_u32_e32 0x80, v10
	s_cbranch_execz .LBB2_4436
; %bb.4429:                             ;   in Loop: Header=BB2_3610 Depth=2
	v_and_b32_e32 v119, 0x7c000000, v13
	v_bfe_u32 v40, v13, 24, 2
	s_delay_alu instid0(VALU_DEP_2) | instskip(SKIP_1) | instid1(SALU_CYCLE_1)
	v_cmp_ne_u32_e32 vcc_lo, 0x7c000000, v119
                                        ; implicit-def: $vgpr119
	s_and_saveexec_b32 s45, vcc_lo
	s_xor_b32 s45, exec_lo, s45
	s_cbranch_execz .LBB2_4433
; %bb.4430:                             ;   in Loop: Header=BB2_3610 Depth=2
	v_bfe_u32 v12, v13, 26, 5
	s_mov_b32 s46, exec_lo
	s_delay_alu instid0(VALU_DEP_1)
	v_cmpx_eq_u32_e32 0, v12
; %bb.4431:                             ;   in Loop: Header=BB2_3610 Depth=2
	v_clz_i32_u32_e32 v12, v40
	s_delay_alu instid0(VALU_DEP_1) | instskip(NEXT) | instid1(VALU_DEP_1)
	v_min_u32_e32 v12, 32, v12
	v_subrev_nc_u32_e32 v119, 29, v12
	v_sub_nc_u32_e32 v12, 30, v12
	s_delay_alu instid0(VALU_DEP_2) | instskip(NEXT) | instid1(VALU_DEP_1)
	v_lshlrev_b64_e32 v[40:41], v119, v[10:11]
	v_and_b32_e32 v40, 3, v40
; %bb.4432:                             ;   in Loop: Header=BB2_3610 Depth=2
	s_or_b32 exec_lo, exec_lo, s46
	v_and_b32_e32 v10, 0x80000000, v13
	s_delay_alu instid0(VALU_DEP_1) | instskip(NEXT) | instid1(VALU_DEP_1)
	v_lshl_add_u32 v10, v12, 23, v10
                                        ; implicit-def: $vgpr12_vgpr13
	v_lshl_or_b32 v10, v40, 21, v10
                                        ; implicit-def: $vgpr40
	s_delay_alu instid0(VALU_DEP_1)
	v_add_nc_u32_e32 v119, 0x38000000, v10
.LBB2_4433:                             ;   in Loop: Header=BB2_3610 Depth=2
	s_and_not1_saveexec_b32 s45, s45
; %bb.4434:                             ;   in Loop: Header=BB2_3610 Depth=2
	v_cmp_lt_i64_e32 vcc_lo, -1, v[12:13]
	v_cndmask_b32_e32 v10, 0xff800000, v45, vcc_lo
	v_cmp_eq_u32_e32 vcc_lo, 0, v40
	s_delay_alu instid0(VALU_DEP_2)
	v_cndmask_b32_e32 v119, 0x7f800001, v10, vcc_lo
; %bb.4435:                             ;   in Loop: Header=BB2_3610 Depth=2
	s_or_b32 exec_lo, exec_lo, s45
.LBB2_4436:                             ;   in Loop: Header=BB2_3610 Depth=2
	s_delay_alu instid0(SALU_CYCLE_1)
	s_or_b32 exec_lo, exec_lo, s13
.LBB2_4437:                             ;   in Loop: Header=BB2_3610 Depth=2
	s_delay_alu instid0(SALU_CYCLE_1) | instskip(SKIP_2) | instid1(VALU_DEP_2)
	s_or_b32 exec_lo, exec_lo, s44
	v_cndmask_b32_e64 v10, v15, v17, s12
	v_cndmask_b32_e64 v11, v11, v87, s12
	v_lshl_add_u32 v10, v10, 23, v36
	s_delay_alu instid0(VALU_DEP_1) | instskip(NEXT) | instid1(VALU_DEP_1)
	v_lshl_or_b32 v10, v11, 21, v10
	v_dual_max_num_f32 v11, v119, v119 :: v_dual_cndmask_b32 v10, v10, v16, s11
	s_delay_alu instid0(VALU_DEP_1) | instskip(NEXT) | instid1(VALU_DEP_1)
	v_cndmask_b32_e64 v10, v10, 0x80000000, s10
	v_cndmask_b32_e64 v10, v10, 0, s7
	s_delay_alu instid0(VALU_DEP_1) | instskip(NEXT) | instid1(VALU_DEP_1)
	v_max_num_f32_e32 v10, v10, v10
	v_min_num_f32_e32 v119, v11, v10
.LBB2_4438:                             ;   in Loop: Header=BB2_3610 Depth=2
	s_delay_alu instid0(VALU_DEP_1) | instskip(SKIP_2) | instid1(VALU_DEP_2)
	v_and_b32_e32 v10, 0x7f800000, v119
	v_mov_b32_e32 v11, v37
	v_and_b32_e32 v36, 0x7fffff, v119
	v_cmp_ne_u64_e32 vcc_lo, 0x7f800000, v[10:11]
	v_lshrrev_b32_e32 v11, 24, v119
                                        ; implicit-def: $vgpr10
	s_and_saveexec_b32 s7, vcc_lo
	s_delay_alu instid0(SALU_CYCLE_1)
	s_xor_b32 s10, exec_lo, s7
	s_cbranch_execz .LBB2_4452
; %bb.4439:                             ;   in Loop: Header=BB2_3610 Depth=2
	v_and_b32_e32 v12, 0x7fffffff, v119
	v_mov_b32_e32 v13, v37
	v_and_b32_e32 v15, 0x80, v11
                                        ; implicit-def: $vgpr10
	s_mov_b32 s7, exec_lo
	s_delay_alu instid0(VALU_DEP_2)
	v_cmpx_gt_u64_e32 0x47600001, v[12:13]
	s_xor_b32 s11, exec_lo, s7
	s_cbranch_execz .LBB2_4449
; %bb.4440:                             ;   in Loop: Header=BB2_3610 Depth=2
	v_mov_b32_e32 v10, 0
	s_mov_b32 s12, exec_lo
	v_cmpx_ne_u32_e32 0, v119
	s_cbranch_execz .LBB2_4448
; %bb.4441:                             ;   in Loop: Header=BB2_3610 Depth=2
	v_bfe_u32 v16, v119, 23, 8
	v_or_b32_e32 v12, 0x800000, v36
	s_delay_alu instid0(VALU_DEP_2) | instskip(SKIP_1) | instid1(VALU_DEP_2)
	v_sub_nc_u32_e32 v10, 0x71, v16
	v_cmp_gt_u32_e32 vcc_lo, 0x72, v16
	v_cndmask_b32_e32 v10, 0, v10, vcc_lo
	v_cmp_eq_u32_e32 vcc_lo, 0, v16
	s_delay_alu instid0(VALU_DEP_2) | instskip(NEXT) | instid1(VALU_DEP_1)
	v_cndmask_b32_e64 v17, v10, 0x70, vcc_lo
	v_dual_cndmask_b32 v36, v12, v36, vcc_lo :: v_dual_add_nc_u32 v10, 21, v17
	v_add_nc_u32_e32 v13, 20, v17
	s_delay_alu instid0(VALU_DEP_2) | instskip(NEXT) | instid1(VALU_DEP_2)
	v_lshlrev_b64_e64 v[10:11], v10, -1
	v_lshlrev_b64_e64 v[12:13], v13, 1
	s_delay_alu instid0(VALU_DEP_2) | instskip(NEXT) | instid1(VALU_DEP_3)
	v_bfi_b32 v41, v11, 0, 0
	v_bfi_b32 v40, v10, 0, v36
	v_lshrrev_b64 v[10:11], v17, v[36:37]
	s_delay_alu instid0(VALU_DEP_2) | instskip(NEXT) | instid1(VALU_DEP_2)
	v_cmp_eq_u64_e64 s7, v[40:41], v[12:13]
	v_mov_b64_e32 v[12:13], v[10:11]
	s_and_saveexec_b32 s13, s7
; %bb.4442:                             ;   in Loop: Header=BB2_3610 Depth=2
	v_bfe_u32 v36, v10, 21, 1
	s_delay_alu instid0(VALU_DEP_1) | instskip(NEXT) | instid1(VALU_DEP_1)
	v_add_nc_u64_e32 v[12:13], v[10:11], v[36:37]
	v_add_nc_u64_e32 v[12:13], -1, v[12:13]
; %bb.4443:                             ;   in Loop: Header=BB2_3610 Depth=2
	s_or_b32 exec_lo, exec_lo, s13
	v_add_nc_u32_e32 v11, 0xffffff81, v16
	v_lshrrev_b32_e32 v13, 23, v10
	s_mov_b32 s7, exec_lo
	s_delay_alu instid0(VALU_DEP_2) | instskip(NEXT) | instid1(VALU_DEP_1)
	v_cndmask_b32_e64 v11, v11, 0xffffff82, vcc_lo
	v_add3_u32 v13, v17, v11, v13
	v_and_b32_e32 v11, 0x1fffff, v12
                                        ; implicit-def: $vgpr12
	s_delay_alu instid0(VALU_DEP_1) | instskip(NEXT) | instid1(VALU_DEP_1)
	v_dual_add_nc_u32 v16, 14, v13 :: v_dual_add_nc_u32 v36, v11, v10
                                        ; implicit-def: $vgpr10_vgpr11
	v_cmpx_ne_u32_e32 0, v16
	s_xor_b32 s7, exec_lo, s7
; %bb.4444:                             ;   in Loop: Header=BB2_3610 Depth=2
	s_delay_alu instid0(VALU_DEP_2) | instskip(SKIP_1) | instid1(VALU_DEP_1)
	v_cmp_lt_u64_e32 vcc_lo, 0xffffff, v[36:37]
	v_add_nc_u32_e32 v10, 15, v13
	v_cndmask_b32_e32 v12, v16, v10, vcc_lo
	v_cndmask_b32_e64 v10, 0, 1, vcc_lo
	s_delay_alu instid0(VALU_DEP_1)
	v_lshrrev_b64 v[10:11], v10, v[36:37]
; %bb.4445:                             ;   in Loop: Header=BB2_3610 Depth=2
	s_and_not1_saveexec_b32 s7, s7
; %bb.4446:                             ;   in Loop: Header=BB2_3610 Depth=2
	v_mov_b64_e32 v[10:11], v[36:37]
	v_bfe_u32 v12, v36, 23, 1
; %bb.4447:                             ;   in Loop: Header=BB2_3610 Depth=2
	s_or_b32 exec_lo, exec_lo, s7
	s_delay_alu instid0(VALU_DEP_2) | instskip(NEXT) | instid1(VALU_DEP_2)
	v_lshrrev_b64 v[10:11], 21, v[10:11]
	v_cmp_gt_i32_e32 vcc_lo, 32, v12
	v_min_i32_e32 v13, 31, v12
	v_cmp_eq_u32_e64 s7, 0, v12
	s_delay_alu instid0(VALU_DEP_2) | instskip(SKIP_1) | instid1(VALU_DEP_2)
	v_dual_cndmask_b32 v11, 0, v11, vcc_lo :: v_dual_lshlrev_b32 v13, 2, v13
	v_cndmask_b32_e32 v10, 3, v10, vcc_lo
	v_and_b32_e32 v13, 0xfc, v13
	s_delay_alu instid0(VALU_DEP_2) | instskip(NEXT) | instid1(VALU_DEP_2)
	v_cmp_eq_u64_e32 vcc_lo, 0, v[10:11]
	v_and_or_b32 v10, v10, 3, v13
	s_and_b32 s7, s7, vcc_lo
	s_delay_alu instid0(VALU_DEP_1) | instid1(SALU_CYCLE_1)
	v_cndmask_b32_e64 v10, v10, 0, s7
	s_delay_alu instid0(VALU_DEP_1)
	v_or_b32_e32 v10, v10, v15
.LBB2_4448:                             ;   in Loop: Header=BB2_3610 Depth=2
	s_or_b32 exec_lo, exec_lo, s12
                                        ; implicit-def: $vgpr15
.LBB2_4449:                             ;   in Loop: Header=BB2_3610 Depth=2
	s_and_not1_saveexec_b32 s7, s11
; %bb.4450:                             ;   in Loop: Header=BB2_3610 Depth=2
	v_or_b32_e32 v10, 0x7b, v15
; %bb.4451:                             ;   in Loop: Header=BB2_3610 Depth=2
	s_or_b32 exec_lo, exec_lo, s7
                                        ; implicit-def: $vgpr119
                                        ; implicit-def: $vgpr11
.LBB2_4452:                             ;   in Loop: Header=BB2_3610 Depth=2
	s_and_not1_saveexec_b32 s7, s10
	s_cbranch_execz .LBB2_3609
; %bb.4453:                             ;   in Loop: Header=BB2_3610 Depth=2
	s_mov_b32 s10, exec_lo
                                        ; implicit-def: $vgpr10
	v_cmpx_ne_u64_e32 0, v[36:37]
	s_xor_b32 s10, exec_lo, s10
; %bb.4454:                             ;   in Loop: Header=BB2_3610 Depth=2
	v_or_b32_e32 v10, 0x7f, v11
                                        ; implicit-def: $vgpr119
; %bb.4455:                             ;   in Loop: Header=BB2_3610 Depth=2
	s_and_not1_saveexec_b32 s10, s10
	s_cbranch_execz .LBB2_3608
; %bb.4456:                             ;   in Loop: Header=BB2_3610 Depth=2
	v_cmp_lt_i32_e32 vcc_lo, -1, v119
	v_cndmask_b32_e32 v10, 0xfc, v46, vcc_lo
	s_branch .LBB2_3608
.LBB2_4457:                             ;   in Loop: Header=BB2_3610 Depth=2
	s_or_saveexec_b32 s13, s13
	v_bfrev_b32_e32 v112, 1
	s_xor_b32 exec_lo, exec_lo, s13
	s_cbranch_execz .LBB2_3625
.LBB2_4458:                             ;   in Loop: Header=BB2_3610 Depth=2
	v_cmp_ne_u16_e32 vcc_lo, 0, v113
	v_mov_b32_e32 v112, 0
	s_and_not1_b32 s12, s12, exec_lo
	s_and_b32 s44, vcc_lo, exec_lo
	s_delay_alu instid0(SALU_CYCLE_1)
	s_or_b32 s12, s12, s44
	s_or_b32 exec_lo, exec_lo, s13
	s_and_saveexec_b32 s13, s12
	s_cbranch_execnz .LBB2_3626
	s_branch .LBB2_3627
.LBB2_4459:                             ;   in Loop: Header=BB2_3610 Depth=2
	s_or_saveexec_b32 s12, s12
	v_bfrev_b32_e32 v98, 1
	s_xor_b32 exec_lo, exec_lo, s12
	s_cbranch_execz .LBB2_3643
.LBB2_4460:                             ;   in Loop: Header=BB2_3610 Depth=2
	v_cmp_ne_u16_e32 vcc_lo, 0, v99
	v_mov_b32_e32 v98, 0
	s_and_not1_b32 s11, s11, exec_lo
	s_and_b32 s13, vcc_lo, exec_lo
	s_delay_alu instid0(SALU_CYCLE_1)
	s_or_b32 s11, s11, s13
	s_or_b32 exec_lo, exec_lo, s12
	s_and_saveexec_b32 s12, s11
	s_cbranch_execnz .LBB2_3644
	s_branch .LBB2_3645
.LBB2_4461:                             ;   in Loop: Header=BB2_3610 Depth=2
	s_or_saveexec_b32 s13, s13
	v_bfrev_b32_e32 v114, 1
	s_xor_b32 exec_lo, exec_lo, s13
	s_cbranch_execz .LBB2_3681
.LBB2_4462:                             ;   in Loop: Header=BB2_3610 Depth=2
	v_cmp_ne_u16_e32 vcc_lo, 0, v36
	v_mov_b32_e32 v114, 0
	s_and_not1_b32 s12, s12, exec_lo
	s_and_b32 s44, vcc_lo, exec_lo
	s_delay_alu instid0(SALU_CYCLE_1)
	s_or_b32 s12, s12, s44
	s_or_b32 exec_lo, exec_lo, s13
	s_and_saveexec_b32 s13, s12
	s_cbranch_execnz .LBB2_3682
	s_branch .LBB2_3683
.LBB2_4463:                             ;   in Loop: Header=BB2_3610 Depth=2
	s_or_saveexec_b32 s12, s12
	v_bfrev_b32_e32 v86, 1
	s_xor_b32 exec_lo, exec_lo, s12
	s_cbranch_execz .LBB2_3699
.LBB2_4464:                             ;   in Loop: Header=BB2_3610 Depth=2
	v_cmp_ne_u16_e32 vcc_lo, 0, v36
	v_mov_b32_e32 v86, 0
	s_and_not1_b32 s11, s11, exec_lo
	s_and_b32 s13, vcc_lo, exec_lo
	s_delay_alu instid0(SALU_CYCLE_1)
	s_or_b32 s11, s11, s13
	s_or_b32 exec_lo, exec_lo, s12
	s_and_saveexec_b32 s12, s11
	s_cbranch_execnz .LBB2_3700
	s_branch .LBB2_3701
.LBB2_4465:                             ;   in Loop: Header=BB2_3610 Depth=2
	s_or_saveexec_b32 s13, s13
	v_bfrev_b32_e32 v115, 1
	s_xor_b32 exec_lo, exec_lo, s13
	s_cbranch_execz .LBB2_3737
.LBB2_4466:                             ;   in Loop: Header=BB2_3610 Depth=2
	v_cmp_ne_u16_e32 vcc_lo, 0, v116
	v_mov_b32_e32 v115, 0
	s_and_not1_b32 s12, s12, exec_lo
	s_and_b32 s44, vcc_lo, exec_lo
	s_delay_alu instid0(SALU_CYCLE_1)
	s_or_b32 s12, s12, s44
	s_or_b32 exec_lo, exec_lo, s13
	s_and_saveexec_b32 s13, s12
	s_cbranch_execnz .LBB2_3738
	s_branch .LBB2_3739
.LBB2_4467:                             ;   in Loop: Header=BB2_3610 Depth=2
	s_or_saveexec_b32 s12, s12
	v_bfrev_b32_e32 v30, 1
	s_xor_b32 exec_lo, exec_lo, s12
	s_cbranch_execz .LBB2_3755
.LBB2_4468:                             ;   in Loop: Header=BB2_3610 Depth=2
	v_cmp_ne_u16_e32 vcc_lo, 0, v99
	v_mov_b32_e32 v30, 0
	s_and_not1_b32 s11, s11, exec_lo
	s_and_b32 s13, vcc_lo, exec_lo
	s_delay_alu instid0(SALU_CYCLE_1)
	s_or_b32 s11, s11, s13
	s_or_b32 exec_lo, exec_lo, s12
	s_and_saveexec_b32 s12, s11
	s_cbranch_execnz .LBB2_3756
	s_branch .LBB2_3757
.LBB2_4469:                             ;   in Loop: Header=BB2_3610 Depth=2
	s_or_saveexec_b32 s13, s13
	v_bfrev_b32_e32 v119, 1
	s_xor_b32 exec_lo, exec_lo, s13
	s_cbranch_execz .LBB2_3837
.LBB2_4470:                             ;   in Loop: Header=BB2_3610 Depth=2
	v_cmp_ne_u16_e32 vcc_lo, 0, v40
	v_mov_b32_e32 v119, 0
	s_and_not1_b32 s12, s12, exec_lo
	s_and_b32 s44, vcc_lo, exec_lo
	s_delay_alu instid0(SALU_CYCLE_1)
	s_or_b32 s12, s12, s44
	s_or_b32 exec_lo, exec_lo, s13
	s_and_saveexec_b32 s13, s12
	s_cbranch_execnz .LBB2_3838
	s_branch .LBB2_3839
.LBB2_4471:                             ;   in Loop: Header=BB2_3610 Depth=2
	s_or_saveexec_b32 s12, s12
	v_bfrev_b32_e32 v87, 1
	s_xor_b32 exec_lo, exec_lo, s12
	s_cbranch_execz .LBB2_3855
.LBB2_4472:                             ;   in Loop: Header=BB2_3610 Depth=2
	v_cmp_ne_u16_e32 vcc_lo, 0, v116
	v_mov_b32_e32 v87, 0
	s_and_not1_b32 s11, s11, exec_lo
	s_and_b32 s13, vcc_lo, exec_lo
	s_delay_alu instid0(SALU_CYCLE_1)
	s_or_b32 s11, s11, s13
	s_or_b32 exec_lo, exec_lo, s12
	s_and_saveexec_b32 s12, s11
	s_cbranch_execnz .LBB2_3856
	s_branch .LBB2_3857
.LBB2_4473:                             ;   in Loop: Header=BB2_3610 Depth=2
	s_or_saveexec_b32 s13, s13
	v_bfrev_b32_e32 v119, 1
	s_xor_b32 exec_lo, exec_lo, s13
	s_cbranch_execz .LBB2_3893
.LBB2_4474:                             ;   in Loop: Header=BB2_3610 Depth=2
	v_cmp_ne_u16_e32 vcc_lo, 0, v96
	v_mov_b32_e32 v119, 0
	s_and_not1_b32 s12, s12, exec_lo
	s_and_b32 s44, vcc_lo, exec_lo
	s_delay_alu instid0(SALU_CYCLE_1)
	s_or_b32 s12, s12, s44
	s_or_b32 exec_lo, exec_lo, s13
	s_and_saveexec_b32 s13, s12
	s_cbranch_execnz .LBB2_3894
	s_branch .LBB2_3895
.LBB2_4475:                             ;   in Loop: Header=BB2_3610 Depth=2
	s_or_saveexec_b32 s12, s12
	v_bfrev_b32_e32 v86, 1
	s_xor_b32 exec_lo, exec_lo, s12
	s_cbranch_execz .LBB2_3911
.LBB2_4476:                             ;   in Loop: Header=BB2_3610 Depth=2
	v_cmp_ne_u16_e32 vcc_lo, 0, v96
	v_mov_b32_e32 v86, 0
	s_and_not1_b32 s11, s11, exec_lo
	s_and_b32 s13, vcc_lo, exec_lo
	s_delay_alu instid0(SALU_CYCLE_1)
	s_or_b32 s11, s11, s13
	s_or_b32 exec_lo, exec_lo, s12
	s_and_saveexec_b32 s12, s11
	s_cbranch_execnz .LBB2_3912
	s_branch .LBB2_3913
.LBB2_4477:                             ;   in Loop: Header=BB2_3610 Depth=2
	s_or_saveexec_b32 s13, s13
	v_bfrev_b32_e32 v119, 1
	s_xor_b32 exec_lo, exec_lo, s13
	s_cbranch_execz .LBB2_3949
.LBB2_4478:                             ;   in Loop: Header=BB2_3610 Depth=2
	v_cmp_ne_u16_e32 vcc_lo, 0, v40
	v_mov_b32_e32 v119, 0
	s_and_not1_b32 s12, s12, exec_lo
	s_and_b32 s44, vcc_lo, exec_lo
	s_delay_alu instid0(SALU_CYCLE_1)
	s_or_b32 s12, s12, s44
	s_or_b32 exec_lo, exec_lo, s13
	s_and_saveexec_b32 s13, s12
	s_cbranch_execnz .LBB2_3950
	s_branch .LBB2_3951
.LBB2_4479:                             ;   in Loop: Header=BB2_3610 Depth=2
	s_or_saveexec_b32 s12, s12
	v_bfrev_b32_e32 v30, 1
	s_xor_b32 exec_lo, exec_lo, s12
	s_cbranch_execz .LBB2_3967
.LBB2_4480:                             ;   in Loop: Header=BB2_3610 Depth=2
	v_cmp_ne_u16_e32 vcc_lo, 0, v116
	v_mov_b32_e32 v30, 0
	s_and_not1_b32 s11, s11, exec_lo
	s_and_b32 s13, vcc_lo, exec_lo
	s_delay_alu instid0(SALU_CYCLE_1)
	s_or_b32 s11, s11, s13
	s_or_b32 exec_lo, exec_lo, s12
	s_and_saveexec_b32 s12, s11
	s_cbranch_execnz .LBB2_3968
	s_branch .LBB2_3969
.LBB2_4481:                             ;   in Loop: Header=BB2_3610 Depth=2
	s_or_saveexec_b32 s13, s13
	v_bfrev_b32_e32 v116, 1
	s_xor_b32 exec_lo, exec_lo, s13
	s_cbranch_execz .LBB2_4049
.LBB2_4482:                             ;   in Loop: Header=BB2_3610 Depth=2
	v_cmp_ne_u16_e32 vcc_lo, 0, v117
	v_mov_b32_e32 v116, 0
	s_and_not1_b32 s12, s12, exec_lo
	s_and_b32 s44, vcc_lo, exec_lo
	s_delay_alu instid0(SALU_CYCLE_1)
	s_or_b32 s12, s12, s44
	s_or_b32 exec_lo, exec_lo, s13
	s_and_saveexec_b32 s13, s12
	s_cbranch_execnz .LBB2_4050
	s_branch .LBB2_4051
.LBB2_4483:                             ;   in Loop: Header=BB2_3610 Depth=2
	s_or_saveexec_b32 s12, s12
	v_bfrev_b32_e32 v87, 1
	s_xor_b32 exec_lo, exec_lo, s12
	s_cbranch_execz .LBB2_4067
.LBB2_4484:                             ;   in Loop: Header=BB2_3610 Depth=2
	v_cmp_ne_u16_e32 vcc_lo, 0, v97
	v_mov_b32_e32 v87, 0
	s_and_not1_b32 s11, s11, exec_lo
	s_and_b32 s13, vcc_lo, exec_lo
	s_delay_alu instid0(SALU_CYCLE_1)
	s_or_b32 s11, s11, s13
	s_or_b32 exec_lo, exec_lo, s12
	s_and_saveexec_b32 s12, s11
	s_cbranch_execnz .LBB2_4068
	s_branch .LBB2_4069
.LBB2_4485:                             ;   in Loop: Header=BB2_3610 Depth=2
	s_or_saveexec_b32 s13, s13
	v_bfrev_b32_e32 v118, 1
	s_xor_b32 exec_lo, exec_lo, s13
	s_cbranch_execz .LBB2_4105
.LBB2_4486:                             ;   in Loop: Header=BB2_3610 Depth=2
	v_cmp_ne_u16_e32 vcc_lo, 0, v36
	v_mov_b32_e32 v118, 0
	s_and_not1_b32 s12, s12, exec_lo
	s_and_b32 s44, vcc_lo, exec_lo
	s_delay_alu instid0(SALU_CYCLE_1)
	s_or_b32 s12, s12, s44
	s_or_b32 exec_lo, exec_lo, s13
	s_and_saveexec_b32 s13, s12
	s_cbranch_execnz .LBB2_4106
	s_branch .LBB2_4107
.LBB2_4487:                             ;   in Loop: Header=BB2_3610 Depth=2
	s_or_saveexec_b32 s12, s12
	v_bfrev_b32_e32 v10, 1
	s_xor_b32 exec_lo, exec_lo, s12
	s_cbranch_execz .LBB2_4123
.LBB2_4488:                             ;   in Loop: Header=BB2_3610 Depth=2
	v_cmp_ne_u16_e32 vcc_lo, 0, v36
	v_mov_b32_e32 v10, 0
	s_and_not1_b32 s11, s11, exec_lo
	s_and_b32 s13, vcc_lo, exec_lo
	s_delay_alu instid0(SALU_CYCLE_1)
	s_or_b32 s11, s11, s13
	s_or_b32 exec_lo, exec_lo, s12
	s_and_saveexec_b32 s12, s11
	s_cbranch_execnz .LBB2_4124
	s_branch .LBB2_4125
.LBB2_4489:                             ;   in Loop: Header=BB2_3610 Depth=2
	s_or_saveexec_b32 s13, s13
	v_bfrev_b32_e32 v119, 1
	s_xor_b32 exec_lo, exec_lo, s13
	s_cbranch_execz .LBB2_4161
.LBB2_4490:                             ;   in Loop: Header=BB2_3610 Depth=2
	v_cmp_ne_u16_e32 vcc_lo, 0, v40
	v_mov_b32_e32 v119, 0
	s_and_not1_b32 s12, s12, exec_lo
	s_and_b32 s44, vcc_lo, exec_lo
	s_delay_alu instid0(SALU_CYCLE_1)
	s_or_b32 s12, s12, s44
	s_or_b32 exec_lo, exec_lo, s13
	s_and_saveexec_b32 s13, s12
	s_cbranch_execnz .LBB2_4162
	s_branch .LBB2_4163
.LBB2_4491:                             ;   in Loop: Header=BB2_3610 Depth=2
	s_or_saveexec_b32 s12, s12
	v_bfrev_b32_e32 v10, 1
	s_xor_b32 exec_lo, exec_lo, s12
	s_cbranch_execz .LBB2_4179
.LBB2_4492:                             ;   in Loop: Header=BB2_3610 Depth=2
	v_cmp_ne_u16_e32 vcc_lo, 0, v116
	v_mov_b32_e32 v10, 0
	s_and_not1_b32 s11, s11, exec_lo
	s_and_b32 s13, vcc_lo, exec_lo
	s_delay_alu instid0(SALU_CYCLE_1)
	s_or_b32 s11, s11, s13
	s_or_b32 exec_lo, exec_lo, s12
	s_and_saveexec_b32 s12, s11
	s_cbranch_execnz .LBB2_4180
	s_branch .LBB2_4181
.LBB2_4493:                             ;   in Loop: Header=BB2_3610 Depth=2
	s_or_saveexec_b32 s13, s13
	v_bfrev_b32_e32 v60, 1
	s_xor_b32 exec_lo, exec_lo, s13
	s_cbranch_execz .LBB2_4261
.LBB2_4494:                             ;   in Loop: Header=BB2_3610 Depth=2
	v_cmp_ne_u16_e32 vcc_lo, 0, v61
	v_mov_b32_e32 v60, 0
	s_and_not1_b32 s12, s12, exec_lo
	s_and_b32 s44, vcc_lo, exec_lo
	s_delay_alu instid0(SALU_CYCLE_1)
	s_or_b32 s12, s12, s44
	s_or_b32 exec_lo, exec_lo, s13
	s_and_saveexec_b32 s13, s12
	s_cbranch_execnz .LBB2_4262
	s_branch .LBB2_4263
.LBB2_4495:                             ;   in Loop: Header=BB2_3610 Depth=2
	s_or_saveexec_b32 s12, s12
	v_bfrev_b32_e32 v119, 1
	s_xor_b32 exec_lo, exec_lo, s12
	s_cbranch_execz .LBB2_4279
.LBB2_4496:                             ;   in Loop: Header=BB2_3610 Depth=2
	v_cmp_ne_u16_e32 vcc_lo, 0, v40
	v_mov_b32_e32 v119, 0
	s_and_not1_b32 s11, s11, exec_lo
	s_and_b32 s13, vcc_lo, exec_lo
	s_delay_alu instid0(SALU_CYCLE_1)
	s_or_b32 s11, s11, s13
	s_or_b32 exec_lo, exec_lo, s12
	s_and_saveexec_b32 s12, s11
	s_cbranch_execnz .LBB2_4280
	s_branch .LBB2_4281
.LBB2_4497:                             ;   in Loop: Header=BB2_3610 Depth=2
	s_or_saveexec_b32 s13, s13
	v_bfrev_b32_e32 v61, 1
	s_xor_b32 exec_lo, exec_lo, s13
	s_cbranch_execz .LBB2_4317
.LBB2_4498:                             ;   in Loop: Header=BB2_3610 Depth=2
	v_cmp_ne_u16_e32 vcc_lo, 0, v14
	v_mov_b32_e32 v61, 0
	s_and_not1_b32 s12, s12, exec_lo
	s_and_b32 s44, vcc_lo, exec_lo
	s_delay_alu instid0(SALU_CYCLE_1)
	s_or_b32 s12, s12, s44
	s_or_b32 exec_lo, exec_lo, s13
	s_and_saveexec_b32 s13, s12
	s_cbranch_execnz .LBB2_4318
	s_branch .LBB2_4319
.LBB2_4499:                             ;   in Loop: Header=BB2_3610 Depth=2
	s_or_saveexec_b32 s12, s12
	v_bfrev_b32_e32 v36, 1
	s_xor_b32 exec_lo, exec_lo, s12
	s_cbranch_execz .LBB2_4335
.LBB2_4500:                             ;   in Loop: Header=BB2_3610 Depth=2
	v_cmp_ne_u16_e32 vcc_lo, 0, v14
	v_mov_b32_e32 v36, 0
	s_and_not1_b32 s11, s11, exec_lo
	s_and_b32 s13, vcc_lo, exec_lo
	s_delay_alu instid0(SALU_CYCLE_1)
	s_or_b32 s11, s11, s13
	s_or_b32 exec_lo, exec_lo, s12
	s_and_saveexec_b32 s12, s11
	s_cbranch_execnz .LBB2_4336
	s_branch .LBB2_4337
.LBB2_4501:                             ;   in Loop: Header=BB2_3610 Depth=2
	s_or_saveexec_b32 s13, s13
	v_bfrev_b32_e32 v61, 1
	s_xor_b32 exec_lo, exec_lo, s13
	s_cbranch_execz .LBB2_4373
.LBB2_4502:                             ;   in Loop: Header=BB2_3610 Depth=2
	v_cmp_ne_u16_e32 vcc_lo, 0, v62
	v_mov_b32_e32 v61, 0
	s_and_not1_b32 s12, s12, exec_lo
	s_and_b32 s44, vcc_lo, exec_lo
	s_delay_alu instid0(SALU_CYCLE_1)
	s_or_b32 s12, s12, s44
	s_or_b32 exec_lo, exec_lo, s13
	s_and_saveexec_b32 s13, s12
	s_cbranch_execnz .LBB2_4374
	s_branch .LBB2_4375
.LBB2_4503:                             ;   in Loop: Header=BB2_3610 Depth=2
	s_or_saveexec_b32 s12, s12
	v_bfrev_b32_e32 v10, 1
	s_xor_b32 exec_lo, exec_lo, s12
	s_cbranch_execz .LBB2_4391
.LBB2_4504:                             ;   in Loop: Header=BB2_3610 Depth=2
	v_cmp_ne_u16_e32 vcc_lo, 0, v40
	v_mov_b32_e32 v10, 0
	s_and_not1_b32 s11, s11, exec_lo
	s_and_b32 s13, vcc_lo, exec_lo
	s_delay_alu instid0(SALU_CYCLE_1)
	s_or_b32 s11, s11, s13
	s_or_b32 exec_lo, exec_lo, s12
	s_and_saveexec_b32 s12, s11
	s_cbranch_execnz .LBB2_4392
	s_branch .LBB2_4393
.LBB2_4505:                             ;   in Loop: Header=BB2_2633 Depth=1
	s_or_b32 exec_lo, exec_lo, s42
.LBB2_4506:                             ;   in Loop: Header=BB2_2633 Depth=1
	s_delay_alu instid0(SALU_CYCLE_1) | instskip(SKIP_3) | instid1(VALU_DEP_1)
	s_or_b32 exec_lo, exec_lo, s41
	v_cmp_lt_i32_e32 vcc_lo, 0, v101
	s_mov_b32 s10, exec_lo
	v_cndmask_b32_e32 v10, 0, v38, vcc_lo
	v_sub_nc_u32_e32 v10, v10, v101
	s_delay_alu instid0(VALU_DEP_1)
	v_lshl_add_u32 v30, v10, 5, v100
.LBB2_4507:                             ;   in Loop: Header=BB2_2633 Depth=1
	s_or_b32 exec_lo, exec_lo, s14
	s_and_saveexec_b32 s12, s10
	s_cbranch_execz .LBB2_5128
.LBB2_4508:                             ;   in Loop: Header=BB2_2633 Depth=1
	s_delay_alu instid0(VALU_DEP_1) | instskip(SKIP_1) | instid1(VALU_DEP_1)
	v_dual_ashrrev_i32 v10, 31, v30 :: v_dual_lshrrev_b32 v11, 8, v59
	s_mov_b32 s10, exec_lo
	v_lshrrev_b32_e32 v10, 27, v10
	s_delay_alu instid0(VALU_DEP_1) | instskip(NEXT) | instid1(VALU_DEP_1)
	v_add_nc_u32_e32 v10, v30, v10
	v_ashrrev_i32_e32 v60, 5, v10
	s_delay_alu instid0(VALU_DEP_1) | instskip(NEXT) | instid1(VALU_DEP_1)
	v_sub_nc_u32_e32 v61, v11, v60
	v_cmpx_lt_i32_e32 0, v61
	s_cbranch_execz .LBB2_5056
; %bb.4509:                             ;   in Loop: Header=BB2_2633 Depth=1
	v_and_b32_e32 v10, 0xffffffe0, v10
	s_trap 2
	ds_load_b64 v[12:13], v0
	v_lshlrev_b32_e32 v11, 8, v60
	v_add_nc_u64_e32 v[16:17], 0xe0, v[70:71]
	v_sub_nc_u32_e32 v10, v30, v10
	s_bitcmp1_b32 s40, 0
	s_mov_b32 s11, 0
	s_cselect_b32 s13, -1, 0
	s_delay_alu instid0(VALU_DEP_1) | instskip(NEXT) | instid1(VALU_DEP_1)
	v_add3_u32 v14, v58, v10, v11
	v_ashrrev_i32_e32 v15, 31, v14
	s_delay_alu instid0(VALU_DEP_1)
	v_add_nc_u64_e32 v[10:11], v[14:15], v[68:69]
	s_wait_dscnt 0x0
	v_add_nc_u64_e32 v[12:13], v[12:13], v[14:15]
	v_add_nc_u64_e32 v[14:15], v[16:17], v[14:15]
	s_branch .LBB2_4512
.LBB2_4510:                             ;   in Loop: Header=BB2_4512 Depth=2
	s_or_b32 exec_lo, exec_lo, s14
.LBB2_4511:                             ;   in Loop: Header=BB2_4512 Depth=2
	s_delay_alu instid0(SALU_CYCLE_1)
	s_or_b32 exec_lo, exec_lo, s7
	v_sub_nc_u32_e32 v61, v61, v38
	s_clause 0x7
	flat_store_b8 v[14:15], v119 offset:-224 th:TH_STORE_NT
	flat_store_b8 v[14:15], v115 offset:-192 th:TH_STORE_NT
	;; [unrolled: 1-line block ×7, first 2 shown]
	flat_store_b8 v[14:15], v17 th:TH_STORE_NT
	v_add_nc_u64_e32 v[10:11], v[10:11], v[52:53]
	v_add_nc_u64_e32 v[12:13], v[12:13], v[52:53]
	s_wait_xcnt 0x0
	v_add_nc_u64_e32 v[14:15], v[14:15], v[52:53]
	v_cmp_gt_i32_e32 vcc_lo, 1, v61
	s_or_b32 s11, vcc_lo, s11
	s_delay_alu instid0(SALU_CYCLE_1)
	s_and_not1_b32 exec_lo, exec_lo, s11
	s_cbranch_execz .LBB2_5055
.LBB2_4512:                             ;   Parent Loop BB2_2633 Depth=1
                                        ; =>  This Inner Loop Header: Depth=2
	s_clause 0x7
	flat_load_u8 v69, v[10:11] th:TH_LOAD_NT
	flat_load_i8 v116, v[10:11] offset:32 th:TH_LOAD_NT
	flat_load_i8 v112, v[10:11] offset:64 th:TH_LOAD_NT
	;; [unrolled: 1-line block ×7, first 2 shown]
	s_clause 0x7
	flat_load_i8 v118, v[12:13] th:TH_LOAD_NT
	flat_load_i8 v114, v[12:13] offset:32 th:TH_LOAD_NT
	flat_load_i8 v102, v[12:13] offset:64 th:TH_LOAD_NT
	;; [unrolled: 1-line block ×7, first 2 shown]
	s_and_b32 vcc_lo, exec_lo, s13
	s_mov_b32 s14, -1
	s_wait_loadcnt_dscnt 0xf0f
	v_bfe_i32 v36, v69, 0, 8
	v_and_b32_e32 v17, 0xffff, v69
	v_cmp_ne_u16_e64 s7, 0, v69
                                        ; implicit-def: $vgpr69
	s_cbranch_vccz .LBB2_4534
; %bb.4513:                             ;   in Loop: Header=BB2_4512 Depth=2
	v_dual_mov_b32 v71, 0 :: v_dual_mov_b32 v69, 0
	s_wait_xcnt 0x0
	s_and_saveexec_b32 s14, s7
	s_cbranch_execz .LBB2_4523
; %bb.4514:                             ;   in Loop: Header=BB2_4512 Depth=2
	v_bfrev_b32_e32 v69, 1
	s_mov_b32 s41, exec_lo
	v_cmpx_ne_u16_e32 0xff80, v36
	s_cbranch_execz .LBB2_4522
; %bb.4515:                             ;   in Loop: Header=BB2_4512 Depth=2
	v_and_b32_e32 v69, 0x7c, v17
	v_and_b32_e32 v81, 3, v17
	s_delay_alu instid0(VALU_DEP_2) | instskip(SKIP_1) | instid1(SALU_CYCLE_1)
	v_cmp_ne_u32_e32 vcc_lo, 0x7c, v69
                                        ; implicit-def: $vgpr69
	s_and_saveexec_b32 s42, vcc_lo
	s_xor_b32 s42, exec_lo, s42
	s_cbranch_execz .LBB2_4519
; %bb.4516:                             ;   in Loop: Header=BB2_4512 Depth=2
	v_bfe_u32 v69, v17, 2, 5
	s_mov_b32 s43, exec_lo
	s_delay_alu instid0(VALU_DEP_1)
	v_cmpx_eq_u32_e32 0, v69
; %bb.4517:                             ;   in Loop: Header=BB2_4512 Depth=2
	v_clz_i32_u32_e32 v69, v81
	s_delay_alu instid0(VALU_DEP_1) | instskip(NEXT) | instid1(VALU_DEP_1)
	v_min_u32_e32 v69, 32, v69
	v_subrev_nc_u32_e32 v81, 29, v69
	s_delay_alu instid0(VALU_DEP_1) | instskip(NEXT) | instid1(VALU_DEP_1)
	v_lshlrev_b64_e32 v[40:41], v81, v[36:37]
	v_dual_sub_nc_u32 v69, 30, v69 :: v_dual_bitop2_b32 v81, 3, v40 bitop3:0x40
; %bb.4518:                             ;   in Loop: Header=BB2_4512 Depth=2
	s_or_b32 exec_lo, exec_lo, s43
	v_bfe_i32 v83, v36, 0, 16
	s_delay_alu instid0(VALU_DEP_1) | instskip(NEXT) | instid1(VALU_DEP_1)
	v_and_b32_e32 v83, 0x80000000, v83
	v_lshl_add_u32 v69, v69, 23, v83
	s_delay_alu instid0(VALU_DEP_1) | instskip(NEXT) | instid1(VALU_DEP_1)
	v_lshl_or_b32 v69, v81, 21, v69
                                        ; implicit-def: $vgpr81
	v_add_nc_u32_e32 v69, 0x38000000, v69
.LBB2_4519:                             ;   in Loop: Header=BB2_4512 Depth=2
	s_and_not1_saveexec_b32 s42, s42
; %bb.4520:                             ;   in Loop: Header=BB2_4512 Depth=2
	v_cmp_lt_i16_e32 vcc_lo, -1, v36
	v_cndmask_b32_e32 v69, 0xff800000, v45, vcc_lo
	v_cmp_eq_u32_e32 vcc_lo, 0, v81
	s_delay_alu instid0(VALU_DEP_2)
	v_cndmask_b32_e32 v69, 0x7f800001, v69, vcc_lo
; %bb.4521:                             ;   in Loop: Header=BB2_4512 Depth=2
	s_or_b32 exec_lo, exec_lo, s42
.LBB2_4522:                             ;   in Loop: Header=BB2_4512 Depth=2
	s_delay_alu instid0(SALU_CYCLE_1)
	s_or_b32 exec_lo, exec_lo, s41
.LBB2_4523:                             ;   in Loop: Header=BB2_4512 Depth=2
	s_delay_alu instid0(SALU_CYCLE_1) | instskip(NEXT) | instid1(SALU_CYCLE_1)
	s_or_b32 exec_lo, exec_lo, s14
	s_mov_b32 s14, exec_lo
	s_wait_loadcnt_dscnt 0x707
	v_cmpx_ne_u16_e32 0, v118
	s_cbranch_execz .LBB2_4533
; %bb.4524:                             ;   in Loop: Header=BB2_4512 Depth=2
	v_bfrev_b32_e32 v71, 1
	s_mov_b32 s41, exec_lo
	v_cmpx_ne_u16_e32 0xff80, v118
	s_cbranch_execz .LBB2_4532
; %bb.4525:                             ;   in Loop: Header=BB2_4512 Depth=2
	v_and_b32_e32 v71, 0x7c, v118
	v_and_b32_e32 v81, 3, v118
	s_delay_alu instid0(VALU_DEP_2) | instskip(SKIP_1) | instid1(SALU_CYCLE_1)
	v_cmp_ne_u32_e32 vcc_lo, 0x7c, v71
                                        ; implicit-def: $vgpr71
	s_and_saveexec_b32 s42, vcc_lo
	s_xor_b32 s42, exec_lo, s42
	s_cbranch_execz .LBB2_4529
; %bb.4526:                             ;   in Loop: Header=BB2_4512 Depth=2
	v_and_b32_e32 v71, 0xff, v118
	s_mov_b32 s43, exec_lo
	s_delay_alu instid0(VALU_DEP_1) | instskip(NEXT) | instid1(VALU_DEP_1)
	v_bfe_u32 v71, v71, 2, 5
	v_cmpx_eq_u32_e32 0, v71
	s_cbranch_execz .LBB2_4528
; %bb.4527:                             ;   in Loop: Header=BB2_4512 Depth=2
	v_clz_i32_u32_e32 v71, v81
	s_delay_alu instid0(VALU_DEP_1) | instskip(SKIP_1) | instid1(VALU_DEP_2)
	v_min_u32_e32 v71, 32, v71
	v_mov_b32_e32 v119, v37
	v_subrev_nc_u32_e32 v81, 29, v71
	v_sub_nc_u32_e32 v71, 30, v71
	s_delay_alu instid0(VALU_DEP_2) | instskip(NEXT) | instid1(VALU_DEP_1)
	v_lshlrev_b64_e32 v[40:41], v81, v[118:119]
	v_and_b32_e32 v81, 3, v40
.LBB2_4528:                             ;   in Loop: Header=BB2_4512 Depth=2
	s_or_b32 exec_lo, exec_lo, s43
	v_bfe_i32 v83, v118, 0, 16
	s_delay_alu instid0(VALU_DEP_1) | instskip(NEXT) | instid1(VALU_DEP_1)
	v_and_b32_e32 v83, 0x80000000, v83
	v_lshl_add_u32 v71, v71, 23, v83
	s_delay_alu instid0(VALU_DEP_1) | instskip(NEXT) | instid1(VALU_DEP_1)
	v_lshl_or_b32 v71, v81, 21, v71
                                        ; implicit-def: $vgpr81
	v_add_nc_u32_e32 v71, 0x38000000, v71
.LBB2_4529:                             ;   in Loop: Header=BB2_4512 Depth=2
	s_and_not1_saveexec_b32 s42, s42
; %bb.4530:                             ;   in Loop: Header=BB2_4512 Depth=2
	v_cmp_lt_i16_e32 vcc_lo, -1, v118
	v_cndmask_b32_e32 v71, 0xff800000, v45, vcc_lo
	v_cmp_eq_u32_e32 vcc_lo, 0, v81
	s_delay_alu instid0(VALU_DEP_2)
	v_cndmask_b32_e32 v71, 0x7f800001, v71, vcc_lo
; %bb.4531:                             ;   in Loop: Header=BB2_4512 Depth=2
	s_or_b32 exec_lo, exec_lo, s42
.LBB2_4532:                             ;   in Loop: Header=BB2_4512 Depth=2
	s_delay_alu instid0(SALU_CYCLE_1)
	s_or_b32 exec_lo, exec_lo, s41
.LBB2_4533:                             ;   in Loop: Header=BB2_4512 Depth=2
	s_delay_alu instid0(SALU_CYCLE_1) | instskip(NEXT) | instid1(VALU_DEP_1)
	s_or_b32 exec_lo, exec_lo, s14
	v_dual_max_num_f32 v71, v71, v71 :: v_dual_max_num_f32 v69, v69, v69
	s_mov_b32 s14, 0
	s_delay_alu instid0(VALU_DEP_1)
	v_max_num_f32_e32 v69, v69, v71
.LBB2_4534:                             ;   in Loop: Header=BB2_4512 Depth=2
	s_and_b32 vcc_lo, exec_lo, s14
	s_cbranch_vccz .LBB2_4556
; %bb.4535:                             ;   in Loop: Header=BB2_4512 Depth=2
	v_dual_mov_b32 v71, 0 :: v_dual_mov_b32 v69, 0
	s_wait_xcnt 0x0
	s_and_saveexec_b32 s14, s7
	s_cbranch_execz .LBB2_4545
; %bb.4536:                             ;   in Loop: Header=BB2_4512 Depth=2
	v_bfrev_b32_e32 v69, 1
	s_mov_b32 s7, exec_lo
	v_cmpx_ne_u16_e32 0xff80, v36
	s_cbranch_execz .LBB2_4544
; %bb.4537:                             ;   in Loop: Header=BB2_4512 Depth=2
	v_and_b32_e32 v69, 0x7c, v17
	v_and_b32_e32 v81, 3, v17
	s_delay_alu instid0(VALU_DEP_2) | instskip(SKIP_1) | instid1(SALU_CYCLE_1)
	v_cmp_ne_u32_e32 vcc_lo, 0x7c, v69
                                        ; implicit-def: $vgpr69
	s_and_saveexec_b32 s41, vcc_lo
	s_xor_b32 s41, exec_lo, s41
	s_cbranch_execz .LBB2_4541
; %bb.4538:                             ;   in Loop: Header=BB2_4512 Depth=2
	v_bfe_u32 v17, v17, 2, 5
	s_mov_b32 s42, exec_lo
	s_delay_alu instid0(VALU_DEP_1)
	v_cmpx_eq_u32_e32 0, v17
; %bb.4539:                             ;   in Loop: Header=BB2_4512 Depth=2
	v_clz_i32_u32_e32 v17, v81
	s_delay_alu instid0(VALU_DEP_1) | instskip(NEXT) | instid1(VALU_DEP_1)
	v_min_u32_e32 v17, 32, v17
	v_subrev_nc_u32_e32 v69, 29, v17
	s_delay_alu instid0(VALU_DEP_1) | instskip(NEXT) | instid1(VALU_DEP_1)
	v_lshlrev_b64_e32 v[40:41], v69, v[36:37]
	v_dual_sub_nc_u32 v17, 30, v17 :: v_dual_bitop2_b32 v81, 3, v40 bitop3:0x40
; %bb.4540:                             ;   in Loop: Header=BB2_4512 Depth=2
	s_or_b32 exec_lo, exec_lo, s42
	v_bfe_i32 v36, v36, 0, 16
	s_delay_alu instid0(VALU_DEP_1) | instskip(NEXT) | instid1(VALU_DEP_1)
	v_and_b32_e32 v36, 0x80000000, v36
	v_lshl_add_u32 v17, v17, 23, v36
	s_delay_alu instid0(VALU_DEP_1) | instskip(NEXT) | instid1(VALU_DEP_1)
	v_lshl_or_b32 v17, v81, 21, v17
                                        ; implicit-def: $vgpr81
	v_add_nc_u32_e32 v69, 0x38000000, v17
.LBB2_4541:                             ;   in Loop: Header=BB2_4512 Depth=2
	s_and_not1_saveexec_b32 s41, s41
; %bb.4542:                             ;   in Loop: Header=BB2_4512 Depth=2
	v_cmp_lt_i16_e32 vcc_lo, -1, v36
	v_cndmask_b32_e32 v17, 0xff800000, v45, vcc_lo
	v_cmp_eq_u32_e32 vcc_lo, 0, v81
	s_delay_alu instid0(VALU_DEP_2)
	v_cndmask_b32_e32 v69, 0x7f800001, v17, vcc_lo
; %bb.4543:                             ;   in Loop: Header=BB2_4512 Depth=2
	s_or_b32 exec_lo, exec_lo, s41
.LBB2_4544:                             ;   in Loop: Header=BB2_4512 Depth=2
	s_delay_alu instid0(SALU_CYCLE_1)
	s_or_b32 exec_lo, exec_lo, s7
.LBB2_4545:                             ;   in Loop: Header=BB2_4512 Depth=2
	s_delay_alu instid0(SALU_CYCLE_1) | instskip(NEXT) | instid1(SALU_CYCLE_1)
	s_or_b32 exec_lo, exec_lo, s14
	s_mov_b32 s7, exec_lo
	s_wait_loadcnt_dscnt 0x707
	v_cmpx_ne_u16_e32 0, v118
	s_cbranch_execz .LBB2_4555
; %bb.4546:                             ;   in Loop: Header=BB2_4512 Depth=2
	v_bfrev_b32_e32 v71, 1
	s_mov_b32 s14, exec_lo
	v_cmpx_ne_u16_e32 0xff80, v118
	s_cbranch_execz .LBB2_4554
; %bb.4547:                             ;   in Loop: Header=BB2_4512 Depth=2
	v_and_b32_e32 v36, 0x7c, v118
	v_and_b32_e32 v17, 3, v118
	s_mov_b32 s41, exec_lo
                                        ; implicit-def: $vgpr71
	s_delay_alu instid0(VALU_DEP_2)
	v_cmpx_ne_u32_e32 0x7c, v36
	s_xor_b32 s41, exec_lo, s41
	s_cbranch_execz .LBB2_4551
; %bb.4548:                             ;   in Loop: Header=BB2_4512 Depth=2
	v_and_b32_e32 v36, 0xff, v118
	s_mov_b32 s42, exec_lo
	s_delay_alu instid0(VALU_DEP_1) | instskip(NEXT) | instid1(VALU_DEP_1)
	v_bfe_u32 v36, v36, 2, 5
	v_cmpx_eq_u32_e32 0, v36
; %bb.4549:                             ;   in Loop: Header=BB2_4512 Depth=2
	v_clz_i32_u32_e32 v17, v17
	s_delay_alu instid0(VALU_DEP_1) | instskip(SKIP_1) | instid1(VALU_DEP_2)
	v_min_u32_e32 v17, 32, v17
	v_mov_b32_e32 v119, v37
	v_subrev_nc_u32_e32 v36, 29, v17
	s_delay_alu instid0(VALU_DEP_1) | instskip(NEXT) | instid1(VALU_DEP_1)
	v_lshlrev_b64_e32 v[40:41], v36, v[118:119]
	v_dual_sub_nc_u32 v36, 30, v17 :: v_dual_bitop2_b32 v17, 3, v40 bitop3:0x40
; %bb.4550:                             ;   in Loop: Header=BB2_4512 Depth=2
	s_or_b32 exec_lo, exec_lo, s42
	v_bfe_i32 v71, v118, 0, 16
                                        ; implicit-def: $vgpr118
	s_delay_alu instid0(VALU_DEP_1) | instskip(NEXT) | instid1(VALU_DEP_1)
	v_and_b32_e32 v71, 0x80000000, v71
	v_lshl_add_u32 v36, v36, 23, v71
	s_delay_alu instid0(VALU_DEP_1) | instskip(NEXT) | instid1(VALU_DEP_1)
	v_lshl_or_b32 v17, v17, 21, v36
	v_add_nc_u32_e32 v71, 0x38000000, v17
                                        ; implicit-def: $vgpr17
.LBB2_4551:                             ;   in Loop: Header=BB2_4512 Depth=2
	s_and_not1_saveexec_b32 s41, s41
; %bb.4552:                             ;   in Loop: Header=BB2_4512 Depth=2
	v_cmp_lt_i16_e32 vcc_lo, -1, v118
	v_cndmask_b32_e32 v36, 0xff800000, v45, vcc_lo
	v_cmp_eq_u32_e32 vcc_lo, 0, v17
	s_delay_alu instid0(VALU_DEP_2)
	v_cndmask_b32_e32 v71, 0x7f800001, v36, vcc_lo
; %bb.4553:                             ;   in Loop: Header=BB2_4512 Depth=2
	s_or_b32 exec_lo, exec_lo, s41
.LBB2_4554:                             ;   in Loop: Header=BB2_4512 Depth=2
	s_delay_alu instid0(SALU_CYCLE_1)
	s_or_b32 exec_lo, exec_lo, s14
.LBB2_4555:                             ;   in Loop: Header=BB2_4512 Depth=2
	s_delay_alu instid0(SALU_CYCLE_1) | instskip(NEXT) | instid1(VALU_DEP_1)
	s_or_b32 exec_lo, exec_lo, s7
	v_dual_max_num_f32 v17, v71, v71 :: v_dual_max_num_f32 v36, v69, v69
	s_delay_alu instid0(VALU_DEP_1)
	v_min_num_f32_e32 v69, v36, v17
.LBB2_4556:                             ;   in Loop: Header=BB2_4512 Depth=2
	s_wait_loadcnt_dscnt 0x707
	s_delay_alu instid0(VALU_DEP_1) | instskip(SKIP_2) | instid1(VALU_DEP_2)
	v_and_b32_e32 v118, 0x7f800000, v69
	v_mov_b32_e32 v119, v37
	v_and_b32_e32 v36, 0x7fffff, v69
	v_cmp_ne_u64_e32 vcc_lo, 0x7f800000, v[118:119]
                                        ; implicit-def: $vgpr119
	s_wait_xcnt 0x0
	s_and_saveexec_b32 s7, vcc_lo
	s_delay_alu instid0(SALU_CYCLE_1)
	s_xor_b32 s14, exec_lo, s7
	s_cbranch_execz .LBB2_4574
; %bb.4557:                             ;   in Loop: Header=BB2_4512 Depth=2
	v_and_b32_e32 v118, 0x7fffffff, v69
	v_dual_mov_b32 v119, v37 :: v_dual_lshrrev_b32 v17, 24, v69
	s_delay_alu instid0(VALU_DEP_1) | instskip(NEXT) | instid1(VALU_DEP_2)
	v_cmp_gt_u64_e32 vcc_lo, 0x47600001, v[118:119]
	v_and_b32_e32 v17, 0x80, v17
                                        ; implicit-def: $vgpr119
	s_and_saveexec_b32 s7, vcc_lo
	s_delay_alu instid0(SALU_CYCLE_1)
	s_xor_b32 s41, exec_lo, s7
	s_cbranch_execz .LBB2_4571
; %bb.4558:                             ;   in Loop: Header=BB2_4512 Depth=2
	v_mov_b32_e32 v119, 0
	s_mov_b32 s42, exec_lo
	v_cmpx_ne_u32_e32 0, v69
	s_cbranch_execz .LBB2_4570
; %bb.4559:                             ;   in Loop: Header=BB2_4512 Depth=2
	v_bfe_u32 v69, v69, 23, 8
	v_or_b32_e32 v83, 0x800000, v36
	s_delay_alu instid0(VALU_DEP_2) | instskip(SKIP_1) | instid1(VALU_DEP_2)
	v_sub_nc_u32_e32 v71, 0x71, v69
	v_cmp_gt_u32_e32 vcc_lo, 0x72, v69
	v_cndmask_b32_e32 v71, 0, v71, vcc_lo
	v_cmp_eq_u32_e32 vcc_lo, 0, v69
	s_delay_alu instid0(VALU_DEP_2) | instskip(NEXT) | instid1(VALU_DEP_1)
	v_cndmask_b32_e64 v71, v71, 0x70, vcc_lo
	v_dual_cndmask_b32 v36, v83, v36 :: v_dual_add_nc_u32 v81, 21, v71
	s_delay_alu instid0(VALU_DEP_1) | instskip(SKIP_1) | instid1(VALU_DEP_1)
	v_lshlrev_b64_e64 v[118:119], v81, -1
	v_add_nc_u32_e32 v81, 20, v71
	v_lshlrev_b64_e64 v[40:41], v81, 1
	s_delay_alu instid0(VALU_DEP_3) | instskip(NEXT) | instid1(VALU_DEP_4)
	v_bfi_b32 v63, v119, 0, 0
	v_bfi_b32 v62, v118, 0, v36
	v_lshrrev_b64 v[118:119], v71, v[36:37]
	s_delay_alu instid0(VALU_DEP_2) | instskip(NEXT) | instid1(VALU_DEP_2)
	v_cmp_eq_u64_e64 s7, v[62:63], v[40:41]
	v_mov_b64_e32 v[40:41], v[118:119]
	s_and_saveexec_b32 s43, s7
; %bb.4560:                             ;   in Loop: Header=BB2_4512 Depth=2
	v_bfe_u32 v36, v118, 21, 1
	s_delay_alu instid0(VALU_DEP_1) | instskip(NEXT) | instid1(VALU_DEP_1)
	v_add_nc_u64_e32 v[40:41], v[118:119], v[36:37]
	v_add_nc_u64_e32 v[40:41], -1, v[40:41]
; %bb.4561:                             ;   in Loop: Header=BB2_4512 Depth=2
	s_or_b32 exec_lo, exec_lo, s43
	v_add_nc_u32_e32 v36, 0xffffff81, v69
	v_lshrrev_b32_e32 v69, 23, v118
	s_mov_b32 s7, exec_lo
	s_delay_alu instid0(VALU_DEP_2) | instskip(NEXT) | instid1(VALU_DEP_1)
	v_cndmask_b32_e64 v36, v36, 0xffffff82, vcc_lo
	v_add3_u32 v71, v71, v36, v69
	v_and_b32_e32 v36, 0x1fffff, v40
                                        ; implicit-def: $vgpr69
	s_delay_alu instid0(VALU_DEP_1) | instskip(NEXT) | instid1(VALU_DEP_1)
	v_dual_add_nc_u32 v81, 14, v71 :: v_dual_add_nc_u32 v36, v36, v118
                                        ; implicit-def: $vgpr118_vgpr119
	v_cmpx_ne_u32_e32 0, v81
	s_xor_b32 s7, exec_lo, s7
; %bb.4562:                             ;   in Loop: Header=BB2_4512 Depth=2
	s_delay_alu instid0(VALU_DEP_2) | instskip(SKIP_2) | instid1(VALU_DEP_2)
	v_cmp_lt_u64_e32 vcc_lo, 0xffffff, v[36:37]
	v_add_nc_u32_e32 v69, 15, v71
	v_cndmask_b32_e64 v71, 0, 1, vcc_lo
	v_cndmask_b32_e32 v69, v81, v69, vcc_lo
	s_delay_alu instid0(VALU_DEP_2)
	v_lshrrev_b64 v[118:119], v71, v[36:37]
; %bb.4563:                             ;   in Loop: Header=BB2_4512 Depth=2
	s_and_not1_saveexec_b32 s7, s7
; %bb.4564:                             ;   in Loop: Header=BB2_4512 Depth=2
	v_mov_b64_e32 v[118:119], v[36:37]
	v_bfe_u32 v69, v36, 23, 1
; %bb.4565:                             ;   in Loop: Header=BB2_4512 Depth=2
	s_or_b32 exec_lo, exec_lo, s7
	s_delay_alu instid0(VALU_DEP_2) | instskip(NEXT) | instid1(VALU_DEP_2)
	v_lshrrev_b64 v[118:119], 21, v[118:119]
	v_cmp_gt_i32_e32 vcc_lo, 32, v69
	v_cmp_ne_u32_e64 s7, 0, v69
	s_delay_alu instid0(VALU_DEP_3) | instskip(NEXT) | instid1(VALU_DEP_1)
	v_dual_cndmask_b32 v119, 0, v119 :: v_dual_cndmask_b32 v118, 3, v118
	v_cmp_ne_u64_e32 vcc_lo, 0, v[118:119]
                                        ; implicit-def: $vgpr119
	s_or_b32 s7, s7, vcc_lo
	s_delay_alu instid0(SALU_CYCLE_1) | instskip(NEXT) | instid1(SALU_CYCLE_1)
	s_and_saveexec_b32 s43, s7
	s_xor_b32 s7, exec_lo, s43
; %bb.4566:                             ;   in Loop: Header=BB2_4512 Depth=2
	v_min_i32_e32 v36, 31, v69
	s_delay_alu instid0(VALU_DEP_1) | instskip(NEXT) | instid1(VALU_DEP_1)
	v_lshl_or_b32 v17, v36, 2, v17
	v_and_or_b32 v119, v118, 3, v17
                                        ; implicit-def: $vgpr17
; %bb.4567:                             ;   in Loop: Header=BB2_4512 Depth=2
	s_and_not1_saveexec_b32 s7, s7
; %bb.4568:                             ;   in Loop: Header=BB2_4512 Depth=2
	v_mov_b32_e32 v119, v17
; %bb.4569:                             ;   in Loop: Header=BB2_4512 Depth=2
	s_or_b32 exec_lo, exec_lo, s7
.LBB2_4570:                             ;   in Loop: Header=BB2_4512 Depth=2
	s_delay_alu instid0(SALU_CYCLE_1)
	s_or_b32 exec_lo, exec_lo, s42
                                        ; implicit-def: $vgpr17
.LBB2_4571:                             ;   in Loop: Header=BB2_4512 Depth=2
	s_and_not1_saveexec_b32 s7, s41
; %bb.4572:                             ;   in Loop: Header=BB2_4512 Depth=2
	v_or_b32_e32 v119, 0x7b, v17
; %bb.4573:                             ;   in Loop: Header=BB2_4512 Depth=2
	s_or_b32 exec_lo, exec_lo, s7
                                        ; implicit-def: $vgpr69
.LBB2_4574:                             ;   in Loop: Header=BB2_4512 Depth=2
	s_and_not1_saveexec_b32 s7, s14
	s_cbranch_execz .LBB2_4580
; %bb.4575:                             ;   in Loop: Header=BB2_4512 Depth=2
	s_mov_b32 s14, exec_lo
                                        ; implicit-def: $vgpr119
	v_cmpx_ne_u64_e32 0, v[36:37]
	s_xor_b32 s14, exec_lo, s14
; %bb.4576:                             ;   in Loop: Header=BB2_4512 Depth=2
	v_lshrrev_b32_e32 v17, 24, v69
                                        ; implicit-def: $vgpr69
	s_delay_alu instid0(VALU_DEP_1)
	v_or_b32_e32 v119, 0x7f, v17
; %bb.4577:                             ;   in Loop: Header=BB2_4512 Depth=2
	s_and_not1_saveexec_b32 s14, s14
; %bb.4578:                             ;   in Loop: Header=BB2_4512 Depth=2
	v_cmp_lt_i32_e32 vcc_lo, -1, v69
	v_cndmask_b32_e64 v119, -4, 0x7c, vcc_lo
; %bb.4579:                             ;   in Loop: Header=BB2_4512 Depth=2
	s_or_b32 exec_lo, exec_lo, s14
.LBB2_4580:                             ;   in Loop: Header=BB2_4512 Depth=2
	s_delay_alu instid0(SALU_CYCLE_1)
	s_or_b32 exec_lo, exec_lo, s7
	v_and_b32_e32 v17, 0xff, v116
	v_cmp_ne_u16_e64 s7, 0, v116
	s_and_not1_b32 vcc_lo, exec_lo, s13
	s_mov_b32 s14, -1
                                        ; implicit-def: $vgpr69
	s_cbranch_vccnz .LBB2_4602
; %bb.4581:                             ;   in Loop: Header=BB2_4512 Depth=2
	v_dual_mov_b32 v69, 0 :: v_dual_mov_b32 v36, 0
	s_and_saveexec_b32 s14, s7
	s_cbranch_execz .LBB2_4591
; %bb.4582:                             ;   in Loop: Header=BB2_4512 Depth=2
	v_bfrev_b32_e32 v36, 1
	s_mov_b32 s41, exec_lo
	v_cmpx_ne_u16_e32 0xff80, v116
	s_cbranch_execz .LBB2_4590
; %bb.4583:                             ;   in Loop: Header=BB2_4512 Depth=2
	v_and_b32_e32 v36, 0x7c, v17
	v_and_b32_e32 v71, 3, v17
	s_delay_alu instid0(VALU_DEP_2) | instskip(SKIP_1) | instid1(SALU_CYCLE_1)
	v_cmp_ne_u32_e32 vcc_lo, 0x7c, v36
                                        ; implicit-def: $vgpr36
	s_and_saveexec_b32 s42, vcc_lo
	s_xor_b32 s42, exec_lo, s42
	s_cbranch_execz .LBB2_4587
; %bb.4584:                             ;   in Loop: Header=BB2_4512 Depth=2
	v_bfe_u32 v36, v17, 2, 5
	s_mov_b32 s43, exec_lo
	s_delay_alu instid0(VALU_DEP_1)
	v_cmpx_eq_u32_e32 0, v36
	s_cbranch_execz .LBB2_4586
; %bb.4585:                             ;   in Loop: Header=BB2_4512 Depth=2
	v_clz_i32_u32_e32 v36, v71
	s_delay_alu instid0(VALU_DEP_1) | instskip(SKIP_1) | instid1(VALU_DEP_2)
	v_min_u32_e32 v36, 32, v36
	v_mov_b32_e32 v117, v37
	v_subrev_nc_u32_e32 v71, 29, v36
	v_sub_nc_u32_e32 v36, 30, v36
	s_delay_alu instid0(VALU_DEP_2) | instskip(NEXT) | instid1(VALU_DEP_1)
	v_lshlrev_b64_e32 v[40:41], v71, v[116:117]
	v_and_b32_e32 v71, 3, v40
.LBB2_4586:                             ;   in Loop: Header=BB2_4512 Depth=2
	s_or_b32 exec_lo, exec_lo, s43
	v_bfe_i32 v81, v116, 0, 16
	s_delay_alu instid0(VALU_DEP_1) | instskip(NEXT) | instid1(VALU_DEP_1)
	v_and_b32_e32 v81, 0x80000000, v81
	v_lshl_add_u32 v36, v36, 23, v81
	s_delay_alu instid0(VALU_DEP_1) | instskip(NEXT) | instid1(VALU_DEP_1)
	v_lshl_or_b32 v36, v71, 21, v36
                                        ; implicit-def: $vgpr71
	v_add_nc_u32_e32 v36, 0x38000000, v36
.LBB2_4587:                             ;   in Loop: Header=BB2_4512 Depth=2
	s_and_not1_saveexec_b32 s42, s42
; %bb.4588:                             ;   in Loop: Header=BB2_4512 Depth=2
	v_cmp_lt_i16_e32 vcc_lo, -1, v116
	v_cndmask_b32_e32 v36, 0xff800000, v45, vcc_lo
	v_cmp_eq_u32_e32 vcc_lo, 0, v71
	s_delay_alu instid0(VALU_DEP_2)
	v_cndmask_b32_e32 v36, 0x7f800001, v36, vcc_lo
; %bb.4589:                             ;   in Loop: Header=BB2_4512 Depth=2
	s_or_b32 exec_lo, exec_lo, s42
.LBB2_4590:                             ;   in Loop: Header=BB2_4512 Depth=2
	s_delay_alu instid0(SALU_CYCLE_1)
	s_or_b32 exec_lo, exec_lo, s41
.LBB2_4591:                             ;   in Loop: Header=BB2_4512 Depth=2
	s_delay_alu instid0(SALU_CYCLE_1) | instskip(NEXT) | instid1(SALU_CYCLE_1)
	s_or_b32 exec_lo, exec_lo, s14
	s_mov_b32 s14, exec_lo
	s_wait_loadcnt_dscnt 0x606
	v_cmpx_ne_u16_e32 0, v114
	s_cbranch_execz .LBB2_4601
; %bb.4592:                             ;   in Loop: Header=BB2_4512 Depth=2
	v_bfrev_b32_e32 v69, 1
	s_mov_b32 s41, exec_lo
	v_cmpx_ne_u16_e32 0xff80, v114
	s_cbranch_execz .LBB2_4600
; %bb.4593:                             ;   in Loop: Header=BB2_4512 Depth=2
	v_and_b32_e32 v69, 0x7c, v114
	v_and_b32_e32 v71, 3, v114
	s_delay_alu instid0(VALU_DEP_2) | instskip(SKIP_1) | instid1(SALU_CYCLE_1)
	v_cmp_ne_u32_e32 vcc_lo, 0x7c, v69
                                        ; implicit-def: $vgpr69
	s_and_saveexec_b32 s42, vcc_lo
	s_xor_b32 s42, exec_lo, s42
	s_cbranch_execz .LBB2_4597
; %bb.4594:                             ;   in Loop: Header=BB2_4512 Depth=2
	v_and_b32_e32 v69, 0xff, v114
	s_mov_b32 s43, exec_lo
	s_delay_alu instid0(VALU_DEP_1) | instskip(NEXT) | instid1(VALU_DEP_1)
	v_bfe_u32 v69, v69, 2, 5
	v_cmpx_eq_u32_e32 0, v69
	s_cbranch_execz .LBB2_4596
; %bb.4595:                             ;   in Loop: Header=BB2_4512 Depth=2
	v_clz_i32_u32_e32 v69, v71
	s_delay_alu instid0(VALU_DEP_1) | instskip(SKIP_1) | instid1(VALU_DEP_2)
	v_min_u32_e32 v69, 32, v69
	v_mov_b32_e32 v115, v37
	v_subrev_nc_u32_e32 v71, 29, v69
	v_sub_nc_u32_e32 v69, 30, v69
	s_delay_alu instid0(VALU_DEP_2) | instskip(NEXT) | instid1(VALU_DEP_1)
	v_lshlrev_b64_e32 v[40:41], v71, v[114:115]
	v_and_b32_e32 v71, 3, v40
.LBB2_4596:                             ;   in Loop: Header=BB2_4512 Depth=2
	s_or_b32 exec_lo, exec_lo, s43
	v_bfe_i32 v81, v114, 0, 16
	s_delay_alu instid0(VALU_DEP_1) | instskip(NEXT) | instid1(VALU_DEP_1)
	v_and_b32_e32 v81, 0x80000000, v81
	v_lshl_add_u32 v69, v69, 23, v81
	s_delay_alu instid0(VALU_DEP_1) | instskip(NEXT) | instid1(VALU_DEP_1)
	v_lshl_or_b32 v69, v71, 21, v69
                                        ; implicit-def: $vgpr71
	v_add_nc_u32_e32 v69, 0x38000000, v69
.LBB2_4597:                             ;   in Loop: Header=BB2_4512 Depth=2
	s_and_not1_saveexec_b32 s42, s42
; %bb.4598:                             ;   in Loop: Header=BB2_4512 Depth=2
	v_cmp_lt_i16_e32 vcc_lo, -1, v114
	v_cndmask_b32_e32 v69, 0xff800000, v45, vcc_lo
	v_cmp_eq_u32_e32 vcc_lo, 0, v71
	s_delay_alu instid0(VALU_DEP_2)
	v_cndmask_b32_e32 v69, 0x7f800001, v69, vcc_lo
; %bb.4599:                             ;   in Loop: Header=BB2_4512 Depth=2
	s_or_b32 exec_lo, exec_lo, s42
.LBB2_4600:                             ;   in Loop: Header=BB2_4512 Depth=2
	s_delay_alu instid0(SALU_CYCLE_1)
	s_or_b32 exec_lo, exec_lo, s41
.LBB2_4601:                             ;   in Loop: Header=BB2_4512 Depth=2
	s_delay_alu instid0(SALU_CYCLE_1) | instskip(NEXT) | instid1(VALU_DEP_1)
	s_or_b32 exec_lo, exec_lo, s14
	v_dual_max_num_f32 v69, v69, v69 :: v_dual_max_num_f32 v36, v36, v36
	s_mov_b32 s14, 0
	s_delay_alu instid0(VALU_DEP_1)
	v_max_num_f32_e32 v69, v36, v69
.LBB2_4602:                             ;   in Loop: Header=BB2_4512 Depth=2
	s_and_b32 vcc_lo, exec_lo, s14
	s_cbranch_vccz .LBB2_4624
; %bb.4603:                             ;   in Loop: Header=BB2_4512 Depth=2
	v_dual_mov_b32 v69, 0 :: v_dual_mov_b32 v36, 0
	s_and_saveexec_b32 s14, s7
	s_cbranch_execz .LBB2_4613
; %bb.4604:                             ;   in Loop: Header=BB2_4512 Depth=2
	v_bfrev_b32_e32 v36, 1
	s_mov_b32 s7, exec_lo
	v_cmpx_ne_u16_e32 0xff80, v116
	s_cbranch_execz .LBB2_4612
; %bb.4605:                             ;   in Loop: Header=BB2_4512 Depth=2
	v_and_b32_e32 v36, 0x7c, v17
	v_and_b32_e32 v71, 3, v17
	s_delay_alu instid0(VALU_DEP_2) | instskip(SKIP_1) | instid1(SALU_CYCLE_1)
	v_cmp_ne_u32_e32 vcc_lo, 0x7c, v36
                                        ; implicit-def: $vgpr36
	s_and_saveexec_b32 s41, vcc_lo
	s_xor_b32 s41, exec_lo, s41
	s_cbranch_execz .LBB2_4609
; %bb.4606:                             ;   in Loop: Header=BB2_4512 Depth=2
	v_bfe_u32 v17, v17, 2, 5
	s_mov_b32 s42, exec_lo
	s_delay_alu instid0(VALU_DEP_1)
	v_cmpx_eq_u32_e32 0, v17
	s_cbranch_execz .LBB2_4608
; %bb.4607:                             ;   in Loop: Header=BB2_4512 Depth=2
	v_clz_i32_u32_e32 v17, v71
	s_delay_alu instid0(VALU_DEP_1) | instskip(SKIP_1) | instid1(VALU_DEP_2)
	v_min_u32_e32 v17, 32, v17
	v_mov_b32_e32 v117, v37
	v_subrev_nc_u32_e32 v36, 29, v17
	v_sub_nc_u32_e32 v17, 30, v17
	s_delay_alu instid0(VALU_DEP_2) | instskip(NEXT) | instid1(VALU_DEP_1)
	v_lshlrev_b64_e32 v[40:41], v36, v[116:117]
	v_and_b32_e32 v71, 3, v40
.LBB2_4608:                             ;   in Loop: Header=BB2_4512 Depth=2
	s_or_b32 exec_lo, exec_lo, s42
	v_bfe_i32 v36, v116, 0, 16
                                        ; implicit-def: $vgpr116
	s_delay_alu instid0(VALU_DEP_1) | instskip(NEXT) | instid1(VALU_DEP_1)
	v_and_b32_e32 v36, 0x80000000, v36
	v_lshl_add_u32 v17, v17, 23, v36
	s_delay_alu instid0(VALU_DEP_1) | instskip(NEXT) | instid1(VALU_DEP_1)
	v_lshl_or_b32 v17, v71, 21, v17
                                        ; implicit-def: $vgpr71
	v_add_nc_u32_e32 v36, 0x38000000, v17
.LBB2_4609:                             ;   in Loop: Header=BB2_4512 Depth=2
	s_and_not1_saveexec_b32 s41, s41
; %bb.4610:                             ;   in Loop: Header=BB2_4512 Depth=2
	v_cmp_lt_i16_e32 vcc_lo, -1, v116
	v_cndmask_b32_e32 v17, 0xff800000, v45, vcc_lo
	v_cmp_eq_u32_e32 vcc_lo, 0, v71
	s_delay_alu instid0(VALU_DEP_2)
	v_cndmask_b32_e32 v36, 0x7f800001, v17, vcc_lo
; %bb.4611:                             ;   in Loop: Header=BB2_4512 Depth=2
	s_or_b32 exec_lo, exec_lo, s41
.LBB2_4612:                             ;   in Loop: Header=BB2_4512 Depth=2
	s_delay_alu instid0(SALU_CYCLE_1)
	s_or_b32 exec_lo, exec_lo, s7
.LBB2_4613:                             ;   in Loop: Header=BB2_4512 Depth=2
	s_delay_alu instid0(SALU_CYCLE_1) | instskip(NEXT) | instid1(SALU_CYCLE_1)
	s_or_b32 exec_lo, exec_lo, s14
	s_mov_b32 s7, exec_lo
	s_wait_loadcnt_dscnt 0x606
	v_cmpx_ne_u16_e32 0, v114
	s_cbranch_execz .LBB2_4623
; %bb.4614:                             ;   in Loop: Header=BB2_4512 Depth=2
	v_bfrev_b32_e32 v69, 1
	s_mov_b32 s14, exec_lo
	v_cmpx_ne_u16_e32 0xff80, v114
	s_cbranch_execz .LBB2_4622
; %bb.4615:                             ;   in Loop: Header=BB2_4512 Depth=2
	v_and_b32_e32 v69, 0x7c, v114
	v_and_b32_e32 v17, 3, v114
	s_delay_alu instid0(VALU_DEP_2) | instskip(SKIP_1) | instid1(SALU_CYCLE_1)
	v_cmp_ne_u32_e32 vcc_lo, 0x7c, v69
                                        ; implicit-def: $vgpr69
	s_and_saveexec_b32 s41, vcc_lo
	s_xor_b32 s41, exec_lo, s41
	s_cbranch_execz .LBB2_4619
; %bb.4616:                             ;   in Loop: Header=BB2_4512 Depth=2
	v_and_b32_e32 v69, 0xff, v114
	s_mov_b32 s42, exec_lo
	s_delay_alu instid0(VALU_DEP_1) | instskip(NEXT) | instid1(VALU_DEP_1)
	v_bfe_u32 v69, v69, 2, 5
	v_cmpx_eq_u32_e32 0, v69
; %bb.4617:                             ;   in Loop: Header=BB2_4512 Depth=2
	v_clz_i32_u32_e32 v17, v17
	s_delay_alu instid0(VALU_DEP_1) | instskip(SKIP_1) | instid1(VALU_DEP_2)
	v_min_u32_e32 v17, 32, v17
	v_mov_b32_e32 v115, v37
	v_subrev_nc_u32_e32 v69, 29, v17
	s_delay_alu instid0(VALU_DEP_1) | instskip(NEXT) | instid1(VALU_DEP_1)
	v_lshlrev_b64_e32 v[116:117], v69, v[114:115]
	v_dual_sub_nc_u32 v69, 30, v17 :: v_dual_bitop2_b32 v17, 3, v116 bitop3:0x40
; %bb.4618:                             ;   in Loop: Header=BB2_4512 Depth=2
	s_or_b32 exec_lo, exec_lo, s42
	v_bfe_i32 v71, v114, 0, 16
                                        ; implicit-def: $vgpr114
	s_delay_alu instid0(VALU_DEP_1) | instskip(NEXT) | instid1(VALU_DEP_1)
	v_and_b32_e32 v71, 0x80000000, v71
	v_lshl_add_u32 v69, v69, 23, v71
	s_delay_alu instid0(VALU_DEP_1) | instskip(NEXT) | instid1(VALU_DEP_1)
	v_lshl_or_b32 v17, v17, 21, v69
	v_add_nc_u32_e32 v69, 0x38000000, v17
                                        ; implicit-def: $vgpr17
.LBB2_4619:                             ;   in Loop: Header=BB2_4512 Depth=2
	s_and_not1_saveexec_b32 s41, s41
; %bb.4620:                             ;   in Loop: Header=BB2_4512 Depth=2
	v_cmp_lt_i16_e32 vcc_lo, -1, v114
	v_cndmask_b32_e32 v69, 0xff800000, v45, vcc_lo
	v_cmp_eq_u32_e32 vcc_lo, 0, v17
	s_delay_alu instid0(VALU_DEP_2)
	v_cndmask_b32_e32 v69, 0x7f800001, v69, vcc_lo
; %bb.4621:                             ;   in Loop: Header=BB2_4512 Depth=2
	s_or_b32 exec_lo, exec_lo, s41
.LBB2_4622:                             ;   in Loop: Header=BB2_4512 Depth=2
	s_delay_alu instid0(SALU_CYCLE_1)
	s_or_b32 exec_lo, exec_lo, s14
.LBB2_4623:                             ;   in Loop: Header=BB2_4512 Depth=2
	s_delay_alu instid0(SALU_CYCLE_1) | instskip(NEXT) | instid1(VALU_DEP_1)
	s_or_b32 exec_lo, exec_lo, s7
	v_dual_max_num_f32 v17, v69, v69 :: v_dual_max_num_f32 v36, v36, v36
	s_delay_alu instid0(VALU_DEP_1)
	v_min_num_f32_e32 v69, v36, v17
.LBB2_4624:                             ;   in Loop: Header=BB2_4512 Depth=2
	s_wait_loadcnt_dscnt 0x606
	s_delay_alu instid0(VALU_DEP_1) | instskip(SKIP_2) | instid1(VALU_DEP_2)
	v_and_b32_e32 v114, 0x7f800000, v69
	v_mov_b32_e32 v115, v37
	v_and_b32_e32 v36, 0x7fffff, v69
	v_cmp_ne_u64_e32 vcc_lo, 0x7f800000, v[114:115]
                                        ; implicit-def: $vgpr115
	s_and_saveexec_b32 s7, vcc_lo
	s_delay_alu instid0(SALU_CYCLE_1)
	s_xor_b32 s14, exec_lo, s7
	s_cbranch_execz .LBB2_4642
; %bb.4625:                             ;   in Loop: Header=BB2_4512 Depth=2
	v_and_b32_e32 v114, 0x7fffffff, v69
	v_dual_mov_b32 v115, v37 :: v_dual_lshrrev_b32 v17, 24, v69
	s_delay_alu instid0(VALU_DEP_1) | instskip(NEXT) | instid1(VALU_DEP_2)
	v_cmp_gt_u64_e32 vcc_lo, 0x47600001, v[114:115]
	v_and_b32_e32 v17, 0x80, v17
                                        ; implicit-def: $vgpr115
	s_and_saveexec_b32 s7, vcc_lo
	s_delay_alu instid0(SALU_CYCLE_1)
	s_xor_b32 s41, exec_lo, s7
	s_cbranch_execz .LBB2_4639
; %bb.4626:                             ;   in Loop: Header=BB2_4512 Depth=2
	v_mov_b32_e32 v115, 0
	s_mov_b32 s42, exec_lo
	v_cmpx_ne_u32_e32 0, v69
	s_cbranch_execz .LBB2_4638
; %bb.4627:                             ;   in Loop: Header=BB2_4512 Depth=2
	v_bfe_u32 v69, v69, 23, 8
	v_or_b32_e32 v83, 0x800000, v36
	s_delay_alu instid0(VALU_DEP_2) | instskip(SKIP_1) | instid1(VALU_DEP_2)
	v_sub_nc_u32_e32 v71, 0x71, v69
	v_cmp_gt_u32_e32 vcc_lo, 0x72, v69
	v_cndmask_b32_e32 v71, 0, v71, vcc_lo
	v_cmp_eq_u32_e32 vcc_lo, 0, v69
	s_delay_alu instid0(VALU_DEP_2) | instskip(NEXT) | instid1(VALU_DEP_1)
	v_cndmask_b32_e64 v71, v71, 0x70, vcc_lo
	v_dual_cndmask_b32 v36, v83, v36 :: v_dual_add_nc_u32 v81, 21, v71
	s_delay_alu instid0(VALU_DEP_1) | instskip(SKIP_1) | instid1(VALU_DEP_1)
	v_lshlrev_b64_e64 v[114:115], v81, -1
	v_add_nc_u32_e32 v81, 20, v71
	v_lshlrev_b64_e64 v[116:117], v81, 1
	s_delay_alu instid0(VALU_DEP_3) | instskip(NEXT) | instid1(VALU_DEP_4)
	v_bfi_b32 v41, v115, 0, 0
	v_bfi_b32 v40, v114, 0, v36
	v_lshrrev_b64 v[114:115], v71, v[36:37]
	s_delay_alu instid0(VALU_DEP_2) | instskip(NEXT) | instid1(VALU_DEP_2)
	v_cmp_eq_u64_e64 s7, v[40:41], v[116:117]
	v_mov_b64_e32 v[116:117], v[114:115]
	s_and_saveexec_b32 s43, s7
; %bb.4628:                             ;   in Loop: Header=BB2_4512 Depth=2
	v_bfe_u32 v36, v114, 21, 1
	s_delay_alu instid0(VALU_DEP_1) | instskip(NEXT) | instid1(VALU_DEP_1)
	v_add_nc_u64_e32 v[116:117], v[114:115], v[36:37]
	v_add_nc_u64_e32 v[116:117], -1, v[116:117]
; %bb.4629:                             ;   in Loop: Header=BB2_4512 Depth=2
	s_or_b32 exec_lo, exec_lo, s43
	v_add_nc_u32_e32 v36, 0xffffff81, v69
	v_lshrrev_b32_e32 v69, 23, v114
	s_mov_b32 s7, exec_lo
	s_delay_alu instid0(VALU_DEP_2) | instskip(NEXT) | instid1(VALU_DEP_1)
	v_cndmask_b32_e64 v36, v36, 0xffffff82, vcc_lo
	v_add3_u32 v71, v71, v36, v69
	v_and_b32_e32 v36, 0x1fffff, v116
                                        ; implicit-def: $vgpr69
	s_delay_alu instid0(VALU_DEP_1) | instskip(NEXT) | instid1(VALU_DEP_1)
	v_dual_add_nc_u32 v81, 14, v71 :: v_dual_add_nc_u32 v36, v36, v114
                                        ; implicit-def: $vgpr114_vgpr115
	v_cmpx_ne_u32_e32 0, v81
	s_xor_b32 s7, exec_lo, s7
; %bb.4630:                             ;   in Loop: Header=BB2_4512 Depth=2
	s_delay_alu instid0(VALU_DEP_2) | instskip(SKIP_2) | instid1(VALU_DEP_2)
	v_cmp_lt_u64_e32 vcc_lo, 0xffffff, v[36:37]
	v_add_nc_u32_e32 v69, 15, v71
	v_cndmask_b32_e64 v71, 0, 1, vcc_lo
	v_cndmask_b32_e32 v69, v81, v69, vcc_lo
	s_delay_alu instid0(VALU_DEP_2)
	v_lshrrev_b64 v[114:115], v71, v[36:37]
; %bb.4631:                             ;   in Loop: Header=BB2_4512 Depth=2
	s_and_not1_saveexec_b32 s7, s7
; %bb.4632:                             ;   in Loop: Header=BB2_4512 Depth=2
	v_mov_b64_e32 v[114:115], v[36:37]
	v_bfe_u32 v69, v36, 23, 1
; %bb.4633:                             ;   in Loop: Header=BB2_4512 Depth=2
	s_or_b32 exec_lo, exec_lo, s7
	s_delay_alu instid0(VALU_DEP_2) | instskip(NEXT) | instid1(VALU_DEP_2)
	v_lshrrev_b64 v[114:115], 21, v[114:115]
	v_cmp_gt_i32_e32 vcc_lo, 32, v69
	v_cmp_ne_u32_e64 s7, 0, v69
	s_delay_alu instid0(VALU_DEP_3) | instskip(NEXT) | instid1(VALU_DEP_1)
	v_dual_cndmask_b32 v115, 0, v115 :: v_dual_cndmask_b32 v114, 3, v114
	v_cmp_ne_u64_e32 vcc_lo, 0, v[114:115]
                                        ; implicit-def: $vgpr115
	s_or_b32 s7, s7, vcc_lo
	s_delay_alu instid0(SALU_CYCLE_1) | instskip(NEXT) | instid1(SALU_CYCLE_1)
	s_and_saveexec_b32 s43, s7
	s_xor_b32 s7, exec_lo, s43
; %bb.4634:                             ;   in Loop: Header=BB2_4512 Depth=2
	v_min_i32_e32 v36, 31, v69
	s_delay_alu instid0(VALU_DEP_1) | instskip(NEXT) | instid1(VALU_DEP_1)
	v_lshl_or_b32 v17, v36, 2, v17
	v_and_or_b32 v115, v114, 3, v17
                                        ; implicit-def: $vgpr17
; %bb.4635:                             ;   in Loop: Header=BB2_4512 Depth=2
	s_and_not1_saveexec_b32 s7, s7
; %bb.4636:                             ;   in Loop: Header=BB2_4512 Depth=2
	v_mov_b32_e32 v115, v17
; %bb.4637:                             ;   in Loop: Header=BB2_4512 Depth=2
	s_or_b32 exec_lo, exec_lo, s7
.LBB2_4638:                             ;   in Loop: Header=BB2_4512 Depth=2
	s_delay_alu instid0(SALU_CYCLE_1)
	s_or_b32 exec_lo, exec_lo, s42
                                        ; implicit-def: $vgpr17
.LBB2_4639:                             ;   in Loop: Header=BB2_4512 Depth=2
	s_and_not1_saveexec_b32 s7, s41
; %bb.4640:                             ;   in Loop: Header=BB2_4512 Depth=2
	v_or_b32_e32 v115, 0x7b, v17
; %bb.4641:                             ;   in Loop: Header=BB2_4512 Depth=2
	s_or_b32 exec_lo, exec_lo, s7
                                        ; implicit-def: $vgpr69
.LBB2_4642:                             ;   in Loop: Header=BB2_4512 Depth=2
	s_and_not1_saveexec_b32 s7, s14
	s_cbranch_execz .LBB2_4648
; %bb.4643:                             ;   in Loop: Header=BB2_4512 Depth=2
	s_mov_b32 s14, exec_lo
                                        ; implicit-def: $vgpr115
	v_cmpx_ne_u64_e32 0, v[36:37]
	s_xor_b32 s14, exec_lo, s14
; %bb.4644:                             ;   in Loop: Header=BB2_4512 Depth=2
	v_lshrrev_b32_e32 v17, 24, v69
                                        ; implicit-def: $vgpr69
	s_delay_alu instid0(VALU_DEP_1)
	v_or_b32_e32 v115, 0x7f, v17
; %bb.4645:                             ;   in Loop: Header=BB2_4512 Depth=2
	s_and_not1_saveexec_b32 s14, s14
; %bb.4646:                             ;   in Loop: Header=BB2_4512 Depth=2
	v_cmp_lt_i32_e32 vcc_lo, -1, v69
	v_cndmask_b32_e64 v115, -4, 0x7c, vcc_lo
; %bb.4647:                             ;   in Loop: Header=BB2_4512 Depth=2
	s_or_b32 exec_lo, exec_lo, s14
.LBB2_4648:                             ;   in Loop: Header=BB2_4512 Depth=2
	s_delay_alu instid0(SALU_CYCLE_1)
	s_or_b32 exec_lo, exec_lo, s7
	v_and_b32_e32 v17, 0xff, v112
	v_cmp_ne_u16_e64 s7, 0, v112
	s_and_not1_b32 vcc_lo, exec_lo, s13
	s_mov_b32 s14, -1
                                        ; implicit-def: $vgpr69
	s_cbranch_vccnz .LBB2_4670
; %bb.4649:                             ;   in Loop: Header=BB2_4512 Depth=2
	v_dual_mov_b32 v69, 0 :: v_dual_mov_b32 v36, 0
	s_and_saveexec_b32 s14, s7
	s_cbranch_execz .LBB2_4659
; %bb.4650:                             ;   in Loop: Header=BB2_4512 Depth=2
	v_bfrev_b32_e32 v36, 1
	s_mov_b32 s41, exec_lo
	v_cmpx_ne_u16_e32 0xff80, v112
	s_cbranch_execz .LBB2_4658
; %bb.4651:                             ;   in Loop: Header=BB2_4512 Depth=2
	v_and_b32_e32 v36, 0x7c, v17
	v_and_b32_e32 v71, 3, v17
	s_delay_alu instid0(VALU_DEP_2) | instskip(SKIP_1) | instid1(SALU_CYCLE_1)
	v_cmp_ne_u32_e32 vcc_lo, 0x7c, v36
                                        ; implicit-def: $vgpr36
	s_and_saveexec_b32 s42, vcc_lo
	s_xor_b32 s42, exec_lo, s42
	s_cbranch_execz .LBB2_4655
; %bb.4652:                             ;   in Loop: Header=BB2_4512 Depth=2
	v_bfe_u32 v36, v17, 2, 5
	s_mov_b32 s43, exec_lo
	s_delay_alu instid0(VALU_DEP_1)
	v_cmpx_eq_u32_e32 0, v36
	s_cbranch_execz .LBB2_4654
; %bb.4653:                             ;   in Loop: Header=BB2_4512 Depth=2
	v_clz_i32_u32_e32 v36, v71
	s_delay_alu instid0(VALU_DEP_1) | instskip(SKIP_1) | instid1(VALU_DEP_2)
	v_min_u32_e32 v36, 32, v36
	v_mov_b32_e32 v113, v37
	v_subrev_nc_u32_e32 v71, 29, v36
	v_sub_nc_u32_e32 v36, 30, v36
	s_delay_alu instid0(VALU_DEP_2) | instskip(NEXT) | instid1(VALU_DEP_1)
	v_lshlrev_b64_e32 v[116:117], v71, v[112:113]
	v_and_b32_e32 v71, 3, v116
.LBB2_4654:                             ;   in Loop: Header=BB2_4512 Depth=2
	s_or_b32 exec_lo, exec_lo, s43
	v_bfe_i32 v81, v112, 0, 16
	s_delay_alu instid0(VALU_DEP_1) | instskip(NEXT) | instid1(VALU_DEP_1)
	v_and_b32_e32 v81, 0x80000000, v81
	v_lshl_add_u32 v36, v36, 23, v81
	s_delay_alu instid0(VALU_DEP_1) | instskip(NEXT) | instid1(VALU_DEP_1)
	v_lshl_or_b32 v36, v71, 21, v36
                                        ; implicit-def: $vgpr71
	v_add_nc_u32_e32 v36, 0x38000000, v36
.LBB2_4655:                             ;   in Loop: Header=BB2_4512 Depth=2
	s_and_not1_saveexec_b32 s42, s42
; %bb.4656:                             ;   in Loop: Header=BB2_4512 Depth=2
	v_cmp_lt_i16_e32 vcc_lo, -1, v112
	v_cndmask_b32_e32 v36, 0xff800000, v45, vcc_lo
	v_cmp_eq_u32_e32 vcc_lo, 0, v71
	s_delay_alu instid0(VALU_DEP_2)
	v_cndmask_b32_e32 v36, 0x7f800001, v36, vcc_lo
; %bb.4657:                             ;   in Loop: Header=BB2_4512 Depth=2
	s_or_b32 exec_lo, exec_lo, s42
.LBB2_4658:                             ;   in Loop: Header=BB2_4512 Depth=2
	s_delay_alu instid0(SALU_CYCLE_1)
	s_or_b32 exec_lo, exec_lo, s41
.LBB2_4659:                             ;   in Loop: Header=BB2_4512 Depth=2
	s_delay_alu instid0(SALU_CYCLE_1) | instskip(NEXT) | instid1(SALU_CYCLE_1)
	s_or_b32 exec_lo, exec_lo, s14
	s_mov_b32 s14, exec_lo
	s_wait_loadcnt_dscnt 0x505
	v_cmpx_ne_u16_e32 0, v102
	s_cbranch_execz .LBB2_4669
; %bb.4660:                             ;   in Loop: Header=BB2_4512 Depth=2
	v_bfrev_b32_e32 v69, 1
	s_mov_b32 s41, exec_lo
	v_cmpx_ne_u16_e32 0xff80, v102
	s_cbranch_execz .LBB2_4668
; %bb.4661:                             ;   in Loop: Header=BB2_4512 Depth=2
	v_and_b32_e32 v69, 0x7c, v102
	v_and_b32_e32 v71, 3, v102
	s_delay_alu instid0(VALU_DEP_2) | instskip(SKIP_1) | instid1(SALU_CYCLE_1)
	v_cmp_ne_u32_e32 vcc_lo, 0x7c, v69
                                        ; implicit-def: $vgpr69
	s_and_saveexec_b32 s42, vcc_lo
	s_xor_b32 s42, exec_lo, s42
	s_cbranch_execz .LBB2_4665
; %bb.4662:                             ;   in Loop: Header=BB2_4512 Depth=2
	v_and_b32_e32 v69, 0xff, v102
	s_mov_b32 s43, exec_lo
	s_delay_alu instid0(VALU_DEP_1) | instskip(NEXT) | instid1(VALU_DEP_1)
	v_bfe_u32 v69, v69, 2, 5
	v_cmpx_eq_u32_e32 0, v69
	s_cbranch_execz .LBB2_4664
; %bb.4663:                             ;   in Loop: Header=BB2_4512 Depth=2
	v_clz_i32_u32_e32 v69, v71
	s_delay_alu instid0(VALU_DEP_1) | instskip(SKIP_1) | instid1(VALU_DEP_2)
	v_min_u32_e32 v69, 32, v69
	v_mov_b32_e32 v103, v37
	v_subrev_nc_u32_e32 v71, 29, v69
	v_sub_nc_u32_e32 v69, 30, v69
	s_delay_alu instid0(VALU_DEP_2) | instskip(NEXT) | instid1(VALU_DEP_1)
	v_lshlrev_b64_e32 v[116:117], v71, v[102:103]
	v_and_b32_e32 v71, 3, v116
.LBB2_4664:                             ;   in Loop: Header=BB2_4512 Depth=2
	s_or_b32 exec_lo, exec_lo, s43
	v_bfe_i32 v81, v102, 0, 16
	s_delay_alu instid0(VALU_DEP_1) | instskip(NEXT) | instid1(VALU_DEP_1)
	v_and_b32_e32 v81, 0x80000000, v81
	v_lshl_add_u32 v69, v69, 23, v81
	s_delay_alu instid0(VALU_DEP_1) | instskip(NEXT) | instid1(VALU_DEP_1)
	v_lshl_or_b32 v69, v71, 21, v69
                                        ; implicit-def: $vgpr71
	v_add_nc_u32_e32 v69, 0x38000000, v69
.LBB2_4665:                             ;   in Loop: Header=BB2_4512 Depth=2
	s_and_not1_saveexec_b32 s42, s42
; %bb.4666:                             ;   in Loop: Header=BB2_4512 Depth=2
	v_cmp_lt_i16_e32 vcc_lo, -1, v102
	v_cndmask_b32_e32 v69, 0xff800000, v45, vcc_lo
	v_cmp_eq_u32_e32 vcc_lo, 0, v71
	s_delay_alu instid0(VALU_DEP_2)
	v_cndmask_b32_e32 v69, 0x7f800001, v69, vcc_lo
; %bb.4667:                             ;   in Loop: Header=BB2_4512 Depth=2
	s_or_b32 exec_lo, exec_lo, s42
.LBB2_4668:                             ;   in Loop: Header=BB2_4512 Depth=2
	s_delay_alu instid0(SALU_CYCLE_1)
	s_or_b32 exec_lo, exec_lo, s41
.LBB2_4669:                             ;   in Loop: Header=BB2_4512 Depth=2
	s_delay_alu instid0(SALU_CYCLE_1) | instskip(NEXT) | instid1(VALU_DEP_1)
	s_or_b32 exec_lo, exec_lo, s14
	v_dual_max_num_f32 v69, v69, v69 :: v_dual_max_num_f32 v36, v36, v36
	s_mov_b32 s14, 0
	s_delay_alu instid0(VALU_DEP_1)
	v_max_num_f32_e32 v69, v36, v69
.LBB2_4670:                             ;   in Loop: Header=BB2_4512 Depth=2
	s_and_b32 vcc_lo, exec_lo, s14
	s_cbranch_vccz .LBB2_4692
; %bb.4671:                             ;   in Loop: Header=BB2_4512 Depth=2
	v_dual_mov_b32 v69, 0 :: v_dual_mov_b32 v36, 0
	s_and_saveexec_b32 s14, s7
	s_cbranch_execz .LBB2_4681
; %bb.4672:                             ;   in Loop: Header=BB2_4512 Depth=2
	v_bfrev_b32_e32 v36, 1
	s_mov_b32 s7, exec_lo
	v_cmpx_ne_u16_e32 0xff80, v112
	s_cbranch_execz .LBB2_4680
; %bb.4673:                             ;   in Loop: Header=BB2_4512 Depth=2
	v_and_b32_e32 v36, 0x7c, v17
	v_and_b32_e32 v71, 3, v17
	s_delay_alu instid0(VALU_DEP_2) | instskip(SKIP_1) | instid1(SALU_CYCLE_1)
	v_cmp_ne_u32_e32 vcc_lo, 0x7c, v36
                                        ; implicit-def: $vgpr36
	s_and_saveexec_b32 s41, vcc_lo
	s_xor_b32 s41, exec_lo, s41
	s_cbranch_execz .LBB2_4677
; %bb.4674:                             ;   in Loop: Header=BB2_4512 Depth=2
	v_bfe_u32 v17, v17, 2, 5
	s_mov_b32 s42, exec_lo
	s_delay_alu instid0(VALU_DEP_1)
	v_cmpx_eq_u32_e32 0, v17
	s_cbranch_execz .LBB2_4676
; %bb.4675:                             ;   in Loop: Header=BB2_4512 Depth=2
	v_clz_i32_u32_e32 v17, v71
	s_delay_alu instid0(VALU_DEP_1) | instskip(SKIP_1) | instid1(VALU_DEP_2)
	v_min_u32_e32 v17, 32, v17
	v_mov_b32_e32 v113, v37
	v_subrev_nc_u32_e32 v36, 29, v17
	v_sub_nc_u32_e32 v17, 30, v17
	s_delay_alu instid0(VALU_DEP_2) | instskip(NEXT) | instid1(VALU_DEP_1)
	v_lshlrev_b64_e32 v[116:117], v36, v[112:113]
	v_and_b32_e32 v71, 3, v116
.LBB2_4676:                             ;   in Loop: Header=BB2_4512 Depth=2
	s_or_b32 exec_lo, exec_lo, s42
	v_bfe_i32 v36, v112, 0, 16
                                        ; implicit-def: $vgpr112
	s_delay_alu instid0(VALU_DEP_1) | instskip(NEXT) | instid1(VALU_DEP_1)
	v_and_b32_e32 v36, 0x80000000, v36
	v_lshl_add_u32 v17, v17, 23, v36
	s_delay_alu instid0(VALU_DEP_1) | instskip(NEXT) | instid1(VALU_DEP_1)
	v_lshl_or_b32 v17, v71, 21, v17
                                        ; implicit-def: $vgpr71
	v_add_nc_u32_e32 v36, 0x38000000, v17
.LBB2_4677:                             ;   in Loop: Header=BB2_4512 Depth=2
	s_and_not1_saveexec_b32 s41, s41
; %bb.4678:                             ;   in Loop: Header=BB2_4512 Depth=2
	v_cmp_lt_i16_e32 vcc_lo, -1, v112
	v_cndmask_b32_e32 v17, 0xff800000, v45, vcc_lo
	v_cmp_eq_u32_e32 vcc_lo, 0, v71
	s_delay_alu instid0(VALU_DEP_2)
	v_cndmask_b32_e32 v36, 0x7f800001, v17, vcc_lo
; %bb.4679:                             ;   in Loop: Header=BB2_4512 Depth=2
	s_or_b32 exec_lo, exec_lo, s41
.LBB2_4680:                             ;   in Loop: Header=BB2_4512 Depth=2
	s_delay_alu instid0(SALU_CYCLE_1)
	s_or_b32 exec_lo, exec_lo, s7
.LBB2_4681:                             ;   in Loop: Header=BB2_4512 Depth=2
	s_delay_alu instid0(SALU_CYCLE_1) | instskip(NEXT) | instid1(SALU_CYCLE_1)
	s_or_b32 exec_lo, exec_lo, s14
	s_mov_b32 s7, exec_lo
	s_wait_loadcnt_dscnt 0x505
	v_cmpx_ne_u16_e32 0, v102
	s_cbranch_execz .LBB2_4691
; %bb.4682:                             ;   in Loop: Header=BB2_4512 Depth=2
	v_bfrev_b32_e32 v69, 1
	s_mov_b32 s14, exec_lo
	v_cmpx_ne_u16_e32 0xff80, v102
	s_cbranch_execz .LBB2_4690
; %bb.4683:                             ;   in Loop: Header=BB2_4512 Depth=2
	v_and_b32_e32 v69, 0x7c, v102
	v_and_b32_e32 v17, 3, v102
	s_delay_alu instid0(VALU_DEP_2) | instskip(SKIP_1) | instid1(SALU_CYCLE_1)
	v_cmp_ne_u32_e32 vcc_lo, 0x7c, v69
                                        ; implicit-def: $vgpr69
	s_and_saveexec_b32 s41, vcc_lo
	s_xor_b32 s41, exec_lo, s41
	s_cbranch_execz .LBB2_4687
; %bb.4684:                             ;   in Loop: Header=BB2_4512 Depth=2
	v_and_b32_e32 v69, 0xff, v102
	s_mov_b32 s42, exec_lo
	s_delay_alu instid0(VALU_DEP_1) | instskip(NEXT) | instid1(VALU_DEP_1)
	v_bfe_u32 v69, v69, 2, 5
	v_cmpx_eq_u32_e32 0, v69
; %bb.4685:                             ;   in Loop: Header=BB2_4512 Depth=2
	v_clz_i32_u32_e32 v17, v17
	s_delay_alu instid0(VALU_DEP_1) | instskip(SKIP_1) | instid1(VALU_DEP_2)
	v_min_u32_e32 v17, 32, v17
	v_mov_b32_e32 v103, v37
	v_subrev_nc_u32_e32 v69, 29, v17
	s_delay_alu instid0(VALU_DEP_1) | instskip(NEXT) | instid1(VALU_DEP_1)
	v_lshlrev_b64_e32 v[112:113], v69, v[102:103]
	v_dual_sub_nc_u32 v69, 30, v17 :: v_dual_bitop2_b32 v17, 3, v112 bitop3:0x40
; %bb.4686:                             ;   in Loop: Header=BB2_4512 Depth=2
	s_or_b32 exec_lo, exec_lo, s42
	v_bfe_i32 v71, v102, 0, 16
                                        ; implicit-def: $vgpr102
	s_delay_alu instid0(VALU_DEP_1) | instskip(NEXT) | instid1(VALU_DEP_1)
	v_and_b32_e32 v71, 0x80000000, v71
	v_lshl_add_u32 v69, v69, 23, v71
	s_delay_alu instid0(VALU_DEP_1) | instskip(NEXT) | instid1(VALU_DEP_1)
	v_lshl_or_b32 v17, v17, 21, v69
	v_add_nc_u32_e32 v69, 0x38000000, v17
                                        ; implicit-def: $vgpr17
.LBB2_4687:                             ;   in Loop: Header=BB2_4512 Depth=2
	s_and_not1_saveexec_b32 s41, s41
; %bb.4688:                             ;   in Loop: Header=BB2_4512 Depth=2
	v_cmp_lt_i16_e32 vcc_lo, -1, v102
	v_cndmask_b32_e32 v69, 0xff800000, v45, vcc_lo
	v_cmp_eq_u32_e32 vcc_lo, 0, v17
	s_delay_alu instid0(VALU_DEP_2)
	v_cndmask_b32_e32 v69, 0x7f800001, v69, vcc_lo
; %bb.4689:                             ;   in Loop: Header=BB2_4512 Depth=2
	s_or_b32 exec_lo, exec_lo, s41
.LBB2_4690:                             ;   in Loop: Header=BB2_4512 Depth=2
	s_delay_alu instid0(SALU_CYCLE_1)
	s_or_b32 exec_lo, exec_lo, s14
.LBB2_4691:                             ;   in Loop: Header=BB2_4512 Depth=2
	s_delay_alu instid0(SALU_CYCLE_1) | instskip(NEXT) | instid1(VALU_DEP_1)
	s_or_b32 exec_lo, exec_lo, s7
	v_dual_max_num_f32 v17, v69, v69 :: v_dual_max_num_f32 v36, v36, v36
	s_delay_alu instid0(VALU_DEP_1)
	v_min_num_f32_e32 v69, v36, v17
.LBB2_4692:                             ;   in Loop: Header=BB2_4512 Depth=2
	s_wait_loadcnt_dscnt 0x505
	s_delay_alu instid0(VALU_DEP_1) | instskip(SKIP_2) | instid1(VALU_DEP_2)
	v_and_b32_e32 v102, 0x7f800000, v69
	v_mov_b32_e32 v103, v37
	v_and_b32_e32 v36, 0x7fffff, v69
	v_cmp_ne_u64_e32 vcc_lo, 0x7f800000, v[102:103]
                                        ; implicit-def: $vgpr103
	s_and_saveexec_b32 s7, vcc_lo
	s_delay_alu instid0(SALU_CYCLE_1)
	s_xor_b32 s14, exec_lo, s7
	s_cbranch_execz .LBB2_4710
; %bb.4693:                             ;   in Loop: Header=BB2_4512 Depth=2
	v_and_b32_e32 v102, 0x7fffffff, v69
	v_dual_mov_b32 v103, v37 :: v_dual_lshrrev_b32 v17, 24, v69
	s_delay_alu instid0(VALU_DEP_1) | instskip(NEXT) | instid1(VALU_DEP_2)
	v_cmp_gt_u64_e32 vcc_lo, 0x47600001, v[102:103]
	v_and_b32_e32 v17, 0x80, v17
                                        ; implicit-def: $vgpr103
	s_and_saveexec_b32 s7, vcc_lo
	s_delay_alu instid0(SALU_CYCLE_1)
	s_xor_b32 s41, exec_lo, s7
	s_cbranch_execz .LBB2_4707
; %bb.4694:                             ;   in Loop: Header=BB2_4512 Depth=2
	v_mov_b32_e32 v103, 0
	s_mov_b32 s42, exec_lo
	v_cmpx_ne_u32_e32 0, v69
	s_cbranch_execz .LBB2_4706
; %bb.4695:                             ;   in Loop: Header=BB2_4512 Depth=2
	v_bfe_u32 v69, v69, 23, 8
	v_or_b32_e32 v83, 0x800000, v36
	s_delay_alu instid0(VALU_DEP_2) | instskip(SKIP_1) | instid1(VALU_DEP_2)
	v_sub_nc_u32_e32 v71, 0x71, v69
	v_cmp_gt_u32_e32 vcc_lo, 0x72, v69
	v_cndmask_b32_e32 v71, 0, v71, vcc_lo
	v_cmp_eq_u32_e32 vcc_lo, 0, v69
	s_delay_alu instid0(VALU_DEP_2) | instskip(NEXT) | instid1(VALU_DEP_1)
	v_cndmask_b32_e64 v71, v71, 0x70, vcc_lo
	v_dual_cndmask_b32 v36, v83, v36 :: v_dual_add_nc_u32 v81, 21, v71
	s_delay_alu instid0(VALU_DEP_1) | instskip(SKIP_1) | instid1(VALU_DEP_1)
	v_lshlrev_b64_e64 v[102:103], v81, -1
	v_add_nc_u32_e32 v81, 20, v71
	v_lshlrev_b64_e64 v[112:113], v81, 1
	s_delay_alu instid0(VALU_DEP_3) | instskip(NEXT) | instid1(VALU_DEP_4)
	v_bfi_b32 v117, v103, 0, 0
	v_bfi_b32 v116, v102, 0, v36
	v_lshrrev_b64 v[102:103], v71, v[36:37]
	s_delay_alu instid0(VALU_DEP_2) | instskip(NEXT) | instid1(VALU_DEP_2)
	v_cmp_eq_u64_e64 s7, v[116:117], v[112:113]
	v_mov_b64_e32 v[112:113], v[102:103]
	s_and_saveexec_b32 s43, s7
; %bb.4696:                             ;   in Loop: Header=BB2_4512 Depth=2
	v_bfe_u32 v36, v102, 21, 1
	s_delay_alu instid0(VALU_DEP_1) | instskip(NEXT) | instid1(VALU_DEP_1)
	v_add_nc_u64_e32 v[112:113], v[102:103], v[36:37]
	v_add_nc_u64_e32 v[112:113], -1, v[112:113]
; %bb.4697:                             ;   in Loop: Header=BB2_4512 Depth=2
	s_or_b32 exec_lo, exec_lo, s43
	v_add_nc_u32_e32 v36, 0xffffff81, v69
	v_lshrrev_b32_e32 v69, 23, v102
	s_mov_b32 s7, exec_lo
	s_delay_alu instid0(VALU_DEP_2) | instskip(NEXT) | instid1(VALU_DEP_1)
	v_cndmask_b32_e64 v36, v36, 0xffffff82, vcc_lo
	v_add3_u32 v71, v71, v36, v69
	v_and_b32_e32 v36, 0x1fffff, v112
                                        ; implicit-def: $vgpr69
	s_delay_alu instid0(VALU_DEP_1) | instskip(NEXT) | instid1(VALU_DEP_1)
	v_dual_add_nc_u32 v81, 14, v71 :: v_dual_add_nc_u32 v36, v36, v102
                                        ; implicit-def: $vgpr102_vgpr103
	v_cmpx_ne_u32_e32 0, v81
	s_xor_b32 s7, exec_lo, s7
; %bb.4698:                             ;   in Loop: Header=BB2_4512 Depth=2
	s_delay_alu instid0(VALU_DEP_2) | instskip(SKIP_2) | instid1(VALU_DEP_2)
	v_cmp_lt_u64_e32 vcc_lo, 0xffffff, v[36:37]
	v_add_nc_u32_e32 v69, 15, v71
	v_cndmask_b32_e64 v71, 0, 1, vcc_lo
	v_cndmask_b32_e32 v69, v81, v69, vcc_lo
	s_delay_alu instid0(VALU_DEP_2)
	v_lshrrev_b64 v[102:103], v71, v[36:37]
; %bb.4699:                             ;   in Loop: Header=BB2_4512 Depth=2
	s_and_not1_saveexec_b32 s7, s7
; %bb.4700:                             ;   in Loop: Header=BB2_4512 Depth=2
	v_mov_b64_e32 v[102:103], v[36:37]
	v_bfe_u32 v69, v36, 23, 1
; %bb.4701:                             ;   in Loop: Header=BB2_4512 Depth=2
	s_or_b32 exec_lo, exec_lo, s7
	s_delay_alu instid0(VALU_DEP_2) | instskip(NEXT) | instid1(VALU_DEP_2)
	v_lshrrev_b64 v[102:103], 21, v[102:103]
	v_cmp_gt_i32_e32 vcc_lo, 32, v69
	v_cmp_ne_u32_e64 s7, 0, v69
	s_delay_alu instid0(VALU_DEP_3) | instskip(NEXT) | instid1(VALU_DEP_1)
	v_dual_cndmask_b32 v103, 0, v103 :: v_dual_cndmask_b32 v102, 3, v102
	v_cmp_ne_u64_e32 vcc_lo, 0, v[102:103]
                                        ; implicit-def: $vgpr103
	s_or_b32 s7, s7, vcc_lo
	s_delay_alu instid0(SALU_CYCLE_1) | instskip(NEXT) | instid1(SALU_CYCLE_1)
	s_and_saveexec_b32 s43, s7
	s_xor_b32 s7, exec_lo, s43
; %bb.4702:                             ;   in Loop: Header=BB2_4512 Depth=2
	v_min_i32_e32 v36, 31, v69
	s_delay_alu instid0(VALU_DEP_1) | instskip(NEXT) | instid1(VALU_DEP_1)
	v_lshl_or_b32 v17, v36, 2, v17
	v_and_or_b32 v103, v102, 3, v17
                                        ; implicit-def: $vgpr17
; %bb.4703:                             ;   in Loop: Header=BB2_4512 Depth=2
	s_and_not1_saveexec_b32 s7, s7
; %bb.4704:                             ;   in Loop: Header=BB2_4512 Depth=2
	v_mov_b32_e32 v103, v17
; %bb.4705:                             ;   in Loop: Header=BB2_4512 Depth=2
	s_or_b32 exec_lo, exec_lo, s7
.LBB2_4706:                             ;   in Loop: Header=BB2_4512 Depth=2
	s_delay_alu instid0(SALU_CYCLE_1)
	s_or_b32 exec_lo, exec_lo, s42
                                        ; implicit-def: $vgpr17
.LBB2_4707:                             ;   in Loop: Header=BB2_4512 Depth=2
	s_and_not1_saveexec_b32 s7, s41
; %bb.4708:                             ;   in Loop: Header=BB2_4512 Depth=2
	v_or_b32_e32 v103, 0x7b, v17
; %bb.4709:                             ;   in Loop: Header=BB2_4512 Depth=2
	s_or_b32 exec_lo, exec_lo, s7
                                        ; implicit-def: $vgpr69
.LBB2_4710:                             ;   in Loop: Header=BB2_4512 Depth=2
	s_and_not1_saveexec_b32 s7, s14
	s_cbranch_execz .LBB2_4716
; %bb.4711:                             ;   in Loop: Header=BB2_4512 Depth=2
	s_mov_b32 s14, exec_lo
                                        ; implicit-def: $vgpr103
	v_cmpx_ne_u64_e32 0, v[36:37]
	s_xor_b32 s14, exec_lo, s14
; %bb.4712:                             ;   in Loop: Header=BB2_4512 Depth=2
	v_lshrrev_b32_e32 v17, 24, v69
                                        ; implicit-def: $vgpr69
	s_delay_alu instid0(VALU_DEP_1)
	v_or_b32_e32 v103, 0x7f, v17
; %bb.4713:                             ;   in Loop: Header=BB2_4512 Depth=2
	s_and_not1_saveexec_b32 s14, s14
; %bb.4714:                             ;   in Loop: Header=BB2_4512 Depth=2
	v_cmp_lt_i32_e32 vcc_lo, -1, v69
	v_cndmask_b32_e64 v103, -4, 0x7c, vcc_lo
; %bb.4715:                             ;   in Loop: Header=BB2_4512 Depth=2
	s_or_b32 exec_lo, exec_lo, s14
.LBB2_4716:                             ;   in Loop: Header=BB2_4512 Depth=2
	s_delay_alu instid0(SALU_CYCLE_1)
	s_or_b32 exec_lo, exec_lo, s7
	v_and_b32_e32 v17, 0xff, v100
	v_cmp_ne_u16_e64 s7, 0, v100
	s_and_not1_b32 vcc_lo, exec_lo, s13
	s_mov_b32 s14, -1
                                        ; implicit-def: $vgpr69
	s_cbranch_vccnz .LBB2_4738
; %bb.4717:                             ;   in Loop: Header=BB2_4512 Depth=2
	v_dual_mov_b32 v69, 0 :: v_dual_mov_b32 v36, 0
	s_and_saveexec_b32 s14, s7
	s_cbranch_execz .LBB2_4727
; %bb.4718:                             ;   in Loop: Header=BB2_4512 Depth=2
	v_bfrev_b32_e32 v36, 1
	s_mov_b32 s41, exec_lo
	v_cmpx_ne_u16_e32 0xff80, v100
	s_cbranch_execz .LBB2_4726
; %bb.4719:                             ;   in Loop: Header=BB2_4512 Depth=2
	v_and_b32_e32 v36, 0x7c, v17
	v_and_b32_e32 v71, 3, v17
	s_delay_alu instid0(VALU_DEP_2) | instskip(SKIP_1) | instid1(SALU_CYCLE_1)
	v_cmp_ne_u32_e32 vcc_lo, 0x7c, v36
                                        ; implicit-def: $vgpr36
	s_and_saveexec_b32 s42, vcc_lo
	s_xor_b32 s42, exec_lo, s42
	s_cbranch_execz .LBB2_4723
; %bb.4720:                             ;   in Loop: Header=BB2_4512 Depth=2
	v_bfe_u32 v36, v17, 2, 5
	s_mov_b32 s43, exec_lo
	s_delay_alu instid0(VALU_DEP_1)
	v_cmpx_eq_u32_e32 0, v36
	s_cbranch_execz .LBB2_4722
; %bb.4721:                             ;   in Loop: Header=BB2_4512 Depth=2
	v_clz_i32_u32_e32 v36, v71
	s_delay_alu instid0(VALU_DEP_1) | instskip(SKIP_1) | instid1(VALU_DEP_2)
	v_min_u32_e32 v36, 32, v36
	v_mov_b32_e32 v101, v37
	v_subrev_nc_u32_e32 v71, 29, v36
	v_sub_nc_u32_e32 v36, 30, v36
	s_delay_alu instid0(VALU_DEP_2) | instskip(NEXT) | instid1(VALU_DEP_1)
	v_lshlrev_b64_e32 v[112:113], v71, v[100:101]
	v_and_b32_e32 v71, 3, v112
.LBB2_4722:                             ;   in Loop: Header=BB2_4512 Depth=2
	s_or_b32 exec_lo, exec_lo, s43
	v_bfe_i32 v81, v100, 0, 16
	s_delay_alu instid0(VALU_DEP_1) | instskip(NEXT) | instid1(VALU_DEP_1)
	v_and_b32_e32 v81, 0x80000000, v81
	v_lshl_add_u32 v36, v36, 23, v81
	s_delay_alu instid0(VALU_DEP_1) | instskip(NEXT) | instid1(VALU_DEP_1)
	v_lshl_or_b32 v36, v71, 21, v36
                                        ; implicit-def: $vgpr71
	v_add_nc_u32_e32 v36, 0x38000000, v36
.LBB2_4723:                             ;   in Loop: Header=BB2_4512 Depth=2
	s_and_not1_saveexec_b32 s42, s42
; %bb.4724:                             ;   in Loop: Header=BB2_4512 Depth=2
	v_cmp_lt_i16_e32 vcc_lo, -1, v100
	v_cndmask_b32_e32 v36, 0xff800000, v45, vcc_lo
	v_cmp_eq_u32_e32 vcc_lo, 0, v71
	s_delay_alu instid0(VALU_DEP_2)
	v_cndmask_b32_e32 v36, 0x7f800001, v36, vcc_lo
; %bb.4725:                             ;   in Loop: Header=BB2_4512 Depth=2
	s_or_b32 exec_lo, exec_lo, s42
.LBB2_4726:                             ;   in Loop: Header=BB2_4512 Depth=2
	s_delay_alu instid0(SALU_CYCLE_1)
	s_or_b32 exec_lo, exec_lo, s41
.LBB2_4727:                             ;   in Loop: Header=BB2_4512 Depth=2
	s_delay_alu instid0(SALU_CYCLE_1) | instskip(NEXT) | instid1(SALU_CYCLE_1)
	s_or_b32 exec_lo, exec_lo, s14
	s_mov_b32 s14, exec_lo
	s_wait_loadcnt_dscnt 0x404
	v_cmpx_ne_u16_e32 0, v98
	s_cbranch_execz .LBB2_4737
; %bb.4728:                             ;   in Loop: Header=BB2_4512 Depth=2
	v_bfrev_b32_e32 v69, 1
	s_mov_b32 s41, exec_lo
	v_cmpx_ne_u16_e32 0xff80, v98
	s_cbranch_execz .LBB2_4736
; %bb.4729:                             ;   in Loop: Header=BB2_4512 Depth=2
	v_and_b32_e32 v69, 0x7c, v98
	v_and_b32_e32 v71, 3, v98
	s_delay_alu instid0(VALU_DEP_2) | instskip(SKIP_1) | instid1(SALU_CYCLE_1)
	v_cmp_ne_u32_e32 vcc_lo, 0x7c, v69
                                        ; implicit-def: $vgpr69
	s_and_saveexec_b32 s42, vcc_lo
	s_xor_b32 s42, exec_lo, s42
	s_cbranch_execz .LBB2_4733
; %bb.4730:                             ;   in Loop: Header=BB2_4512 Depth=2
	v_and_b32_e32 v69, 0xff, v98
	s_mov_b32 s43, exec_lo
	s_delay_alu instid0(VALU_DEP_1) | instskip(NEXT) | instid1(VALU_DEP_1)
	v_bfe_u32 v69, v69, 2, 5
	v_cmpx_eq_u32_e32 0, v69
	s_cbranch_execz .LBB2_4732
; %bb.4731:                             ;   in Loop: Header=BB2_4512 Depth=2
	v_clz_i32_u32_e32 v69, v71
	s_delay_alu instid0(VALU_DEP_1) | instskip(SKIP_1) | instid1(VALU_DEP_2)
	v_min_u32_e32 v69, 32, v69
	v_mov_b32_e32 v99, v37
	v_subrev_nc_u32_e32 v71, 29, v69
	v_sub_nc_u32_e32 v69, 30, v69
	s_delay_alu instid0(VALU_DEP_2) | instskip(NEXT) | instid1(VALU_DEP_1)
	v_lshlrev_b64_e32 v[112:113], v71, v[98:99]
	v_and_b32_e32 v71, 3, v112
.LBB2_4732:                             ;   in Loop: Header=BB2_4512 Depth=2
	s_or_b32 exec_lo, exec_lo, s43
	v_bfe_i32 v81, v98, 0, 16
	s_delay_alu instid0(VALU_DEP_1) | instskip(NEXT) | instid1(VALU_DEP_1)
	v_and_b32_e32 v81, 0x80000000, v81
	v_lshl_add_u32 v69, v69, 23, v81
	s_delay_alu instid0(VALU_DEP_1) | instskip(NEXT) | instid1(VALU_DEP_1)
	v_lshl_or_b32 v69, v71, 21, v69
                                        ; implicit-def: $vgpr71
	v_add_nc_u32_e32 v69, 0x38000000, v69
.LBB2_4733:                             ;   in Loop: Header=BB2_4512 Depth=2
	s_and_not1_saveexec_b32 s42, s42
; %bb.4734:                             ;   in Loop: Header=BB2_4512 Depth=2
	v_cmp_lt_i16_e32 vcc_lo, -1, v98
	v_cndmask_b32_e32 v69, 0xff800000, v45, vcc_lo
	v_cmp_eq_u32_e32 vcc_lo, 0, v71
	s_delay_alu instid0(VALU_DEP_2)
	v_cndmask_b32_e32 v69, 0x7f800001, v69, vcc_lo
; %bb.4735:                             ;   in Loop: Header=BB2_4512 Depth=2
	s_or_b32 exec_lo, exec_lo, s42
.LBB2_4736:                             ;   in Loop: Header=BB2_4512 Depth=2
	s_delay_alu instid0(SALU_CYCLE_1)
	s_or_b32 exec_lo, exec_lo, s41
.LBB2_4737:                             ;   in Loop: Header=BB2_4512 Depth=2
	s_delay_alu instid0(SALU_CYCLE_1) | instskip(NEXT) | instid1(VALU_DEP_1)
	s_or_b32 exec_lo, exec_lo, s14
	v_dual_max_num_f32 v69, v69, v69 :: v_dual_max_num_f32 v36, v36, v36
	s_mov_b32 s14, 0
	s_delay_alu instid0(VALU_DEP_1)
	v_max_num_f32_e32 v69, v36, v69
.LBB2_4738:                             ;   in Loop: Header=BB2_4512 Depth=2
	s_and_b32 vcc_lo, exec_lo, s14
	s_cbranch_vccz .LBB2_4760
; %bb.4739:                             ;   in Loop: Header=BB2_4512 Depth=2
	v_dual_mov_b32 v69, 0 :: v_dual_mov_b32 v36, 0
	s_and_saveexec_b32 s14, s7
	s_cbranch_execz .LBB2_4749
; %bb.4740:                             ;   in Loop: Header=BB2_4512 Depth=2
	v_bfrev_b32_e32 v36, 1
	s_mov_b32 s7, exec_lo
	v_cmpx_ne_u16_e32 0xff80, v100
	s_cbranch_execz .LBB2_4748
; %bb.4741:                             ;   in Loop: Header=BB2_4512 Depth=2
	v_and_b32_e32 v36, 0x7c, v17
	v_and_b32_e32 v71, 3, v17
	s_delay_alu instid0(VALU_DEP_2) | instskip(SKIP_1) | instid1(SALU_CYCLE_1)
	v_cmp_ne_u32_e32 vcc_lo, 0x7c, v36
                                        ; implicit-def: $vgpr36
	s_and_saveexec_b32 s41, vcc_lo
	s_xor_b32 s41, exec_lo, s41
	s_cbranch_execz .LBB2_4745
; %bb.4742:                             ;   in Loop: Header=BB2_4512 Depth=2
	v_bfe_u32 v17, v17, 2, 5
	s_mov_b32 s42, exec_lo
	s_delay_alu instid0(VALU_DEP_1)
	v_cmpx_eq_u32_e32 0, v17
	s_cbranch_execz .LBB2_4744
; %bb.4743:                             ;   in Loop: Header=BB2_4512 Depth=2
	v_clz_i32_u32_e32 v17, v71
	s_delay_alu instid0(VALU_DEP_1) | instskip(SKIP_1) | instid1(VALU_DEP_2)
	v_min_u32_e32 v17, 32, v17
	v_mov_b32_e32 v101, v37
	v_subrev_nc_u32_e32 v36, 29, v17
	v_sub_nc_u32_e32 v17, 30, v17
	s_delay_alu instid0(VALU_DEP_2) | instskip(NEXT) | instid1(VALU_DEP_1)
	v_lshlrev_b64_e32 v[112:113], v36, v[100:101]
	v_and_b32_e32 v71, 3, v112
.LBB2_4744:                             ;   in Loop: Header=BB2_4512 Depth=2
	s_or_b32 exec_lo, exec_lo, s42
	v_bfe_i32 v36, v100, 0, 16
                                        ; implicit-def: $vgpr100
	s_delay_alu instid0(VALU_DEP_1) | instskip(NEXT) | instid1(VALU_DEP_1)
	v_and_b32_e32 v36, 0x80000000, v36
	v_lshl_add_u32 v17, v17, 23, v36
	s_delay_alu instid0(VALU_DEP_1) | instskip(NEXT) | instid1(VALU_DEP_1)
	v_lshl_or_b32 v17, v71, 21, v17
                                        ; implicit-def: $vgpr71
	v_add_nc_u32_e32 v36, 0x38000000, v17
.LBB2_4745:                             ;   in Loop: Header=BB2_4512 Depth=2
	s_and_not1_saveexec_b32 s41, s41
; %bb.4746:                             ;   in Loop: Header=BB2_4512 Depth=2
	v_cmp_lt_i16_e32 vcc_lo, -1, v100
	v_cndmask_b32_e32 v17, 0xff800000, v45, vcc_lo
	v_cmp_eq_u32_e32 vcc_lo, 0, v71
	s_delay_alu instid0(VALU_DEP_2)
	v_cndmask_b32_e32 v36, 0x7f800001, v17, vcc_lo
; %bb.4747:                             ;   in Loop: Header=BB2_4512 Depth=2
	s_or_b32 exec_lo, exec_lo, s41
.LBB2_4748:                             ;   in Loop: Header=BB2_4512 Depth=2
	s_delay_alu instid0(SALU_CYCLE_1)
	s_or_b32 exec_lo, exec_lo, s7
.LBB2_4749:                             ;   in Loop: Header=BB2_4512 Depth=2
	s_delay_alu instid0(SALU_CYCLE_1) | instskip(NEXT) | instid1(SALU_CYCLE_1)
	s_or_b32 exec_lo, exec_lo, s14
	s_mov_b32 s7, exec_lo
	s_wait_loadcnt_dscnt 0x404
	v_cmpx_ne_u16_e32 0, v98
	s_cbranch_execz .LBB2_4759
; %bb.4750:                             ;   in Loop: Header=BB2_4512 Depth=2
	v_bfrev_b32_e32 v69, 1
	s_mov_b32 s14, exec_lo
	v_cmpx_ne_u16_e32 0xff80, v98
	s_cbranch_execz .LBB2_4758
; %bb.4751:                             ;   in Loop: Header=BB2_4512 Depth=2
	v_and_b32_e32 v69, 0x7c, v98
	v_and_b32_e32 v17, 3, v98
	s_delay_alu instid0(VALU_DEP_2) | instskip(SKIP_1) | instid1(SALU_CYCLE_1)
	v_cmp_ne_u32_e32 vcc_lo, 0x7c, v69
                                        ; implicit-def: $vgpr69
	s_and_saveexec_b32 s41, vcc_lo
	s_xor_b32 s41, exec_lo, s41
	s_cbranch_execz .LBB2_4755
; %bb.4752:                             ;   in Loop: Header=BB2_4512 Depth=2
	v_and_b32_e32 v69, 0xff, v98
	s_mov_b32 s42, exec_lo
	s_delay_alu instid0(VALU_DEP_1) | instskip(NEXT) | instid1(VALU_DEP_1)
	v_bfe_u32 v69, v69, 2, 5
	v_cmpx_eq_u32_e32 0, v69
; %bb.4753:                             ;   in Loop: Header=BB2_4512 Depth=2
	v_clz_i32_u32_e32 v17, v17
	s_delay_alu instid0(VALU_DEP_1) | instskip(SKIP_1) | instid1(VALU_DEP_2)
	v_min_u32_e32 v17, 32, v17
	v_mov_b32_e32 v99, v37
	v_subrev_nc_u32_e32 v69, 29, v17
	s_delay_alu instid0(VALU_DEP_1) | instskip(NEXT) | instid1(VALU_DEP_1)
	v_lshlrev_b64_e32 v[100:101], v69, v[98:99]
	v_dual_sub_nc_u32 v69, 30, v17 :: v_dual_bitop2_b32 v17, 3, v100 bitop3:0x40
; %bb.4754:                             ;   in Loop: Header=BB2_4512 Depth=2
	s_or_b32 exec_lo, exec_lo, s42
	v_bfe_i32 v71, v98, 0, 16
                                        ; implicit-def: $vgpr98
	s_delay_alu instid0(VALU_DEP_1) | instskip(NEXT) | instid1(VALU_DEP_1)
	v_and_b32_e32 v71, 0x80000000, v71
	v_lshl_add_u32 v69, v69, 23, v71
	s_delay_alu instid0(VALU_DEP_1) | instskip(NEXT) | instid1(VALU_DEP_1)
	v_lshl_or_b32 v17, v17, 21, v69
	v_add_nc_u32_e32 v69, 0x38000000, v17
                                        ; implicit-def: $vgpr17
.LBB2_4755:                             ;   in Loop: Header=BB2_4512 Depth=2
	s_and_not1_saveexec_b32 s41, s41
; %bb.4756:                             ;   in Loop: Header=BB2_4512 Depth=2
	v_cmp_lt_i16_e32 vcc_lo, -1, v98
	v_cndmask_b32_e32 v69, 0xff800000, v45, vcc_lo
	v_cmp_eq_u32_e32 vcc_lo, 0, v17
	s_delay_alu instid0(VALU_DEP_2)
	v_cndmask_b32_e32 v69, 0x7f800001, v69, vcc_lo
; %bb.4757:                             ;   in Loop: Header=BB2_4512 Depth=2
	s_or_b32 exec_lo, exec_lo, s41
.LBB2_4758:                             ;   in Loop: Header=BB2_4512 Depth=2
	s_delay_alu instid0(SALU_CYCLE_1)
	s_or_b32 exec_lo, exec_lo, s14
.LBB2_4759:                             ;   in Loop: Header=BB2_4512 Depth=2
	s_delay_alu instid0(SALU_CYCLE_1) | instskip(NEXT) | instid1(VALU_DEP_1)
	s_or_b32 exec_lo, exec_lo, s7
	v_dual_max_num_f32 v17, v69, v69 :: v_dual_max_num_f32 v36, v36, v36
	s_delay_alu instid0(VALU_DEP_1)
	v_min_num_f32_e32 v69, v36, v17
.LBB2_4760:                             ;   in Loop: Header=BB2_4512 Depth=2
	s_wait_loadcnt_dscnt 0x404
	s_delay_alu instid0(VALU_DEP_1) | instskip(SKIP_2) | instid1(VALU_DEP_2)
	v_and_b32_e32 v98, 0x7f800000, v69
	v_mov_b32_e32 v99, v37
	v_and_b32_e32 v36, 0x7fffff, v69
	v_cmp_ne_u64_e32 vcc_lo, 0x7f800000, v[98:99]
                                        ; implicit-def: $vgpr99
	s_and_saveexec_b32 s7, vcc_lo
	s_delay_alu instid0(SALU_CYCLE_1)
	s_xor_b32 s14, exec_lo, s7
	s_cbranch_execz .LBB2_4778
; %bb.4761:                             ;   in Loop: Header=BB2_4512 Depth=2
	v_and_b32_e32 v98, 0x7fffffff, v69
	v_dual_mov_b32 v99, v37 :: v_dual_lshrrev_b32 v17, 24, v69
	s_delay_alu instid0(VALU_DEP_1) | instskip(NEXT) | instid1(VALU_DEP_2)
	v_cmp_gt_u64_e32 vcc_lo, 0x47600001, v[98:99]
	v_and_b32_e32 v17, 0x80, v17
                                        ; implicit-def: $vgpr99
	s_and_saveexec_b32 s7, vcc_lo
	s_delay_alu instid0(SALU_CYCLE_1)
	s_xor_b32 s41, exec_lo, s7
	s_cbranch_execz .LBB2_4775
; %bb.4762:                             ;   in Loop: Header=BB2_4512 Depth=2
	v_mov_b32_e32 v99, 0
	s_mov_b32 s42, exec_lo
	v_cmpx_ne_u32_e32 0, v69
	s_cbranch_execz .LBB2_4774
; %bb.4763:                             ;   in Loop: Header=BB2_4512 Depth=2
	v_bfe_u32 v69, v69, 23, 8
	v_or_b32_e32 v83, 0x800000, v36
	s_delay_alu instid0(VALU_DEP_2) | instskip(SKIP_1) | instid1(VALU_DEP_2)
	v_sub_nc_u32_e32 v71, 0x71, v69
	v_cmp_gt_u32_e32 vcc_lo, 0x72, v69
	v_cndmask_b32_e32 v71, 0, v71, vcc_lo
	v_cmp_eq_u32_e32 vcc_lo, 0, v69
	s_delay_alu instid0(VALU_DEP_2) | instskip(NEXT) | instid1(VALU_DEP_1)
	v_cndmask_b32_e64 v71, v71, 0x70, vcc_lo
	v_dual_cndmask_b32 v36, v83, v36 :: v_dual_add_nc_u32 v81, 21, v71
	s_delay_alu instid0(VALU_DEP_1) | instskip(SKIP_1) | instid1(VALU_DEP_1)
	v_lshlrev_b64_e64 v[98:99], v81, -1
	v_add_nc_u32_e32 v81, 20, v71
	v_lshlrev_b64_e64 v[100:101], v81, 1
	s_delay_alu instid0(VALU_DEP_3) | instskip(NEXT) | instid1(VALU_DEP_4)
	v_bfi_b32 v113, v99, 0, 0
	v_bfi_b32 v112, v98, 0, v36
	v_lshrrev_b64 v[98:99], v71, v[36:37]
	s_delay_alu instid0(VALU_DEP_2) | instskip(NEXT) | instid1(VALU_DEP_2)
	v_cmp_eq_u64_e64 s7, v[112:113], v[100:101]
	v_mov_b64_e32 v[100:101], v[98:99]
	s_and_saveexec_b32 s43, s7
; %bb.4764:                             ;   in Loop: Header=BB2_4512 Depth=2
	v_bfe_u32 v36, v98, 21, 1
	s_delay_alu instid0(VALU_DEP_1) | instskip(NEXT) | instid1(VALU_DEP_1)
	v_add_nc_u64_e32 v[100:101], v[98:99], v[36:37]
	v_add_nc_u64_e32 v[100:101], -1, v[100:101]
; %bb.4765:                             ;   in Loop: Header=BB2_4512 Depth=2
	s_or_b32 exec_lo, exec_lo, s43
	v_add_nc_u32_e32 v36, 0xffffff81, v69
	v_lshrrev_b32_e32 v69, 23, v98
	s_mov_b32 s7, exec_lo
	s_delay_alu instid0(VALU_DEP_2) | instskip(NEXT) | instid1(VALU_DEP_1)
	v_cndmask_b32_e64 v36, v36, 0xffffff82, vcc_lo
	v_add3_u32 v71, v71, v36, v69
	v_and_b32_e32 v36, 0x1fffff, v100
                                        ; implicit-def: $vgpr69
	s_delay_alu instid0(VALU_DEP_1) | instskip(NEXT) | instid1(VALU_DEP_1)
	v_dual_add_nc_u32 v81, 14, v71 :: v_dual_add_nc_u32 v36, v36, v98
                                        ; implicit-def: $vgpr98_vgpr99
	v_cmpx_ne_u32_e32 0, v81
	s_xor_b32 s7, exec_lo, s7
; %bb.4766:                             ;   in Loop: Header=BB2_4512 Depth=2
	s_delay_alu instid0(VALU_DEP_2) | instskip(SKIP_2) | instid1(VALU_DEP_2)
	v_cmp_lt_u64_e32 vcc_lo, 0xffffff, v[36:37]
	v_add_nc_u32_e32 v69, 15, v71
	v_cndmask_b32_e64 v71, 0, 1, vcc_lo
	v_cndmask_b32_e32 v69, v81, v69, vcc_lo
	s_delay_alu instid0(VALU_DEP_2)
	v_lshrrev_b64 v[98:99], v71, v[36:37]
; %bb.4767:                             ;   in Loop: Header=BB2_4512 Depth=2
	s_and_not1_saveexec_b32 s7, s7
; %bb.4768:                             ;   in Loop: Header=BB2_4512 Depth=2
	v_mov_b64_e32 v[98:99], v[36:37]
	v_bfe_u32 v69, v36, 23, 1
; %bb.4769:                             ;   in Loop: Header=BB2_4512 Depth=2
	s_or_b32 exec_lo, exec_lo, s7
	s_delay_alu instid0(VALU_DEP_2) | instskip(NEXT) | instid1(VALU_DEP_2)
	v_lshrrev_b64 v[98:99], 21, v[98:99]
	v_cmp_gt_i32_e32 vcc_lo, 32, v69
	v_cmp_ne_u32_e64 s7, 0, v69
	s_delay_alu instid0(VALU_DEP_3) | instskip(NEXT) | instid1(VALU_DEP_1)
	v_dual_cndmask_b32 v99, 0, v99 :: v_dual_cndmask_b32 v98, 3, v98
	v_cmp_ne_u64_e32 vcc_lo, 0, v[98:99]
                                        ; implicit-def: $vgpr99
	s_or_b32 s7, s7, vcc_lo
	s_delay_alu instid0(SALU_CYCLE_1) | instskip(NEXT) | instid1(SALU_CYCLE_1)
	s_and_saveexec_b32 s43, s7
	s_xor_b32 s7, exec_lo, s43
; %bb.4770:                             ;   in Loop: Header=BB2_4512 Depth=2
	v_min_i32_e32 v36, 31, v69
	s_delay_alu instid0(VALU_DEP_1) | instskip(NEXT) | instid1(VALU_DEP_1)
	v_lshl_or_b32 v17, v36, 2, v17
	v_and_or_b32 v99, v98, 3, v17
                                        ; implicit-def: $vgpr17
; %bb.4771:                             ;   in Loop: Header=BB2_4512 Depth=2
	s_and_not1_saveexec_b32 s7, s7
; %bb.4772:                             ;   in Loop: Header=BB2_4512 Depth=2
	v_mov_b32_e32 v99, v17
; %bb.4773:                             ;   in Loop: Header=BB2_4512 Depth=2
	s_or_b32 exec_lo, exec_lo, s7
.LBB2_4774:                             ;   in Loop: Header=BB2_4512 Depth=2
	s_delay_alu instid0(SALU_CYCLE_1)
	s_or_b32 exec_lo, exec_lo, s42
                                        ; implicit-def: $vgpr17
.LBB2_4775:                             ;   in Loop: Header=BB2_4512 Depth=2
	s_and_not1_saveexec_b32 s7, s41
; %bb.4776:                             ;   in Loop: Header=BB2_4512 Depth=2
	v_or_b32_e32 v99, 0x7b, v17
; %bb.4777:                             ;   in Loop: Header=BB2_4512 Depth=2
	s_or_b32 exec_lo, exec_lo, s7
                                        ; implicit-def: $vgpr69
.LBB2_4778:                             ;   in Loop: Header=BB2_4512 Depth=2
	s_and_not1_saveexec_b32 s7, s14
	s_cbranch_execz .LBB2_4784
; %bb.4779:                             ;   in Loop: Header=BB2_4512 Depth=2
	s_mov_b32 s14, exec_lo
                                        ; implicit-def: $vgpr99
	v_cmpx_ne_u64_e32 0, v[36:37]
	s_xor_b32 s14, exec_lo, s14
; %bb.4780:                             ;   in Loop: Header=BB2_4512 Depth=2
	v_lshrrev_b32_e32 v17, 24, v69
                                        ; implicit-def: $vgpr69
	s_delay_alu instid0(VALU_DEP_1)
	v_or_b32_e32 v99, 0x7f, v17
; %bb.4781:                             ;   in Loop: Header=BB2_4512 Depth=2
	s_and_not1_saveexec_b32 s14, s14
; %bb.4782:                             ;   in Loop: Header=BB2_4512 Depth=2
	v_cmp_lt_i32_e32 vcc_lo, -1, v69
	v_cndmask_b32_e64 v99, -4, 0x7c, vcc_lo
; %bb.4783:                             ;   in Loop: Header=BB2_4512 Depth=2
	s_or_b32 exec_lo, exec_lo, s14
.LBB2_4784:                             ;   in Loop: Header=BB2_4512 Depth=2
	s_delay_alu instid0(SALU_CYCLE_1)
	s_or_b32 exec_lo, exec_lo, s7
	v_and_b32_e32 v17, 0xff, v96
	v_cmp_ne_u16_e64 s7, 0, v96
	s_and_not1_b32 vcc_lo, exec_lo, s13
	s_mov_b32 s14, -1
                                        ; implicit-def: $vgpr69
	s_cbranch_vccnz .LBB2_4806
; %bb.4785:                             ;   in Loop: Header=BB2_4512 Depth=2
	v_dual_mov_b32 v69, 0 :: v_dual_mov_b32 v36, 0
	s_and_saveexec_b32 s14, s7
	s_cbranch_execz .LBB2_4795
; %bb.4786:                             ;   in Loop: Header=BB2_4512 Depth=2
	v_bfrev_b32_e32 v36, 1
	s_mov_b32 s41, exec_lo
	v_cmpx_ne_u16_e32 0xff80, v96
	s_cbranch_execz .LBB2_4794
; %bb.4787:                             ;   in Loop: Header=BB2_4512 Depth=2
	v_and_b32_e32 v36, 0x7c, v17
	v_and_b32_e32 v71, 3, v17
	s_delay_alu instid0(VALU_DEP_2) | instskip(SKIP_1) | instid1(SALU_CYCLE_1)
	v_cmp_ne_u32_e32 vcc_lo, 0x7c, v36
                                        ; implicit-def: $vgpr36
	s_and_saveexec_b32 s42, vcc_lo
	s_xor_b32 s42, exec_lo, s42
	s_cbranch_execz .LBB2_4791
; %bb.4788:                             ;   in Loop: Header=BB2_4512 Depth=2
	v_bfe_u32 v36, v17, 2, 5
	s_mov_b32 s43, exec_lo
	s_delay_alu instid0(VALU_DEP_1)
	v_cmpx_eq_u32_e32 0, v36
	s_cbranch_execz .LBB2_4790
; %bb.4789:                             ;   in Loop: Header=BB2_4512 Depth=2
	v_clz_i32_u32_e32 v36, v71
	s_delay_alu instid0(VALU_DEP_1) | instskip(SKIP_1) | instid1(VALU_DEP_2)
	v_min_u32_e32 v36, 32, v36
	v_mov_b32_e32 v97, v37
	v_subrev_nc_u32_e32 v71, 29, v36
	v_sub_nc_u32_e32 v36, 30, v36
	s_delay_alu instid0(VALU_DEP_2) | instskip(NEXT) | instid1(VALU_DEP_1)
	v_lshlrev_b64_e32 v[100:101], v71, v[96:97]
	v_and_b32_e32 v71, 3, v100
.LBB2_4790:                             ;   in Loop: Header=BB2_4512 Depth=2
	s_or_b32 exec_lo, exec_lo, s43
	v_bfe_i32 v81, v96, 0, 16
	s_delay_alu instid0(VALU_DEP_1) | instskip(NEXT) | instid1(VALU_DEP_1)
	v_and_b32_e32 v81, 0x80000000, v81
	v_lshl_add_u32 v36, v36, 23, v81
	s_delay_alu instid0(VALU_DEP_1) | instskip(NEXT) | instid1(VALU_DEP_1)
	v_lshl_or_b32 v36, v71, 21, v36
                                        ; implicit-def: $vgpr71
	v_add_nc_u32_e32 v36, 0x38000000, v36
.LBB2_4791:                             ;   in Loop: Header=BB2_4512 Depth=2
	s_and_not1_saveexec_b32 s42, s42
; %bb.4792:                             ;   in Loop: Header=BB2_4512 Depth=2
	v_cmp_lt_i16_e32 vcc_lo, -1, v96
	v_cndmask_b32_e32 v36, 0xff800000, v45, vcc_lo
	v_cmp_eq_u32_e32 vcc_lo, 0, v71
	s_delay_alu instid0(VALU_DEP_2)
	v_cndmask_b32_e32 v36, 0x7f800001, v36, vcc_lo
; %bb.4793:                             ;   in Loop: Header=BB2_4512 Depth=2
	s_or_b32 exec_lo, exec_lo, s42
.LBB2_4794:                             ;   in Loop: Header=BB2_4512 Depth=2
	s_delay_alu instid0(SALU_CYCLE_1)
	s_or_b32 exec_lo, exec_lo, s41
.LBB2_4795:                             ;   in Loop: Header=BB2_4512 Depth=2
	s_delay_alu instid0(SALU_CYCLE_1) | instskip(NEXT) | instid1(SALU_CYCLE_1)
	s_or_b32 exec_lo, exec_lo, s14
	s_mov_b32 s14, exec_lo
	s_wait_loadcnt_dscnt 0x303
	v_cmpx_ne_u16_e32 0, v86
	s_cbranch_execz .LBB2_4805
; %bb.4796:                             ;   in Loop: Header=BB2_4512 Depth=2
	v_bfrev_b32_e32 v69, 1
	s_mov_b32 s41, exec_lo
	v_cmpx_ne_u16_e32 0xff80, v86
	s_cbranch_execz .LBB2_4804
; %bb.4797:                             ;   in Loop: Header=BB2_4512 Depth=2
	v_and_b32_e32 v69, 0x7c, v86
	v_and_b32_e32 v71, 3, v86
	s_delay_alu instid0(VALU_DEP_2) | instskip(SKIP_1) | instid1(SALU_CYCLE_1)
	v_cmp_ne_u32_e32 vcc_lo, 0x7c, v69
                                        ; implicit-def: $vgpr69
	s_and_saveexec_b32 s42, vcc_lo
	s_xor_b32 s42, exec_lo, s42
	s_cbranch_execz .LBB2_4801
; %bb.4798:                             ;   in Loop: Header=BB2_4512 Depth=2
	v_and_b32_e32 v69, 0xff, v86
	s_mov_b32 s43, exec_lo
	s_delay_alu instid0(VALU_DEP_1) | instskip(NEXT) | instid1(VALU_DEP_1)
	v_bfe_u32 v69, v69, 2, 5
	v_cmpx_eq_u32_e32 0, v69
	s_cbranch_execz .LBB2_4800
; %bb.4799:                             ;   in Loop: Header=BB2_4512 Depth=2
	v_clz_i32_u32_e32 v69, v71
	s_delay_alu instid0(VALU_DEP_1) | instskip(SKIP_1) | instid1(VALU_DEP_2)
	v_min_u32_e32 v69, 32, v69
	v_mov_b32_e32 v87, v37
	v_subrev_nc_u32_e32 v71, 29, v69
	v_sub_nc_u32_e32 v69, 30, v69
	s_delay_alu instid0(VALU_DEP_2) | instskip(NEXT) | instid1(VALU_DEP_1)
	v_lshlrev_b64_e32 v[100:101], v71, v[86:87]
	v_and_b32_e32 v71, 3, v100
.LBB2_4800:                             ;   in Loop: Header=BB2_4512 Depth=2
	s_or_b32 exec_lo, exec_lo, s43
	v_bfe_i32 v81, v86, 0, 16
	s_delay_alu instid0(VALU_DEP_1) | instskip(NEXT) | instid1(VALU_DEP_1)
	v_and_b32_e32 v81, 0x80000000, v81
	v_lshl_add_u32 v69, v69, 23, v81
	s_delay_alu instid0(VALU_DEP_1) | instskip(NEXT) | instid1(VALU_DEP_1)
	v_lshl_or_b32 v69, v71, 21, v69
                                        ; implicit-def: $vgpr71
	v_add_nc_u32_e32 v69, 0x38000000, v69
.LBB2_4801:                             ;   in Loop: Header=BB2_4512 Depth=2
	s_and_not1_saveexec_b32 s42, s42
; %bb.4802:                             ;   in Loop: Header=BB2_4512 Depth=2
	v_cmp_lt_i16_e32 vcc_lo, -1, v86
	v_cndmask_b32_e32 v69, 0xff800000, v45, vcc_lo
	v_cmp_eq_u32_e32 vcc_lo, 0, v71
	s_delay_alu instid0(VALU_DEP_2)
	v_cndmask_b32_e32 v69, 0x7f800001, v69, vcc_lo
; %bb.4803:                             ;   in Loop: Header=BB2_4512 Depth=2
	s_or_b32 exec_lo, exec_lo, s42
.LBB2_4804:                             ;   in Loop: Header=BB2_4512 Depth=2
	s_delay_alu instid0(SALU_CYCLE_1)
	s_or_b32 exec_lo, exec_lo, s41
.LBB2_4805:                             ;   in Loop: Header=BB2_4512 Depth=2
	s_delay_alu instid0(SALU_CYCLE_1) | instskip(NEXT) | instid1(VALU_DEP_1)
	s_or_b32 exec_lo, exec_lo, s14
	v_dual_max_num_f32 v69, v69, v69 :: v_dual_max_num_f32 v36, v36, v36
	s_mov_b32 s14, 0
	s_delay_alu instid0(VALU_DEP_1)
	v_max_num_f32_e32 v69, v36, v69
.LBB2_4806:                             ;   in Loop: Header=BB2_4512 Depth=2
	s_and_b32 vcc_lo, exec_lo, s14
	s_cbranch_vccz .LBB2_4828
; %bb.4807:                             ;   in Loop: Header=BB2_4512 Depth=2
	v_dual_mov_b32 v69, 0 :: v_dual_mov_b32 v36, 0
	s_and_saveexec_b32 s14, s7
	s_cbranch_execz .LBB2_4817
; %bb.4808:                             ;   in Loop: Header=BB2_4512 Depth=2
	v_bfrev_b32_e32 v36, 1
	s_mov_b32 s7, exec_lo
	v_cmpx_ne_u16_e32 0xff80, v96
	s_cbranch_execz .LBB2_4816
; %bb.4809:                             ;   in Loop: Header=BB2_4512 Depth=2
	v_and_b32_e32 v36, 0x7c, v17
	v_and_b32_e32 v71, 3, v17
	s_delay_alu instid0(VALU_DEP_2) | instskip(SKIP_1) | instid1(SALU_CYCLE_1)
	v_cmp_ne_u32_e32 vcc_lo, 0x7c, v36
                                        ; implicit-def: $vgpr36
	s_and_saveexec_b32 s41, vcc_lo
	s_xor_b32 s41, exec_lo, s41
	s_cbranch_execz .LBB2_4813
; %bb.4810:                             ;   in Loop: Header=BB2_4512 Depth=2
	v_bfe_u32 v17, v17, 2, 5
	s_mov_b32 s42, exec_lo
	s_delay_alu instid0(VALU_DEP_1)
	v_cmpx_eq_u32_e32 0, v17
	s_cbranch_execz .LBB2_4812
; %bb.4811:                             ;   in Loop: Header=BB2_4512 Depth=2
	v_clz_i32_u32_e32 v17, v71
	s_delay_alu instid0(VALU_DEP_1) | instskip(SKIP_1) | instid1(VALU_DEP_2)
	v_min_u32_e32 v17, 32, v17
	v_mov_b32_e32 v97, v37
	v_subrev_nc_u32_e32 v36, 29, v17
	v_sub_nc_u32_e32 v17, 30, v17
	s_delay_alu instid0(VALU_DEP_2) | instskip(NEXT) | instid1(VALU_DEP_1)
	v_lshlrev_b64_e32 v[100:101], v36, v[96:97]
	v_and_b32_e32 v71, 3, v100
.LBB2_4812:                             ;   in Loop: Header=BB2_4512 Depth=2
	s_or_b32 exec_lo, exec_lo, s42
	v_bfe_i32 v36, v96, 0, 16
                                        ; implicit-def: $vgpr96
	s_delay_alu instid0(VALU_DEP_1) | instskip(NEXT) | instid1(VALU_DEP_1)
	v_and_b32_e32 v36, 0x80000000, v36
	v_lshl_add_u32 v17, v17, 23, v36
	s_delay_alu instid0(VALU_DEP_1) | instskip(NEXT) | instid1(VALU_DEP_1)
	v_lshl_or_b32 v17, v71, 21, v17
                                        ; implicit-def: $vgpr71
	v_add_nc_u32_e32 v36, 0x38000000, v17
.LBB2_4813:                             ;   in Loop: Header=BB2_4512 Depth=2
	s_and_not1_saveexec_b32 s41, s41
; %bb.4814:                             ;   in Loop: Header=BB2_4512 Depth=2
	v_cmp_lt_i16_e32 vcc_lo, -1, v96
	v_cndmask_b32_e32 v17, 0xff800000, v45, vcc_lo
	v_cmp_eq_u32_e32 vcc_lo, 0, v71
	s_delay_alu instid0(VALU_DEP_2)
	v_cndmask_b32_e32 v36, 0x7f800001, v17, vcc_lo
; %bb.4815:                             ;   in Loop: Header=BB2_4512 Depth=2
	s_or_b32 exec_lo, exec_lo, s41
.LBB2_4816:                             ;   in Loop: Header=BB2_4512 Depth=2
	s_delay_alu instid0(SALU_CYCLE_1)
	s_or_b32 exec_lo, exec_lo, s7
.LBB2_4817:                             ;   in Loop: Header=BB2_4512 Depth=2
	s_delay_alu instid0(SALU_CYCLE_1) | instskip(NEXT) | instid1(SALU_CYCLE_1)
	s_or_b32 exec_lo, exec_lo, s14
	s_mov_b32 s7, exec_lo
	s_wait_loadcnt_dscnt 0x303
	v_cmpx_ne_u16_e32 0, v86
	s_cbranch_execz .LBB2_4827
; %bb.4818:                             ;   in Loop: Header=BB2_4512 Depth=2
	v_bfrev_b32_e32 v69, 1
	s_mov_b32 s14, exec_lo
	v_cmpx_ne_u16_e32 0xff80, v86
	s_cbranch_execz .LBB2_4826
; %bb.4819:                             ;   in Loop: Header=BB2_4512 Depth=2
	v_and_b32_e32 v69, 0x7c, v86
	v_and_b32_e32 v17, 3, v86
	s_delay_alu instid0(VALU_DEP_2) | instskip(SKIP_1) | instid1(SALU_CYCLE_1)
	v_cmp_ne_u32_e32 vcc_lo, 0x7c, v69
                                        ; implicit-def: $vgpr69
	s_and_saveexec_b32 s41, vcc_lo
	s_xor_b32 s41, exec_lo, s41
	s_cbranch_execz .LBB2_4823
; %bb.4820:                             ;   in Loop: Header=BB2_4512 Depth=2
	v_and_b32_e32 v69, 0xff, v86
	s_mov_b32 s42, exec_lo
	s_delay_alu instid0(VALU_DEP_1) | instskip(NEXT) | instid1(VALU_DEP_1)
	v_bfe_u32 v69, v69, 2, 5
	v_cmpx_eq_u32_e32 0, v69
; %bb.4821:                             ;   in Loop: Header=BB2_4512 Depth=2
	v_clz_i32_u32_e32 v17, v17
	s_delay_alu instid0(VALU_DEP_1) | instskip(SKIP_1) | instid1(VALU_DEP_2)
	v_min_u32_e32 v17, 32, v17
	v_mov_b32_e32 v87, v37
	v_subrev_nc_u32_e32 v69, 29, v17
	s_delay_alu instid0(VALU_DEP_1) | instskip(NEXT) | instid1(VALU_DEP_1)
	v_lshlrev_b64_e32 v[96:97], v69, v[86:87]
	v_dual_sub_nc_u32 v69, 30, v17 :: v_dual_bitop2_b32 v17, 3, v96 bitop3:0x40
; %bb.4822:                             ;   in Loop: Header=BB2_4512 Depth=2
	s_or_b32 exec_lo, exec_lo, s42
	v_bfe_i32 v71, v86, 0, 16
                                        ; implicit-def: $vgpr86
	s_delay_alu instid0(VALU_DEP_1) | instskip(NEXT) | instid1(VALU_DEP_1)
	v_and_b32_e32 v71, 0x80000000, v71
	v_lshl_add_u32 v69, v69, 23, v71
	s_delay_alu instid0(VALU_DEP_1) | instskip(NEXT) | instid1(VALU_DEP_1)
	v_lshl_or_b32 v17, v17, 21, v69
	v_add_nc_u32_e32 v69, 0x38000000, v17
                                        ; implicit-def: $vgpr17
.LBB2_4823:                             ;   in Loop: Header=BB2_4512 Depth=2
	s_and_not1_saveexec_b32 s41, s41
; %bb.4824:                             ;   in Loop: Header=BB2_4512 Depth=2
	v_cmp_lt_i16_e32 vcc_lo, -1, v86
	v_cndmask_b32_e32 v69, 0xff800000, v45, vcc_lo
	v_cmp_eq_u32_e32 vcc_lo, 0, v17
	s_delay_alu instid0(VALU_DEP_2)
	v_cndmask_b32_e32 v69, 0x7f800001, v69, vcc_lo
; %bb.4825:                             ;   in Loop: Header=BB2_4512 Depth=2
	s_or_b32 exec_lo, exec_lo, s41
.LBB2_4826:                             ;   in Loop: Header=BB2_4512 Depth=2
	s_delay_alu instid0(SALU_CYCLE_1)
	s_or_b32 exec_lo, exec_lo, s14
.LBB2_4827:                             ;   in Loop: Header=BB2_4512 Depth=2
	s_delay_alu instid0(SALU_CYCLE_1) | instskip(NEXT) | instid1(VALU_DEP_1)
	s_or_b32 exec_lo, exec_lo, s7
	v_dual_max_num_f32 v17, v69, v69 :: v_dual_max_num_f32 v36, v36, v36
	s_delay_alu instid0(VALU_DEP_1)
	v_min_num_f32_e32 v69, v36, v17
.LBB2_4828:                             ;   in Loop: Header=BB2_4512 Depth=2
	s_wait_loadcnt_dscnt 0x303
	s_delay_alu instid0(VALU_DEP_1) | instskip(SKIP_2) | instid1(VALU_DEP_2)
	v_and_b32_e32 v86, 0x7f800000, v69
	v_mov_b32_e32 v87, v37
	v_and_b32_e32 v36, 0x7fffff, v69
	v_cmp_ne_u64_e32 vcc_lo, 0x7f800000, v[86:87]
                                        ; implicit-def: $vgpr87
	s_and_saveexec_b32 s7, vcc_lo
	s_delay_alu instid0(SALU_CYCLE_1)
	s_xor_b32 s14, exec_lo, s7
	s_cbranch_execz .LBB2_4846
; %bb.4829:                             ;   in Loop: Header=BB2_4512 Depth=2
	v_and_b32_e32 v86, 0x7fffffff, v69
	v_dual_mov_b32 v87, v37 :: v_dual_lshrrev_b32 v17, 24, v69
	s_delay_alu instid0(VALU_DEP_1) | instskip(NEXT) | instid1(VALU_DEP_2)
	v_cmp_gt_u64_e32 vcc_lo, 0x47600001, v[86:87]
	v_and_b32_e32 v17, 0x80, v17
                                        ; implicit-def: $vgpr87
	s_and_saveexec_b32 s7, vcc_lo
	s_delay_alu instid0(SALU_CYCLE_1)
	s_xor_b32 s41, exec_lo, s7
	s_cbranch_execz .LBB2_4843
; %bb.4830:                             ;   in Loop: Header=BB2_4512 Depth=2
	v_mov_b32_e32 v87, 0
	s_mov_b32 s42, exec_lo
	v_cmpx_ne_u32_e32 0, v69
	s_cbranch_execz .LBB2_4842
; %bb.4831:                             ;   in Loop: Header=BB2_4512 Depth=2
	v_bfe_u32 v69, v69, 23, 8
	v_or_b32_e32 v83, 0x800000, v36
	s_delay_alu instid0(VALU_DEP_2) | instskip(SKIP_1) | instid1(VALU_DEP_2)
	v_sub_nc_u32_e32 v71, 0x71, v69
	v_cmp_gt_u32_e32 vcc_lo, 0x72, v69
	v_cndmask_b32_e32 v71, 0, v71, vcc_lo
	v_cmp_eq_u32_e32 vcc_lo, 0, v69
	s_delay_alu instid0(VALU_DEP_2) | instskip(NEXT) | instid1(VALU_DEP_1)
	v_cndmask_b32_e64 v71, v71, 0x70, vcc_lo
	v_dual_cndmask_b32 v36, v83, v36 :: v_dual_add_nc_u32 v81, 21, v71
	s_delay_alu instid0(VALU_DEP_1) | instskip(SKIP_1) | instid1(VALU_DEP_1)
	v_lshlrev_b64_e64 v[86:87], v81, -1
	v_add_nc_u32_e32 v81, 20, v71
	v_lshlrev_b64_e64 v[96:97], v81, 1
	s_delay_alu instid0(VALU_DEP_3) | instskip(NEXT) | instid1(VALU_DEP_4)
	v_bfi_b32 v101, v87, 0, 0
	v_bfi_b32 v100, v86, 0, v36
	v_lshrrev_b64 v[86:87], v71, v[36:37]
	s_delay_alu instid0(VALU_DEP_2) | instskip(NEXT) | instid1(VALU_DEP_2)
	v_cmp_eq_u64_e64 s7, v[100:101], v[96:97]
	v_mov_b64_e32 v[96:97], v[86:87]
	s_and_saveexec_b32 s43, s7
; %bb.4832:                             ;   in Loop: Header=BB2_4512 Depth=2
	v_bfe_u32 v36, v86, 21, 1
	s_delay_alu instid0(VALU_DEP_1) | instskip(NEXT) | instid1(VALU_DEP_1)
	v_add_nc_u64_e32 v[96:97], v[86:87], v[36:37]
	v_add_nc_u64_e32 v[96:97], -1, v[96:97]
; %bb.4833:                             ;   in Loop: Header=BB2_4512 Depth=2
	s_or_b32 exec_lo, exec_lo, s43
	v_add_nc_u32_e32 v36, 0xffffff81, v69
	v_lshrrev_b32_e32 v69, 23, v86
	s_mov_b32 s7, exec_lo
	s_delay_alu instid0(VALU_DEP_2) | instskip(NEXT) | instid1(VALU_DEP_1)
	v_cndmask_b32_e64 v36, v36, 0xffffff82, vcc_lo
	v_add3_u32 v71, v71, v36, v69
	v_and_b32_e32 v36, 0x1fffff, v96
                                        ; implicit-def: $vgpr69
	s_delay_alu instid0(VALU_DEP_1) | instskip(NEXT) | instid1(VALU_DEP_1)
	v_dual_add_nc_u32 v81, 14, v71 :: v_dual_add_nc_u32 v36, v36, v86
                                        ; implicit-def: $vgpr86_vgpr87
	v_cmpx_ne_u32_e32 0, v81
	s_xor_b32 s7, exec_lo, s7
; %bb.4834:                             ;   in Loop: Header=BB2_4512 Depth=2
	s_delay_alu instid0(VALU_DEP_2) | instskip(SKIP_2) | instid1(VALU_DEP_2)
	v_cmp_lt_u64_e32 vcc_lo, 0xffffff, v[36:37]
	v_add_nc_u32_e32 v69, 15, v71
	v_cndmask_b32_e64 v71, 0, 1, vcc_lo
	v_cndmask_b32_e32 v69, v81, v69, vcc_lo
	s_delay_alu instid0(VALU_DEP_2)
	v_lshrrev_b64 v[86:87], v71, v[36:37]
; %bb.4835:                             ;   in Loop: Header=BB2_4512 Depth=2
	s_and_not1_saveexec_b32 s7, s7
; %bb.4836:                             ;   in Loop: Header=BB2_4512 Depth=2
	v_mov_b64_e32 v[86:87], v[36:37]
	v_bfe_u32 v69, v36, 23, 1
; %bb.4837:                             ;   in Loop: Header=BB2_4512 Depth=2
	s_or_b32 exec_lo, exec_lo, s7
	s_delay_alu instid0(VALU_DEP_2) | instskip(NEXT) | instid1(VALU_DEP_2)
	v_lshrrev_b64 v[86:87], 21, v[86:87]
	v_cmp_gt_i32_e32 vcc_lo, 32, v69
	v_cmp_ne_u32_e64 s7, 0, v69
	s_delay_alu instid0(VALU_DEP_3) | instskip(NEXT) | instid1(VALU_DEP_1)
	v_dual_cndmask_b32 v87, 0, v87 :: v_dual_cndmask_b32 v86, 3, v86
	v_cmp_ne_u64_e32 vcc_lo, 0, v[86:87]
                                        ; implicit-def: $vgpr87
	s_or_b32 s7, s7, vcc_lo
	s_delay_alu instid0(SALU_CYCLE_1) | instskip(NEXT) | instid1(SALU_CYCLE_1)
	s_and_saveexec_b32 s43, s7
	s_xor_b32 s7, exec_lo, s43
; %bb.4838:                             ;   in Loop: Header=BB2_4512 Depth=2
	v_min_i32_e32 v36, 31, v69
	s_delay_alu instid0(VALU_DEP_1) | instskip(NEXT) | instid1(VALU_DEP_1)
	v_lshl_or_b32 v17, v36, 2, v17
	v_and_or_b32 v87, v86, 3, v17
                                        ; implicit-def: $vgpr17
; %bb.4839:                             ;   in Loop: Header=BB2_4512 Depth=2
	s_and_not1_saveexec_b32 s7, s7
; %bb.4840:                             ;   in Loop: Header=BB2_4512 Depth=2
	v_mov_b32_e32 v87, v17
; %bb.4841:                             ;   in Loop: Header=BB2_4512 Depth=2
	s_or_b32 exec_lo, exec_lo, s7
.LBB2_4842:                             ;   in Loop: Header=BB2_4512 Depth=2
	s_delay_alu instid0(SALU_CYCLE_1)
	s_or_b32 exec_lo, exec_lo, s42
                                        ; implicit-def: $vgpr17
.LBB2_4843:                             ;   in Loop: Header=BB2_4512 Depth=2
	s_and_not1_saveexec_b32 s7, s41
; %bb.4844:                             ;   in Loop: Header=BB2_4512 Depth=2
	v_or_b32_e32 v87, 0x7b, v17
; %bb.4845:                             ;   in Loop: Header=BB2_4512 Depth=2
	s_or_b32 exec_lo, exec_lo, s7
                                        ; implicit-def: $vgpr69
.LBB2_4846:                             ;   in Loop: Header=BB2_4512 Depth=2
	s_and_not1_saveexec_b32 s7, s14
	s_cbranch_execz .LBB2_4852
; %bb.4847:                             ;   in Loop: Header=BB2_4512 Depth=2
	s_mov_b32 s14, exec_lo
                                        ; implicit-def: $vgpr87
	v_cmpx_ne_u64_e32 0, v[36:37]
	s_xor_b32 s14, exec_lo, s14
; %bb.4848:                             ;   in Loop: Header=BB2_4512 Depth=2
	v_lshrrev_b32_e32 v17, 24, v69
                                        ; implicit-def: $vgpr69
	s_delay_alu instid0(VALU_DEP_1)
	v_or_b32_e32 v87, 0x7f, v17
; %bb.4849:                             ;   in Loop: Header=BB2_4512 Depth=2
	s_and_not1_saveexec_b32 s14, s14
; %bb.4850:                             ;   in Loop: Header=BB2_4512 Depth=2
	v_cmp_lt_i32_e32 vcc_lo, -1, v69
	v_cndmask_b32_e64 v87, -4, 0x7c, vcc_lo
; %bb.4851:                             ;   in Loop: Header=BB2_4512 Depth=2
	s_or_b32 exec_lo, exec_lo, s14
.LBB2_4852:                             ;   in Loop: Header=BB2_4512 Depth=2
	s_delay_alu instid0(SALU_CYCLE_1)
	s_or_b32 exec_lo, exec_lo, s7
	v_and_b32_e32 v17, 0xff, v84
	v_cmp_ne_u16_e64 s7, 0, v84
	s_and_not1_b32 vcc_lo, exec_lo, s13
	s_mov_b32 s14, -1
                                        ; implicit-def: $vgpr69
	s_cbranch_vccnz .LBB2_4874
; %bb.4853:                             ;   in Loop: Header=BB2_4512 Depth=2
	v_dual_mov_b32 v69, 0 :: v_dual_mov_b32 v36, 0
	s_and_saveexec_b32 s14, s7
	s_cbranch_execz .LBB2_4863
; %bb.4854:                             ;   in Loop: Header=BB2_4512 Depth=2
	v_bfrev_b32_e32 v36, 1
	s_mov_b32 s41, exec_lo
	v_cmpx_ne_u16_e32 0xff80, v84
	s_cbranch_execz .LBB2_4862
; %bb.4855:                             ;   in Loop: Header=BB2_4512 Depth=2
	v_and_b32_e32 v36, 0x7c, v17
	v_and_b32_e32 v71, 3, v17
	s_delay_alu instid0(VALU_DEP_2) | instskip(SKIP_1) | instid1(SALU_CYCLE_1)
	v_cmp_ne_u32_e32 vcc_lo, 0x7c, v36
                                        ; implicit-def: $vgpr36
	s_and_saveexec_b32 s42, vcc_lo
	s_xor_b32 s42, exec_lo, s42
	s_cbranch_execz .LBB2_4859
; %bb.4856:                             ;   in Loop: Header=BB2_4512 Depth=2
	v_bfe_u32 v36, v17, 2, 5
	s_mov_b32 s43, exec_lo
	s_delay_alu instid0(VALU_DEP_1)
	v_cmpx_eq_u32_e32 0, v36
	s_cbranch_execz .LBB2_4858
; %bb.4857:                             ;   in Loop: Header=BB2_4512 Depth=2
	v_clz_i32_u32_e32 v36, v71
	s_delay_alu instid0(VALU_DEP_1) | instskip(SKIP_1) | instid1(VALU_DEP_2)
	v_min_u32_e32 v36, 32, v36
	v_mov_b32_e32 v85, v37
	v_subrev_nc_u32_e32 v71, 29, v36
	v_sub_nc_u32_e32 v36, 30, v36
	s_delay_alu instid0(VALU_DEP_2) | instskip(NEXT) | instid1(VALU_DEP_1)
	v_lshlrev_b64_e32 v[96:97], v71, v[84:85]
	v_and_b32_e32 v71, 3, v96
.LBB2_4858:                             ;   in Loop: Header=BB2_4512 Depth=2
	s_or_b32 exec_lo, exec_lo, s43
	v_bfe_i32 v81, v84, 0, 16
	s_delay_alu instid0(VALU_DEP_1) | instskip(NEXT) | instid1(VALU_DEP_1)
	v_and_b32_e32 v81, 0x80000000, v81
	v_lshl_add_u32 v36, v36, 23, v81
	s_delay_alu instid0(VALU_DEP_1) | instskip(NEXT) | instid1(VALU_DEP_1)
	v_lshl_or_b32 v36, v71, 21, v36
                                        ; implicit-def: $vgpr71
	v_add_nc_u32_e32 v36, 0x38000000, v36
.LBB2_4859:                             ;   in Loop: Header=BB2_4512 Depth=2
	s_and_not1_saveexec_b32 s42, s42
; %bb.4860:                             ;   in Loop: Header=BB2_4512 Depth=2
	v_cmp_lt_i16_e32 vcc_lo, -1, v84
	v_cndmask_b32_e32 v36, 0xff800000, v45, vcc_lo
	v_cmp_eq_u32_e32 vcc_lo, 0, v71
	s_delay_alu instid0(VALU_DEP_2)
	v_cndmask_b32_e32 v36, 0x7f800001, v36, vcc_lo
; %bb.4861:                             ;   in Loop: Header=BB2_4512 Depth=2
	s_or_b32 exec_lo, exec_lo, s42
.LBB2_4862:                             ;   in Loop: Header=BB2_4512 Depth=2
	s_delay_alu instid0(SALU_CYCLE_1)
	s_or_b32 exec_lo, exec_lo, s41
.LBB2_4863:                             ;   in Loop: Header=BB2_4512 Depth=2
	s_delay_alu instid0(SALU_CYCLE_1) | instskip(NEXT) | instid1(SALU_CYCLE_1)
	s_or_b32 exec_lo, exec_lo, s14
	s_mov_b32 s14, exec_lo
	s_wait_loadcnt_dscnt 0x202
	v_cmpx_ne_u16_e32 0, v82
	s_cbranch_execz .LBB2_4873
; %bb.4864:                             ;   in Loop: Header=BB2_4512 Depth=2
	v_bfrev_b32_e32 v69, 1
	s_mov_b32 s41, exec_lo
	v_cmpx_ne_u16_e32 0xff80, v82
	s_cbranch_execz .LBB2_4872
; %bb.4865:                             ;   in Loop: Header=BB2_4512 Depth=2
	v_and_b32_e32 v69, 0x7c, v82
	v_and_b32_e32 v71, 3, v82
	s_delay_alu instid0(VALU_DEP_2) | instskip(SKIP_1) | instid1(SALU_CYCLE_1)
	v_cmp_ne_u32_e32 vcc_lo, 0x7c, v69
                                        ; implicit-def: $vgpr69
	s_and_saveexec_b32 s42, vcc_lo
	s_xor_b32 s42, exec_lo, s42
	s_cbranch_execz .LBB2_4869
; %bb.4866:                             ;   in Loop: Header=BB2_4512 Depth=2
	v_and_b32_e32 v69, 0xff, v82
	s_mov_b32 s43, exec_lo
	s_delay_alu instid0(VALU_DEP_1) | instskip(NEXT) | instid1(VALU_DEP_1)
	v_bfe_u32 v69, v69, 2, 5
	v_cmpx_eq_u32_e32 0, v69
	s_cbranch_execz .LBB2_4868
; %bb.4867:                             ;   in Loop: Header=BB2_4512 Depth=2
	v_clz_i32_u32_e32 v69, v71
	s_delay_alu instid0(VALU_DEP_1) | instskip(SKIP_1) | instid1(VALU_DEP_2)
	v_min_u32_e32 v69, 32, v69
	v_mov_b32_e32 v83, v37
	v_subrev_nc_u32_e32 v71, 29, v69
	v_sub_nc_u32_e32 v69, 30, v69
	s_delay_alu instid0(VALU_DEP_2) | instskip(NEXT) | instid1(VALU_DEP_1)
	v_lshlrev_b64_e32 v[96:97], v71, v[82:83]
	v_and_b32_e32 v71, 3, v96
.LBB2_4868:                             ;   in Loop: Header=BB2_4512 Depth=2
	s_or_b32 exec_lo, exec_lo, s43
	v_bfe_i32 v81, v82, 0, 16
	s_delay_alu instid0(VALU_DEP_1) | instskip(NEXT) | instid1(VALU_DEP_1)
	v_and_b32_e32 v81, 0x80000000, v81
	v_lshl_add_u32 v69, v69, 23, v81
	s_delay_alu instid0(VALU_DEP_1) | instskip(NEXT) | instid1(VALU_DEP_1)
	v_lshl_or_b32 v69, v71, 21, v69
                                        ; implicit-def: $vgpr71
	v_add_nc_u32_e32 v69, 0x38000000, v69
.LBB2_4869:                             ;   in Loop: Header=BB2_4512 Depth=2
	s_and_not1_saveexec_b32 s42, s42
; %bb.4870:                             ;   in Loop: Header=BB2_4512 Depth=2
	v_cmp_lt_i16_e32 vcc_lo, -1, v82
	v_cndmask_b32_e32 v69, 0xff800000, v45, vcc_lo
	v_cmp_eq_u32_e32 vcc_lo, 0, v71
	s_delay_alu instid0(VALU_DEP_2)
	v_cndmask_b32_e32 v69, 0x7f800001, v69, vcc_lo
; %bb.4871:                             ;   in Loop: Header=BB2_4512 Depth=2
	s_or_b32 exec_lo, exec_lo, s42
.LBB2_4872:                             ;   in Loop: Header=BB2_4512 Depth=2
	s_delay_alu instid0(SALU_CYCLE_1)
	s_or_b32 exec_lo, exec_lo, s41
.LBB2_4873:                             ;   in Loop: Header=BB2_4512 Depth=2
	s_delay_alu instid0(SALU_CYCLE_1) | instskip(NEXT) | instid1(VALU_DEP_1)
	s_or_b32 exec_lo, exec_lo, s14
	v_dual_max_num_f32 v69, v69, v69 :: v_dual_max_num_f32 v36, v36, v36
	s_mov_b32 s14, 0
	s_delay_alu instid0(VALU_DEP_1)
	v_max_num_f32_e32 v69, v36, v69
.LBB2_4874:                             ;   in Loop: Header=BB2_4512 Depth=2
	s_and_b32 vcc_lo, exec_lo, s14
	s_cbranch_vccz .LBB2_4896
; %bb.4875:                             ;   in Loop: Header=BB2_4512 Depth=2
	v_dual_mov_b32 v69, 0 :: v_dual_mov_b32 v36, 0
	s_and_saveexec_b32 s14, s7
	s_cbranch_execz .LBB2_4885
; %bb.4876:                             ;   in Loop: Header=BB2_4512 Depth=2
	v_bfrev_b32_e32 v36, 1
	s_mov_b32 s7, exec_lo
	v_cmpx_ne_u16_e32 0xff80, v84
	s_cbranch_execz .LBB2_4884
; %bb.4877:                             ;   in Loop: Header=BB2_4512 Depth=2
	v_and_b32_e32 v36, 0x7c, v17
	v_and_b32_e32 v71, 3, v17
	s_delay_alu instid0(VALU_DEP_2) | instskip(SKIP_1) | instid1(SALU_CYCLE_1)
	v_cmp_ne_u32_e32 vcc_lo, 0x7c, v36
                                        ; implicit-def: $vgpr36
	s_and_saveexec_b32 s41, vcc_lo
	s_xor_b32 s41, exec_lo, s41
	s_cbranch_execz .LBB2_4881
; %bb.4878:                             ;   in Loop: Header=BB2_4512 Depth=2
	v_bfe_u32 v17, v17, 2, 5
	s_mov_b32 s42, exec_lo
	s_delay_alu instid0(VALU_DEP_1)
	v_cmpx_eq_u32_e32 0, v17
	s_cbranch_execz .LBB2_4880
; %bb.4879:                             ;   in Loop: Header=BB2_4512 Depth=2
	v_clz_i32_u32_e32 v17, v71
	s_delay_alu instid0(VALU_DEP_1) | instskip(SKIP_1) | instid1(VALU_DEP_2)
	v_min_u32_e32 v17, 32, v17
	v_mov_b32_e32 v85, v37
	v_subrev_nc_u32_e32 v36, 29, v17
	v_sub_nc_u32_e32 v17, 30, v17
	s_delay_alu instid0(VALU_DEP_2) | instskip(NEXT) | instid1(VALU_DEP_1)
	v_lshlrev_b64_e32 v[96:97], v36, v[84:85]
	v_and_b32_e32 v71, 3, v96
.LBB2_4880:                             ;   in Loop: Header=BB2_4512 Depth=2
	s_or_b32 exec_lo, exec_lo, s42
	v_bfe_i32 v36, v84, 0, 16
                                        ; implicit-def: $vgpr84
	s_delay_alu instid0(VALU_DEP_1) | instskip(NEXT) | instid1(VALU_DEP_1)
	v_and_b32_e32 v36, 0x80000000, v36
	v_lshl_add_u32 v17, v17, 23, v36
	s_delay_alu instid0(VALU_DEP_1) | instskip(NEXT) | instid1(VALU_DEP_1)
	v_lshl_or_b32 v17, v71, 21, v17
                                        ; implicit-def: $vgpr71
	v_add_nc_u32_e32 v36, 0x38000000, v17
.LBB2_4881:                             ;   in Loop: Header=BB2_4512 Depth=2
	s_and_not1_saveexec_b32 s41, s41
; %bb.4882:                             ;   in Loop: Header=BB2_4512 Depth=2
	v_cmp_lt_i16_e32 vcc_lo, -1, v84
	v_cndmask_b32_e32 v17, 0xff800000, v45, vcc_lo
	v_cmp_eq_u32_e32 vcc_lo, 0, v71
	s_delay_alu instid0(VALU_DEP_2)
	v_cndmask_b32_e32 v36, 0x7f800001, v17, vcc_lo
; %bb.4883:                             ;   in Loop: Header=BB2_4512 Depth=2
	s_or_b32 exec_lo, exec_lo, s41
.LBB2_4884:                             ;   in Loop: Header=BB2_4512 Depth=2
	s_delay_alu instid0(SALU_CYCLE_1)
	s_or_b32 exec_lo, exec_lo, s7
.LBB2_4885:                             ;   in Loop: Header=BB2_4512 Depth=2
	s_delay_alu instid0(SALU_CYCLE_1) | instskip(NEXT) | instid1(SALU_CYCLE_1)
	s_or_b32 exec_lo, exec_lo, s14
	s_mov_b32 s7, exec_lo
	s_wait_loadcnt_dscnt 0x202
	v_cmpx_ne_u16_e32 0, v82
	s_cbranch_execz .LBB2_4895
; %bb.4886:                             ;   in Loop: Header=BB2_4512 Depth=2
	v_bfrev_b32_e32 v69, 1
	s_mov_b32 s14, exec_lo
	v_cmpx_ne_u16_e32 0xff80, v82
	s_cbranch_execz .LBB2_4894
; %bb.4887:                             ;   in Loop: Header=BB2_4512 Depth=2
	v_and_b32_e32 v69, 0x7c, v82
	v_and_b32_e32 v17, 3, v82
	s_delay_alu instid0(VALU_DEP_2) | instskip(SKIP_1) | instid1(SALU_CYCLE_1)
	v_cmp_ne_u32_e32 vcc_lo, 0x7c, v69
                                        ; implicit-def: $vgpr69
	s_and_saveexec_b32 s41, vcc_lo
	s_xor_b32 s41, exec_lo, s41
	s_cbranch_execz .LBB2_4891
; %bb.4888:                             ;   in Loop: Header=BB2_4512 Depth=2
	v_and_b32_e32 v69, 0xff, v82
	s_mov_b32 s42, exec_lo
	s_delay_alu instid0(VALU_DEP_1) | instskip(NEXT) | instid1(VALU_DEP_1)
	v_bfe_u32 v69, v69, 2, 5
	v_cmpx_eq_u32_e32 0, v69
; %bb.4889:                             ;   in Loop: Header=BB2_4512 Depth=2
	v_clz_i32_u32_e32 v17, v17
	s_delay_alu instid0(VALU_DEP_1) | instskip(SKIP_1) | instid1(VALU_DEP_2)
	v_min_u32_e32 v17, 32, v17
	v_mov_b32_e32 v83, v37
	v_subrev_nc_u32_e32 v69, 29, v17
	s_delay_alu instid0(VALU_DEP_1) | instskip(NEXT) | instid1(VALU_DEP_1)
	v_lshlrev_b64_e32 v[84:85], v69, v[82:83]
	v_dual_sub_nc_u32 v69, 30, v17 :: v_dual_bitop2_b32 v17, 3, v84 bitop3:0x40
; %bb.4890:                             ;   in Loop: Header=BB2_4512 Depth=2
	s_or_b32 exec_lo, exec_lo, s42
	v_bfe_i32 v71, v82, 0, 16
                                        ; implicit-def: $vgpr82
	s_delay_alu instid0(VALU_DEP_1) | instskip(NEXT) | instid1(VALU_DEP_1)
	v_and_b32_e32 v71, 0x80000000, v71
	v_lshl_add_u32 v69, v69, 23, v71
	s_delay_alu instid0(VALU_DEP_1) | instskip(NEXT) | instid1(VALU_DEP_1)
	v_lshl_or_b32 v17, v17, 21, v69
	v_add_nc_u32_e32 v69, 0x38000000, v17
                                        ; implicit-def: $vgpr17
.LBB2_4891:                             ;   in Loop: Header=BB2_4512 Depth=2
	s_and_not1_saveexec_b32 s41, s41
; %bb.4892:                             ;   in Loop: Header=BB2_4512 Depth=2
	v_cmp_lt_i16_e32 vcc_lo, -1, v82
	v_cndmask_b32_e32 v69, 0xff800000, v45, vcc_lo
	v_cmp_eq_u32_e32 vcc_lo, 0, v17
	s_delay_alu instid0(VALU_DEP_2)
	v_cndmask_b32_e32 v69, 0x7f800001, v69, vcc_lo
; %bb.4893:                             ;   in Loop: Header=BB2_4512 Depth=2
	s_or_b32 exec_lo, exec_lo, s41
.LBB2_4894:                             ;   in Loop: Header=BB2_4512 Depth=2
	s_delay_alu instid0(SALU_CYCLE_1)
	s_or_b32 exec_lo, exec_lo, s14
.LBB2_4895:                             ;   in Loop: Header=BB2_4512 Depth=2
	s_delay_alu instid0(SALU_CYCLE_1) | instskip(NEXT) | instid1(VALU_DEP_1)
	s_or_b32 exec_lo, exec_lo, s7
	v_dual_max_num_f32 v17, v69, v69 :: v_dual_max_num_f32 v36, v36, v36
	s_delay_alu instid0(VALU_DEP_1)
	v_min_num_f32_e32 v69, v36, v17
.LBB2_4896:                             ;   in Loop: Header=BB2_4512 Depth=2
	s_wait_loadcnt_dscnt 0x202
	s_delay_alu instid0(VALU_DEP_1) | instskip(SKIP_2) | instid1(VALU_DEP_2)
	v_and_b32_e32 v82, 0x7f800000, v69
	v_mov_b32_e32 v83, v37
	v_and_b32_e32 v36, 0x7fffff, v69
	v_cmp_ne_u64_e32 vcc_lo, 0x7f800000, v[82:83]
                                        ; implicit-def: $vgpr83
	s_and_saveexec_b32 s7, vcc_lo
	s_delay_alu instid0(SALU_CYCLE_1)
	s_xor_b32 s14, exec_lo, s7
	s_cbranch_execz .LBB2_4914
; %bb.4897:                             ;   in Loop: Header=BB2_4512 Depth=2
	v_and_b32_e32 v82, 0x7fffffff, v69
	v_dual_mov_b32 v83, v37 :: v_dual_lshrrev_b32 v17, 24, v69
	s_delay_alu instid0(VALU_DEP_1) | instskip(NEXT) | instid1(VALU_DEP_2)
	v_cmp_gt_u64_e32 vcc_lo, 0x47600001, v[82:83]
	v_and_b32_e32 v17, 0x80, v17
                                        ; implicit-def: $vgpr83
	s_and_saveexec_b32 s7, vcc_lo
	s_delay_alu instid0(SALU_CYCLE_1)
	s_xor_b32 s41, exec_lo, s7
	s_cbranch_execz .LBB2_4911
; %bb.4898:                             ;   in Loop: Header=BB2_4512 Depth=2
	v_mov_b32_e32 v83, 0
	s_mov_b32 s42, exec_lo
	v_cmpx_ne_u32_e32 0, v69
	s_cbranch_execz .LBB2_4910
; %bb.4899:                             ;   in Loop: Header=BB2_4512 Depth=2
	v_bfe_u32 v69, v69, 23, 8
	v_or_b32_e32 v84, 0x800000, v36
	s_delay_alu instid0(VALU_DEP_2) | instskip(SKIP_1) | instid1(VALU_DEP_2)
	v_sub_nc_u32_e32 v71, 0x71, v69
	v_cmp_gt_u32_e32 vcc_lo, 0x72, v69
	v_cndmask_b32_e32 v71, 0, v71, vcc_lo
	v_cmp_eq_u32_e32 vcc_lo, 0, v69
	s_delay_alu instid0(VALU_DEP_2) | instskip(NEXT) | instid1(VALU_DEP_1)
	v_cndmask_b32_e64 v71, v71, 0x70, vcc_lo
	v_dual_cndmask_b32 v36, v84, v36 :: v_dual_add_nc_u32 v81, 21, v71
	s_delay_alu instid0(VALU_DEP_1) | instskip(SKIP_1) | instid1(VALU_DEP_1)
	v_lshlrev_b64_e64 v[82:83], v81, -1
	v_add_nc_u32_e32 v81, 20, v71
	v_lshlrev_b64_e64 v[84:85], v81, 1
	s_delay_alu instid0(VALU_DEP_3) | instskip(NEXT) | instid1(VALU_DEP_4)
	v_bfi_b32 v97, v83, 0, 0
	v_bfi_b32 v96, v82, 0, v36
	v_lshrrev_b64 v[82:83], v71, v[36:37]
	s_delay_alu instid0(VALU_DEP_2) | instskip(NEXT) | instid1(VALU_DEP_2)
	v_cmp_eq_u64_e64 s7, v[96:97], v[84:85]
	v_mov_b64_e32 v[84:85], v[82:83]
	s_and_saveexec_b32 s43, s7
; %bb.4900:                             ;   in Loop: Header=BB2_4512 Depth=2
	v_bfe_u32 v36, v82, 21, 1
	s_delay_alu instid0(VALU_DEP_1) | instskip(NEXT) | instid1(VALU_DEP_1)
	v_add_nc_u64_e32 v[84:85], v[82:83], v[36:37]
	v_add_nc_u64_e32 v[84:85], -1, v[84:85]
; %bb.4901:                             ;   in Loop: Header=BB2_4512 Depth=2
	s_or_b32 exec_lo, exec_lo, s43
	v_add_nc_u32_e32 v36, 0xffffff81, v69
	v_lshrrev_b32_e32 v69, 23, v82
	s_mov_b32 s7, exec_lo
	s_delay_alu instid0(VALU_DEP_2) | instskip(NEXT) | instid1(VALU_DEP_1)
	v_cndmask_b32_e64 v36, v36, 0xffffff82, vcc_lo
	v_add3_u32 v71, v71, v36, v69
	v_and_b32_e32 v36, 0x1fffff, v84
                                        ; implicit-def: $vgpr69
	s_delay_alu instid0(VALU_DEP_1) | instskip(NEXT) | instid1(VALU_DEP_1)
	v_dual_add_nc_u32 v81, 14, v71 :: v_dual_add_nc_u32 v36, v36, v82
                                        ; implicit-def: $vgpr82_vgpr83
	v_cmpx_ne_u32_e32 0, v81
	s_xor_b32 s7, exec_lo, s7
; %bb.4902:                             ;   in Loop: Header=BB2_4512 Depth=2
	s_delay_alu instid0(VALU_DEP_2) | instskip(SKIP_2) | instid1(VALU_DEP_2)
	v_cmp_lt_u64_e32 vcc_lo, 0xffffff, v[36:37]
	v_add_nc_u32_e32 v69, 15, v71
	v_cndmask_b32_e64 v71, 0, 1, vcc_lo
	v_cndmask_b32_e32 v69, v81, v69, vcc_lo
	s_delay_alu instid0(VALU_DEP_2)
	v_lshrrev_b64 v[82:83], v71, v[36:37]
; %bb.4903:                             ;   in Loop: Header=BB2_4512 Depth=2
	s_and_not1_saveexec_b32 s7, s7
; %bb.4904:                             ;   in Loop: Header=BB2_4512 Depth=2
	v_mov_b64_e32 v[82:83], v[36:37]
	v_bfe_u32 v69, v36, 23, 1
; %bb.4905:                             ;   in Loop: Header=BB2_4512 Depth=2
	s_or_b32 exec_lo, exec_lo, s7
	s_delay_alu instid0(VALU_DEP_2) | instskip(NEXT) | instid1(VALU_DEP_2)
	v_lshrrev_b64 v[82:83], 21, v[82:83]
	v_cmp_gt_i32_e32 vcc_lo, 32, v69
	v_cmp_ne_u32_e64 s7, 0, v69
	s_delay_alu instid0(VALU_DEP_3) | instskip(NEXT) | instid1(VALU_DEP_1)
	v_dual_cndmask_b32 v83, 0, v83 :: v_dual_cndmask_b32 v82, 3, v82
	v_cmp_ne_u64_e32 vcc_lo, 0, v[82:83]
                                        ; implicit-def: $vgpr83
	s_or_b32 s7, s7, vcc_lo
	s_delay_alu instid0(SALU_CYCLE_1) | instskip(NEXT) | instid1(SALU_CYCLE_1)
	s_and_saveexec_b32 s43, s7
	s_xor_b32 s7, exec_lo, s43
; %bb.4906:                             ;   in Loop: Header=BB2_4512 Depth=2
	v_min_i32_e32 v36, 31, v69
	s_delay_alu instid0(VALU_DEP_1) | instskip(NEXT) | instid1(VALU_DEP_1)
	v_lshl_or_b32 v17, v36, 2, v17
	v_and_or_b32 v83, v82, 3, v17
                                        ; implicit-def: $vgpr17
; %bb.4907:                             ;   in Loop: Header=BB2_4512 Depth=2
	s_and_not1_saveexec_b32 s7, s7
; %bb.4908:                             ;   in Loop: Header=BB2_4512 Depth=2
	v_mov_b32_e32 v83, v17
; %bb.4909:                             ;   in Loop: Header=BB2_4512 Depth=2
	s_or_b32 exec_lo, exec_lo, s7
.LBB2_4910:                             ;   in Loop: Header=BB2_4512 Depth=2
	s_delay_alu instid0(SALU_CYCLE_1)
	s_or_b32 exec_lo, exec_lo, s42
                                        ; implicit-def: $vgpr17
.LBB2_4911:                             ;   in Loop: Header=BB2_4512 Depth=2
	s_and_not1_saveexec_b32 s7, s41
; %bb.4912:                             ;   in Loop: Header=BB2_4512 Depth=2
	v_or_b32_e32 v83, 0x7b, v17
; %bb.4913:                             ;   in Loop: Header=BB2_4512 Depth=2
	s_or_b32 exec_lo, exec_lo, s7
                                        ; implicit-def: $vgpr69
.LBB2_4914:                             ;   in Loop: Header=BB2_4512 Depth=2
	s_and_not1_saveexec_b32 s7, s14
	s_cbranch_execz .LBB2_4920
; %bb.4915:                             ;   in Loop: Header=BB2_4512 Depth=2
	s_mov_b32 s14, exec_lo
                                        ; implicit-def: $vgpr83
	v_cmpx_ne_u64_e32 0, v[36:37]
	s_xor_b32 s14, exec_lo, s14
; %bb.4916:                             ;   in Loop: Header=BB2_4512 Depth=2
	v_lshrrev_b32_e32 v17, 24, v69
                                        ; implicit-def: $vgpr69
	s_delay_alu instid0(VALU_DEP_1)
	v_or_b32_e32 v83, 0x7f, v17
; %bb.4917:                             ;   in Loop: Header=BB2_4512 Depth=2
	s_and_not1_saveexec_b32 s14, s14
; %bb.4918:                             ;   in Loop: Header=BB2_4512 Depth=2
	v_cmp_lt_i32_e32 vcc_lo, -1, v69
	v_cndmask_b32_e64 v83, -4, 0x7c, vcc_lo
; %bb.4919:                             ;   in Loop: Header=BB2_4512 Depth=2
	s_or_b32 exec_lo, exec_lo, s14
.LBB2_4920:                             ;   in Loop: Header=BB2_4512 Depth=2
	s_delay_alu instid0(SALU_CYCLE_1)
	s_or_b32 exec_lo, exec_lo, s7
	v_and_b32_e32 v17, 0xff, v80
	v_cmp_ne_u16_e64 s7, 0, v80
	s_and_not1_b32 vcc_lo, exec_lo, s13
	s_mov_b32 s14, -1
                                        ; implicit-def: $vgpr69
	s_cbranch_vccnz .LBB2_4942
; %bb.4921:                             ;   in Loop: Header=BB2_4512 Depth=2
	v_dual_mov_b32 v69, 0 :: v_dual_mov_b32 v36, 0
	s_and_saveexec_b32 s14, s7
	s_cbranch_execz .LBB2_4931
; %bb.4922:                             ;   in Loop: Header=BB2_4512 Depth=2
	v_bfrev_b32_e32 v36, 1
	s_mov_b32 s41, exec_lo
	v_cmpx_ne_u16_e32 0xff80, v80
	s_cbranch_execz .LBB2_4930
; %bb.4923:                             ;   in Loop: Header=BB2_4512 Depth=2
	v_and_b32_e32 v36, 0x7c, v17
	v_and_b32_e32 v71, 3, v17
	s_delay_alu instid0(VALU_DEP_2) | instskip(SKIP_1) | instid1(SALU_CYCLE_1)
	v_cmp_ne_u32_e32 vcc_lo, 0x7c, v36
                                        ; implicit-def: $vgpr36
	s_and_saveexec_b32 s42, vcc_lo
	s_xor_b32 s42, exec_lo, s42
	s_cbranch_execz .LBB2_4927
; %bb.4924:                             ;   in Loop: Header=BB2_4512 Depth=2
	v_bfe_u32 v36, v17, 2, 5
	s_mov_b32 s43, exec_lo
	s_delay_alu instid0(VALU_DEP_1)
	v_cmpx_eq_u32_e32 0, v36
	s_cbranch_execz .LBB2_4926
; %bb.4925:                             ;   in Loop: Header=BB2_4512 Depth=2
	v_clz_i32_u32_e32 v36, v71
	s_delay_alu instid0(VALU_DEP_1) | instskip(SKIP_1) | instid1(VALU_DEP_2)
	v_min_u32_e32 v36, 32, v36
	v_mov_b32_e32 v81, v37
	v_subrev_nc_u32_e32 v71, 29, v36
	v_sub_nc_u32_e32 v36, 30, v36
	s_delay_alu instid0(VALU_DEP_2) | instskip(NEXT) | instid1(VALU_DEP_1)
	v_lshlrev_b64_e32 v[84:85], v71, v[80:81]
	v_and_b32_e32 v71, 3, v84
.LBB2_4926:                             ;   in Loop: Header=BB2_4512 Depth=2
	s_or_b32 exec_lo, exec_lo, s43
	v_bfe_i32 v81, v80, 0, 16
	s_delay_alu instid0(VALU_DEP_1) | instskip(NEXT) | instid1(VALU_DEP_1)
	v_and_b32_e32 v81, 0x80000000, v81
	v_lshl_add_u32 v36, v36, 23, v81
	s_delay_alu instid0(VALU_DEP_1) | instskip(NEXT) | instid1(VALU_DEP_1)
	v_lshl_or_b32 v36, v71, 21, v36
                                        ; implicit-def: $vgpr71
	v_add_nc_u32_e32 v36, 0x38000000, v36
.LBB2_4927:                             ;   in Loop: Header=BB2_4512 Depth=2
	s_and_not1_saveexec_b32 s42, s42
; %bb.4928:                             ;   in Loop: Header=BB2_4512 Depth=2
	v_cmp_lt_i16_e32 vcc_lo, -1, v80
	v_cndmask_b32_e32 v36, 0xff800000, v45, vcc_lo
	v_cmp_eq_u32_e32 vcc_lo, 0, v71
	s_delay_alu instid0(VALU_DEP_2)
	v_cndmask_b32_e32 v36, 0x7f800001, v36, vcc_lo
; %bb.4929:                             ;   in Loop: Header=BB2_4512 Depth=2
	s_or_b32 exec_lo, exec_lo, s42
.LBB2_4930:                             ;   in Loop: Header=BB2_4512 Depth=2
	s_delay_alu instid0(SALU_CYCLE_1)
	s_or_b32 exec_lo, exec_lo, s41
.LBB2_4931:                             ;   in Loop: Header=BB2_4512 Depth=2
	s_delay_alu instid0(SALU_CYCLE_1) | instskip(NEXT) | instid1(SALU_CYCLE_1)
	s_or_b32 exec_lo, exec_lo, s14
	s_mov_b32 s14, exec_lo
	s_wait_loadcnt_dscnt 0x101
	v_cmpx_ne_u16_e32 0, v70
	s_cbranch_execz .LBB2_4941
; %bb.4932:                             ;   in Loop: Header=BB2_4512 Depth=2
	v_bfrev_b32_e32 v69, 1
	s_mov_b32 s41, exec_lo
	v_cmpx_ne_u16_e32 0xff80, v70
	s_cbranch_execz .LBB2_4940
; %bb.4933:                             ;   in Loop: Header=BB2_4512 Depth=2
	v_and_b32_e32 v69, 0x7c, v70
	v_and_b32_e32 v71, 3, v70
	s_delay_alu instid0(VALU_DEP_2) | instskip(SKIP_1) | instid1(SALU_CYCLE_1)
	v_cmp_ne_u32_e32 vcc_lo, 0x7c, v69
                                        ; implicit-def: $vgpr69
	s_and_saveexec_b32 s42, vcc_lo
	s_xor_b32 s42, exec_lo, s42
	s_cbranch_execz .LBB2_4937
; %bb.4934:                             ;   in Loop: Header=BB2_4512 Depth=2
	v_and_b32_e32 v69, 0xff, v70
	s_mov_b32 s43, exec_lo
	s_delay_alu instid0(VALU_DEP_1) | instskip(NEXT) | instid1(VALU_DEP_1)
	v_bfe_u32 v69, v69, 2, 5
	v_cmpx_eq_u32_e32 0, v69
	s_cbranch_execz .LBB2_4936
; %bb.4935:                             ;   in Loop: Header=BB2_4512 Depth=2
	v_clz_i32_u32_e32 v69, v71
	s_delay_alu instid0(VALU_DEP_1) | instskip(SKIP_1) | instid1(VALU_DEP_2)
	v_min_u32_e32 v69, 32, v69
	v_mov_b32_e32 v71, v37
	v_subrev_nc_u32_e32 v81, 29, v69
	v_sub_nc_u32_e32 v69, 30, v69
	s_delay_alu instid0(VALU_DEP_2) | instskip(NEXT) | instid1(VALU_DEP_1)
	v_lshlrev_b64_e32 v[84:85], v81, v[70:71]
	v_and_b32_e32 v71, 3, v84
.LBB2_4936:                             ;   in Loop: Header=BB2_4512 Depth=2
	s_or_b32 exec_lo, exec_lo, s43
	v_bfe_i32 v81, v70, 0, 16
	s_delay_alu instid0(VALU_DEP_1) | instskip(NEXT) | instid1(VALU_DEP_1)
	v_and_b32_e32 v81, 0x80000000, v81
	v_lshl_add_u32 v69, v69, 23, v81
	s_delay_alu instid0(VALU_DEP_1) | instskip(NEXT) | instid1(VALU_DEP_1)
	v_lshl_or_b32 v69, v71, 21, v69
                                        ; implicit-def: $vgpr71
	v_add_nc_u32_e32 v69, 0x38000000, v69
.LBB2_4937:                             ;   in Loop: Header=BB2_4512 Depth=2
	s_and_not1_saveexec_b32 s42, s42
; %bb.4938:                             ;   in Loop: Header=BB2_4512 Depth=2
	v_cmp_lt_i16_e32 vcc_lo, -1, v70
	v_cndmask_b32_e32 v69, 0xff800000, v45, vcc_lo
	v_cmp_eq_u32_e32 vcc_lo, 0, v71
	s_delay_alu instid0(VALU_DEP_2)
	v_cndmask_b32_e32 v69, 0x7f800001, v69, vcc_lo
; %bb.4939:                             ;   in Loop: Header=BB2_4512 Depth=2
	s_or_b32 exec_lo, exec_lo, s42
.LBB2_4940:                             ;   in Loop: Header=BB2_4512 Depth=2
	s_delay_alu instid0(SALU_CYCLE_1)
	s_or_b32 exec_lo, exec_lo, s41
.LBB2_4941:                             ;   in Loop: Header=BB2_4512 Depth=2
	s_delay_alu instid0(SALU_CYCLE_1) | instskip(NEXT) | instid1(VALU_DEP_1)
	s_or_b32 exec_lo, exec_lo, s14
	v_dual_max_num_f32 v69, v69, v69 :: v_dual_max_num_f32 v36, v36, v36
	s_mov_b32 s14, 0
	s_delay_alu instid0(VALU_DEP_1)
	v_max_num_f32_e32 v69, v36, v69
.LBB2_4942:                             ;   in Loop: Header=BB2_4512 Depth=2
	s_and_b32 vcc_lo, exec_lo, s14
	s_cbranch_vccz .LBB2_4964
; %bb.4943:                             ;   in Loop: Header=BB2_4512 Depth=2
	v_dual_mov_b32 v69, 0 :: v_dual_mov_b32 v36, 0
	s_and_saveexec_b32 s14, s7
	s_cbranch_execz .LBB2_4953
; %bb.4944:                             ;   in Loop: Header=BB2_4512 Depth=2
	v_bfrev_b32_e32 v36, 1
	s_mov_b32 s7, exec_lo
	v_cmpx_ne_u16_e32 0xff80, v80
	s_cbranch_execz .LBB2_4952
; %bb.4945:                             ;   in Loop: Header=BB2_4512 Depth=2
	v_and_b32_e32 v36, 0x7c, v17
	v_and_b32_e32 v71, 3, v17
	s_delay_alu instid0(VALU_DEP_2) | instskip(SKIP_1) | instid1(SALU_CYCLE_1)
	v_cmp_ne_u32_e32 vcc_lo, 0x7c, v36
                                        ; implicit-def: $vgpr36
	s_and_saveexec_b32 s41, vcc_lo
	s_xor_b32 s41, exec_lo, s41
	s_cbranch_execz .LBB2_4949
; %bb.4946:                             ;   in Loop: Header=BB2_4512 Depth=2
	v_bfe_u32 v17, v17, 2, 5
	s_mov_b32 s42, exec_lo
	s_delay_alu instid0(VALU_DEP_1)
	v_cmpx_eq_u32_e32 0, v17
	s_cbranch_execz .LBB2_4948
; %bb.4947:                             ;   in Loop: Header=BB2_4512 Depth=2
	v_clz_i32_u32_e32 v17, v71
	s_delay_alu instid0(VALU_DEP_1) | instskip(SKIP_1) | instid1(VALU_DEP_2)
	v_min_u32_e32 v17, 32, v17
	v_mov_b32_e32 v81, v37
	v_subrev_nc_u32_e32 v36, 29, v17
	v_sub_nc_u32_e32 v17, 30, v17
	s_delay_alu instid0(VALU_DEP_2) | instskip(NEXT) | instid1(VALU_DEP_1)
	v_lshlrev_b64_e32 v[84:85], v36, v[80:81]
	v_and_b32_e32 v71, 3, v84
.LBB2_4948:                             ;   in Loop: Header=BB2_4512 Depth=2
	s_or_b32 exec_lo, exec_lo, s42
	v_bfe_i32 v36, v80, 0, 16
                                        ; implicit-def: $vgpr80
	s_delay_alu instid0(VALU_DEP_1) | instskip(NEXT) | instid1(VALU_DEP_1)
	v_and_b32_e32 v36, 0x80000000, v36
	v_lshl_add_u32 v17, v17, 23, v36
	s_delay_alu instid0(VALU_DEP_1) | instskip(NEXT) | instid1(VALU_DEP_1)
	v_lshl_or_b32 v17, v71, 21, v17
                                        ; implicit-def: $vgpr71
	v_add_nc_u32_e32 v36, 0x38000000, v17
.LBB2_4949:                             ;   in Loop: Header=BB2_4512 Depth=2
	s_and_not1_saveexec_b32 s41, s41
; %bb.4950:                             ;   in Loop: Header=BB2_4512 Depth=2
	v_cmp_lt_i16_e32 vcc_lo, -1, v80
	v_cndmask_b32_e32 v17, 0xff800000, v45, vcc_lo
	v_cmp_eq_u32_e32 vcc_lo, 0, v71
	s_delay_alu instid0(VALU_DEP_2)
	v_cndmask_b32_e32 v36, 0x7f800001, v17, vcc_lo
; %bb.4951:                             ;   in Loop: Header=BB2_4512 Depth=2
	s_or_b32 exec_lo, exec_lo, s41
.LBB2_4952:                             ;   in Loop: Header=BB2_4512 Depth=2
	s_delay_alu instid0(SALU_CYCLE_1)
	s_or_b32 exec_lo, exec_lo, s7
.LBB2_4953:                             ;   in Loop: Header=BB2_4512 Depth=2
	s_delay_alu instid0(SALU_CYCLE_1) | instskip(NEXT) | instid1(SALU_CYCLE_1)
	s_or_b32 exec_lo, exec_lo, s14
	s_mov_b32 s7, exec_lo
	s_wait_loadcnt_dscnt 0x101
	v_cmpx_ne_u16_e32 0, v70
	s_cbranch_execz .LBB2_4963
; %bb.4954:                             ;   in Loop: Header=BB2_4512 Depth=2
	v_bfrev_b32_e32 v69, 1
	s_mov_b32 s14, exec_lo
	v_cmpx_ne_u16_e32 0xff80, v70
	s_cbranch_execz .LBB2_4962
; %bb.4955:                             ;   in Loop: Header=BB2_4512 Depth=2
	v_and_b32_e32 v69, 0x7c, v70
	v_and_b32_e32 v17, 3, v70
	s_delay_alu instid0(VALU_DEP_2) | instskip(SKIP_1) | instid1(SALU_CYCLE_1)
	v_cmp_ne_u32_e32 vcc_lo, 0x7c, v69
                                        ; implicit-def: $vgpr69
	s_and_saveexec_b32 s41, vcc_lo
	s_xor_b32 s41, exec_lo, s41
	s_cbranch_execz .LBB2_4959
; %bb.4956:                             ;   in Loop: Header=BB2_4512 Depth=2
	v_and_b32_e32 v69, 0xff, v70
	s_mov_b32 s42, exec_lo
	s_delay_alu instid0(VALU_DEP_1) | instskip(NEXT) | instid1(VALU_DEP_1)
	v_bfe_u32 v69, v69, 2, 5
	v_cmpx_eq_u32_e32 0, v69
; %bb.4957:                             ;   in Loop: Header=BB2_4512 Depth=2
	v_clz_i32_u32_e32 v17, v17
	s_delay_alu instid0(VALU_DEP_1) | instskip(SKIP_1) | instid1(VALU_DEP_2)
	v_min_u32_e32 v17, 32, v17
	v_mov_b32_e32 v71, v37
	v_subrev_nc_u32_e32 v69, 29, v17
	s_delay_alu instid0(VALU_DEP_1) | instskip(NEXT) | instid1(VALU_DEP_1)
	v_lshlrev_b64_e32 v[80:81], v69, v[70:71]
	v_dual_sub_nc_u32 v69, 30, v17 :: v_dual_bitop2_b32 v17, 3, v80 bitop3:0x40
; %bb.4958:                             ;   in Loop: Header=BB2_4512 Depth=2
	s_or_b32 exec_lo, exec_lo, s42
	v_bfe_i32 v70, v70, 0, 16
	s_delay_alu instid0(VALU_DEP_1) | instskip(NEXT) | instid1(VALU_DEP_1)
	v_and_b32_e32 v70, 0x80000000, v70
	v_lshl_add_u32 v69, v69, 23, v70
                                        ; implicit-def: $vgpr70
	s_delay_alu instid0(VALU_DEP_1) | instskip(NEXT) | instid1(VALU_DEP_1)
	v_lshl_or_b32 v17, v17, 21, v69
	v_add_nc_u32_e32 v69, 0x38000000, v17
                                        ; implicit-def: $vgpr17
.LBB2_4959:                             ;   in Loop: Header=BB2_4512 Depth=2
	s_and_not1_saveexec_b32 s41, s41
; %bb.4960:                             ;   in Loop: Header=BB2_4512 Depth=2
	v_cmp_lt_i16_e32 vcc_lo, -1, v70
	v_cndmask_b32_e32 v69, 0xff800000, v45, vcc_lo
	v_cmp_eq_u32_e32 vcc_lo, 0, v17
	s_delay_alu instid0(VALU_DEP_2)
	v_cndmask_b32_e32 v69, 0x7f800001, v69, vcc_lo
; %bb.4961:                             ;   in Loop: Header=BB2_4512 Depth=2
	s_or_b32 exec_lo, exec_lo, s41
.LBB2_4962:                             ;   in Loop: Header=BB2_4512 Depth=2
	s_delay_alu instid0(SALU_CYCLE_1)
	s_or_b32 exec_lo, exec_lo, s14
.LBB2_4963:                             ;   in Loop: Header=BB2_4512 Depth=2
	s_delay_alu instid0(SALU_CYCLE_1) | instskip(NEXT) | instid1(VALU_DEP_1)
	s_or_b32 exec_lo, exec_lo, s7
	v_dual_max_num_f32 v17, v69, v69 :: v_dual_max_num_f32 v36, v36, v36
	s_delay_alu instid0(VALU_DEP_1)
	v_min_num_f32_e32 v69, v36, v17
.LBB2_4964:                             ;   in Loop: Header=BB2_4512 Depth=2
	s_wait_loadcnt_dscnt 0x101
	s_delay_alu instid0(VALU_DEP_1) | instskip(SKIP_2) | instid1(VALU_DEP_2)
	v_and_b32_e32 v70, 0x7f800000, v69
	v_mov_b32_e32 v71, v37
	v_and_b32_e32 v36, 0x7fffff, v69
	v_cmp_ne_u64_e32 vcc_lo, 0x7f800000, v[70:71]
                                        ; implicit-def: $vgpr71
	s_and_saveexec_b32 s7, vcc_lo
	s_delay_alu instid0(SALU_CYCLE_1)
	s_xor_b32 s14, exec_lo, s7
	s_cbranch_execz .LBB2_4982
; %bb.4965:                             ;   in Loop: Header=BB2_4512 Depth=2
	v_and_b32_e32 v70, 0x7fffffff, v69
	v_dual_mov_b32 v71, v37 :: v_dual_lshrrev_b32 v17, 24, v69
	s_delay_alu instid0(VALU_DEP_1) | instskip(NEXT) | instid1(VALU_DEP_2)
	v_cmp_gt_u64_e32 vcc_lo, 0x47600001, v[70:71]
	v_and_b32_e32 v17, 0x80, v17
                                        ; implicit-def: $vgpr71
	s_and_saveexec_b32 s7, vcc_lo
	s_delay_alu instid0(SALU_CYCLE_1)
	s_xor_b32 s41, exec_lo, s7
	s_cbranch_execz .LBB2_4979
; %bb.4966:                             ;   in Loop: Header=BB2_4512 Depth=2
	v_mov_b32_e32 v71, 0
	s_mov_b32 s42, exec_lo
	v_cmpx_ne_u32_e32 0, v69
	s_cbranch_execz .LBB2_4978
; %bb.4967:                             ;   in Loop: Header=BB2_4512 Depth=2
	v_bfe_u32 v69, v69, 23, 8
	v_or_b32_e32 v80, 0x800000, v36
	s_delay_alu instid0(VALU_DEP_2) | instskip(SKIP_1) | instid1(VALU_DEP_2)
	v_sub_nc_u32_e32 v70, 0x71, v69
	v_cmp_gt_u32_e32 vcc_lo, 0x72, v69
	v_cndmask_b32_e32 v70, 0, v70, vcc_lo
	v_cmp_eq_u32_e32 vcc_lo, 0, v69
	v_cndmask_b32_e32 v36, v80, v36, vcc_lo
	s_delay_alu instid0(VALU_DEP_3) | instskip(NEXT) | instid1(VALU_DEP_1)
	v_cndmask_b32_e64 v82, v70, 0x70, vcc_lo
	v_dual_add_nc_u32 v70, 21, v82 :: v_dual_add_nc_u32 v81, 20, v82
	s_delay_alu instid0(VALU_DEP_1) | instskip(NEXT) | instid1(VALU_DEP_2)
	v_lshlrev_b64_e64 v[70:71], v70, -1
	v_lshlrev_b64_e64 v[80:81], v81, 1
	s_delay_alu instid0(VALU_DEP_2) | instskip(NEXT) | instid1(VALU_DEP_3)
	v_bfi_b32 v85, v71, 0, 0
	v_bfi_b32 v84, v70, 0, v36
	v_lshrrev_b64 v[70:71], v82, v[36:37]
	s_delay_alu instid0(VALU_DEP_2) | instskip(NEXT) | instid1(VALU_DEP_2)
	v_cmp_eq_u64_e64 s7, v[84:85], v[80:81]
	v_mov_b64_e32 v[80:81], v[70:71]
	s_and_saveexec_b32 s43, s7
; %bb.4968:                             ;   in Loop: Header=BB2_4512 Depth=2
	v_bfe_u32 v36, v70, 21, 1
	s_delay_alu instid0(VALU_DEP_1) | instskip(NEXT) | instid1(VALU_DEP_1)
	v_add_nc_u64_e32 v[80:81], v[70:71], v[36:37]
	v_add_nc_u64_e32 v[80:81], -1, v[80:81]
; %bb.4969:                             ;   in Loop: Header=BB2_4512 Depth=2
	s_or_b32 exec_lo, exec_lo, s43
	v_add_nc_u32_e32 v36, 0xffffff81, v69
	v_lshrrev_b32_e32 v69, 23, v70
	s_mov_b32 s7, exec_lo
	s_delay_alu instid0(VALU_DEP_2) | instskip(NEXT) | instid1(VALU_DEP_1)
	v_cndmask_b32_e64 v36, v36, 0xffffff82, vcc_lo
	v_add3_u32 v81, v82, v36, v69
	v_and_b32_e32 v36, 0x1fffff, v80
                                        ; implicit-def: $vgpr69
	s_delay_alu instid0(VALU_DEP_1) | instskip(NEXT) | instid1(VALU_DEP_1)
	v_dual_add_nc_u32 v80, 14, v81 :: v_dual_add_nc_u32 v36, v36, v70
                                        ; implicit-def: $vgpr70_vgpr71
	v_cmpx_ne_u32_e32 0, v80
	s_xor_b32 s7, exec_lo, s7
; %bb.4970:                             ;   in Loop: Header=BB2_4512 Depth=2
	s_delay_alu instid0(VALU_DEP_2) | instskip(SKIP_2) | instid1(VALU_DEP_2)
	v_cmp_lt_u64_e32 vcc_lo, 0xffffff, v[36:37]
	v_add_nc_u32_e32 v69, 15, v81
	v_cndmask_b32_e64 v70, 0, 1, vcc_lo
	v_cndmask_b32_e32 v69, v80, v69, vcc_lo
	s_delay_alu instid0(VALU_DEP_2)
	v_lshrrev_b64 v[70:71], v70, v[36:37]
; %bb.4971:                             ;   in Loop: Header=BB2_4512 Depth=2
	s_and_not1_saveexec_b32 s7, s7
; %bb.4972:                             ;   in Loop: Header=BB2_4512 Depth=2
	v_mov_b64_e32 v[70:71], v[36:37]
	v_bfe_u32 v69, v36, 23, 1
; %bb.4973:                             ;   in Loop: Header=BB2_4512 Depth=2
	s_or_b32 exec_lo, exec_lo, s7
	s_delay_alu instid0(VALU_DEP_2) | instskip(NEXT) | instid1(VALU_DEP_2)
	v_lshrrev_b64 v[70:71], 21, v[70:71]
	v_cmp_gt_i32_e32 vcc_lo, 32, v69
	v_cmp_ne_u32_e64 s7, 0, v69
	s_delay_alu instid0(VALU_DEP_3) | instskip(NEXT) | instid1(VALU_DEP_1)
	v_dual_cndmask_b32 v71, 0, v71 :: v_dual_cndmask_b32 v70, 3, v70
	v_cmp_ne_u64_e32 vcc_lo, 0, v[70:71]
                                        ; implicit-def: $vgpr71
	s_or_b32 s7, s7, vcc_lo
	s_delay_alu instid0(SALU_CYCLE_1) | instskip(NEXT) | instid1(SALU_CYCLE_1)
	s_and_saveexec_b32 s43, s7
	s_xor_b32 s7, exec_lo, s43
; %bb.4974:                             ;   in Loop: Header=BB2_4512 Depth=2
	v_min_i32_e32 v36, 31, v69
	s_delay_alu instid0(VALU_DEP_1) | instskip(NEXT) | instid1(VALU_DEP_1)
	v_lshl_or_b32 v17, v36, 2, v17
	v_and_or_b32 v71, v70, 3, v17
                                        ; implicit-def: $vgpr17
; %bb.4975:                             ;   in Loop: Header=BB2_4512 Depth=2
	s_and_not1_saveexec_b32 s7, s7
; %bb.4976:                             ;   in Loop: Header=BB2_4512 Depth=2
	v_mov_b32_e32 v71, v17
; %bb.4977:                             ;   in Loop: Header=BB2_4512 Depth=2
	s_or_b32 exec_lo, exec_lo, s7
.LBB2_4978:                             ;   in Loop: Header=BB2_4512 Depth=2
	s_delay_alu instid0(SALU_CYCLE_1)
	s_or_b32 exec_lo, exec_lo, s42
                                        ; implicit-def: $vgpr17
.LBB2_4979:                             ;   in Loop: Header=BB2_4512 Depth=2
	s_and_not1_saveexec_b32 s7, s41
; %bb.4980:                             ;   in Loop: Header=BB2_4512 Depth=2
	v_or_b32_e32 v71, 0x7b, v17
; %bb.4981:                             ;   in Loop: Header=BB2_4512 Depth=2
	s_or_b32 exec_lo, exec_lo, s7
                                        ; implicit-def: $vgpr69
.LBB2_4982:                             ;   in Loop: Header=BB2_4512 Depth=2
	s_and_not1_saveexec_b32 s7, s14
	s_cbranch_execz .LBB2_4988
; %bb.4983:                             ;   in Loop: Header=BB2_4512 Depth=2
	s_mov_b32 s14, exec_lo
                                        ; implicit-def: $vgpr71
	v_cmpx_ne_u64_e32 0, v[36:37]
	s_xor_b32 s14, exec_lo, s14
; %bb.4984:                             ;   in Loop: Header=BB2_4512 Depth=2
	v_lshrrev_b32_e32 v17, 24, v69
                                        ; implicit-def: $vgpr69
	s_delay_alu instid0(VALU_DEP_1)
	v_or_b32_e32 v71, 0x7f, v17
; %bb.4985:                             ;   in Loop: Header=BB2_4512 Depth=2
	s_and_not1_saveexec_b32 s14, s14
; %bb.4986:                             ;   in Loop: Header=BB2_4512 Depth=2
	v_cmp_lt_i32_e32 vcc_lo, -1, v69
	v_cndmask_b32_e64 v71, -4, 0x7c, vcc_lo
; %bb.4987:                             ;   in Loop: Header=BB2_4512 Depth=2
	s_or_b32 exec_lo, exec_lo, s14
.LBB2_4988:                             ;   in Loop: Header=BB2_4512 Depth=2
	s_delay_alu instid0(SALU_CYCLE_1)
	s_or_b32 exec_lo, exec_lo, s7
	v_and_b32_e32 v36, 0xff, v68
	v_cmp_ne_u16_e64 s7, 0, v68
	s_and_not1_b32 vcc_lo, exec_lo, s13
	s_mov_b32 s14, -1
                                        ; implicit-def: $vgpr69
	s_cbranch_vccnz .LBB2_5010
; %bb.4989:                             ;   in Loop: Header=BB2_4512 Depth=2
	v_dual_mov_b32 v17, 0 :: v_dual_mov_b32 v69, 0
	s_and_saveexec_b32 s14, s7
	s_cbranch_execz .LBB2_4999
; %bb.4990:                             ;   in Loop: Header=BB2_4512 Depth=2
	v_bfrev_b32_e32 v69, 1
	s_mov_b32 s41, exec_lo
	v_cmpx_ne_u16_e32 0xff80, v68
	s_cbranch_execz .LBB2_4998
; %bb.4991:                             ;   in Loop: Header=BB2_4512 Depth=2
	v_and_b32_e32 v69, 0x7c, v36
	v_and_b32_e32 v70, 3, v36
	s_delay_alu instid0(VALU_DEP_2) | instskip(SKIP_1) | instid1(SALU_CYCLE_1)
	v_cmp_ne_u32_e32 vcc_lo, 0x7c, v69
                                        ; implicit-def: $vgpr69
	s_and_saveexec_b32 s42, vcc_lo
	s_xor_b32 s42, exec_lo, s42
	s_cbranch_execz .LBB2_4995
; %bb.4992:                             ;   in Loop: Header=BB2_4512 Depth=2
	v_bfe_u32 v69, v36, 2, 5
	s_mov_b32 s43, exec_lo
	s_delay_alu instid0(VALU_DEP_1)
	v_cmpx_eq_u32_e32 0, v69
; %bb.4993:                             ;   in Loop: Header=BB2_4512 Depth=2
	v_clz_i32_u32_e32 v69, v70
	s_delay_alu instid0(VALU_DEP_1) | instskip(SKIP_1) | instid1(VALU_DEP_2)
	v_min_u32_e32 v70, 32, v69
	v_mov_b32_e32 v69, v37
	v_subrev_nc_u32_e32 v80, 29, v70
	s_delay_alu instid0(VALU_DEP_1) | instskip(NEXT) | instid1(VALU_DEP_1)
	v_lshlrev_b64_e32 v[80:81], v80, v[68:69]
	v_dual_sub_nc_u32 v69, 30, v70 :: v_dual_bitop2_b32 v70, 3, v80 bitop3:0x40
; %bb.4994:                             ;   in Loop: Header=BB2_4512 Depth=2
	s_or_b32 exec_lo, exec_lo, s43
	v_bfe_i32 v80, v68, 0, 16
	s_delay_alu instid0(VALU_DEP_1) | instskip(NEXT) | instid1(VALU_DEP_1)
	v_and_b32_e32 v80, 0x80000000, v80
	v_lshl_add_u32 v69, v69, 23, v80
	s_delay_alu instid0(VALU_DEP_1) | instskip(NEXT) | instid1(VALU_DEP_1)
	v_lshl_or_b32 v69, v70, 21, v69
                                        ; implicit-def: $vgpr70
	v_add_nc_u32_e32 v69, 0x38000000, v69
.LBB2_4995:                             ;   in Loop: Header=BB2_4512 Depth=2
	s_and_not1_saveexec_b32 s42, s42
; %bb.4996:                             ;   in Loop: Header=BB2_4512 Depth=2
	v_cmp_lt_i16_e32 vcc_lo, -1, v68
	v_cndmask_b32_e32 v69, 0xff800000, v45, vcc_lo
	v_cmp_eq_u32_e32 vcc_lo, 0, v70
	s_delay_alu instid0(VALU_DEP_2)
	v_cndmask_b32_e32 v69, 0x7f800001, v69, vcc_lo
; %bb.4997:                             ;   in Loop: Header=BB2_4512 Depth=2
	s_or_b32 exec_lo, exec_lo, s42
.LBB2_4998:                             ;   in Loop: Header=BB2_4512 Depth=2
	s_delay_alu instid0(SALU_CYCLE_1)
	s_or_b32 exec_lo, exec_lo, s41
.LBB2_4999:                             ;   in Loop: Header=BB2_4512 Depth=2
	s_delay_alu instid0(SALU_CYCLE_1) | instskip(NEXT) | instid1(SALU_CYCLE_1)
	s_or_b32 exec_lo, exec_lo, s14
	s_mov_b32 s14, exec_lo
	s_wait_loadcnt_dscnt 0x0
	v_cmpx_ne_u16_e32 0, v16
	s_cbranch_execz .LBB2_5009
; %bb.5000:                             ;   in Loop: Header=BB2_4512 Depth=2
	v_bfrev_b32_e32 v17, 1
	s_mov_b32 s41, exec_lo
	v_cmpx_ne_u16_e32 0xff80, v16
	s_cbranch_execz .LBB2_5008
; %bb.5001:                             ;   in Loop: Header=BB2_4512 Depth=2
	v_and_b32_e32 v17, 0x7c, v16
	v_and_b32_e32 v70, 3, v16
	s_delay_alu instid0(VALU_DEP_2) | instskip(SKIP_1) | instid1(SALU_CYCLE_1)
	v_cmp_ne_u32_e32 vcc_lo, 0x7c, v17
                                        ; implicit-def: $vgpr17
	s_and_saveexec_b32 s42, vcc_lo
	s_xor_b32 s42, exec_lo, s42
	s_cbranch_execz .LBB2_5005
; %bb.5002:                             ;   in Loop: Header=BB2_4512 Depth=2
	v_and_b32_e32 v17, 0xff, v16
	s_mov_b32 s43, exec_lo
	s_delay_alu instid0(VALU_DEP_1) | instskip(NEXT) | instid1(VALU_DEP_1)
	v_bfe_u32 v17, v17, 2, 5
	v_cmpx_eq_u32_e32 0, v17
; %bb.5003:                             ;   in Loop: Header=BB2_4512 Depth=2
	v_clz_i32_u32_e32 v17, v70
	s_delay_alu instid0(VALU_DEP_1) | instskip(SKIP_1) | instid1(VALU_DEP_2)
	v_min_u32_e32 v70, 32, v17
	v_mov_b32_e32 v17, v37
	v_subrev_nc_u32_e32 v80, 29, v70
	s_delay_alu instid0(VALU_DEP_1) | instskip(NEXT) | instid1(VALU_DEP_1)
	v_lshlrev_b64_e32 v[80:81], v80, v[16:17]
	v_dual_sub_nc_u32 v17, 30, v70 :: v_dual_bitop2_b32 v70, 3, v80 bitop3:0x40
; %bb.5004:                             ;   in Loop: Header=BB2_4512 Depth=2
	s_or_b32 exec_lo, exec_lo, s43
	v_bfe_i32 v80, v16, 0, 16
	s_delay_alu instid0(VALU_DEP_1) | instskip(NEXT) | instid1(VALU_DEP_1)
	v_and_b32_e32 v80, 0x80000000, v80
	v_lshl_add_u32 v17, v17, 23, v80
	s_delay_alu instid0(VALU_DEP_1) | instskip(NEXT) | instid1(VALU_DEP_1)
	v_lshl_or_b32 v17, v70, 21, v17
                                        ; implicit-def: $vgpr70
	v_add_nc_u32_e32 v17, 0x38000000, v17
.LBB2_5005:                             ;   in Loop: Header=BB2_4512 Depth=2
	s_and_not1_saveexec_b32 s42, s42
; %bb.5006:                             ;   in Loop: Header=BB2_4512 Depth=2
	v_cmp_lt_i16_e32 vcc_lo, -1, v16
	v_cndmask_b32_e32 v17, 0xff800000, v45, vcc_lo
	v_cmp_eq_u32_e32 vcc_lo, 0, v70
	s_delay_alu instid0(VALU_DEP_2)
	v_cndmask_b32_e32 v17, 0x7f800001, v17, vcc_lo
; %bb.5007:                             ;   in Loop: Header=BB2_4512 Depth=2
	s_or_b32 exec_lo, exec_lo, s42
.LBB2_5008:                             ;   in Loop: Header=BB2_4512 Depth=2
	s_delay_alu instid0(SALU_CYCLE_1)
	s_or_b32 exec_lo, exec_lo, s41
.LBB2_5009:                             ;   in Loop: Header=BB2_4512 Depth=2
	s_delay_alu instid0(SALU_CYCLE_1) | instskip(NEXT) | instid1(VALU_DEP_1)
	s_or_b32 exec_lo, exec_lo, s14
	v_max_num_f32_e32 v17, v17, v17
	v_max_num_f32_e32 v69, v69, v69
	s_mov_b32 s14, 0
	s_delay_alu instid0(VALU_DEP_1)
	v_max_num_f32_e32 v69, v69, v17
.LBB2_5010:                             ;   in Loop: Header=BB2_4512 Depth=2
	s_and_b32 vcc_lo, exec_lo, s14
	s_cbranch_vccz .LBB2_5032
; %bb.5011:                             ;   in Loop: Header=BB2_4512 Depth=2
	v_dual_mov_b32 v17, 0 :: v_dual_mov_b32 v69, 0
	s_and_saveexec_b32 s14, s7
	s_cbranch_execz .LBB2_5021
; %bb.5012:                             ;   in Loop: Header=BB2_4512 Depth=2
	v_bfrev_b32_e32 v69, 1
	s_mov_b32 s7, exec_lo
	v_cmpx_ne_u16_e32 0xff80, v68
	s_cbranch_execz .LBB2_5020
; %bb.5013:                             ;   in Loop: Header=BB2_4512 Depth=2
	v_and_b32_e32 v69, 0x7c, v36
	v_and_b32_e32 v70, 3, v36
	s_delay_alu instid0(VALU_DEP_2) | instskip(SKIP_1) | instid1(SALU_CYCLE_1)
	v_cmp_ne_u32_e32 vcc_lo, 0x7c, v69
                                        ; implicit-def: $vgpr69
	s_and_saveexec_b32 s41, vcc_lo
	s_xor_b32 s41, exec_lo, s41
	s_cbranch_execz .LBB2_5017
; %bb.5014:                             ;   in Loop: Header=BB2_4512 Depth=2
	v_bfe_u32 v36, v36, 2, 5
	s_mov_b32 s42, exec_lo
	s_delay_alu instid0(VALU_DEP_1)
	v_cmpx_eq_u32_e32 0, v36
	s_cbranch_execz .LBB2_5016
; %bb.5015:                             ;   in Loop: Header=BB2_4512 Depth=2
	v_clz_i32_u32_e32 v36, v70
	s_delay_alu instid0(VALU_DEP_1) | instskip(SKIP_1) | instid1(VALU_DEP_2)
	v_min_u32_e32 v36, 32, v36
	v_mov_b32_e32 v69, v37
	v_subrev_nc_u32_e32 v70, 29, v36
	v_sub_nc_u32_e32 v36, 30, v36
	s_delay_alu instid0(VALU_DEP_2) | instskip(NEXT) | instid1(VALU_DEP_1)
	v_lshlrev_b64_e32 v[80:81], v70, v[68:69]
	v_and_b32_e32 v70, 3, v80
.LBB2_5016:                             ;   in Loop: Header=BB2_4512 Depth=2
	s_or_b32 exec_lo, exec_lo, s42
	v_bfe_i32 v68, v68, 0, 16
	s_delay_alu instid0(VALU_DEP_1) | instskip(NEXT) | instid1(VALU_DEP_1)
	v_and_b32_e32 v68, 0x80000000, v68
	v_lshl_add_u32 v36, v36, 23, v68
                                        ; implicit-def: $vgpr68
	s_delay_alu instid0(VALU_DEP_1) | instskip(NEXT) | instid1(VALU_DEP_1)
	v_lshl_or_b32 v36, v70, 21, v36
                                        ; implicit-def: $vgpr70
	v_add_nc_u32_e32 v69, 0x38000000, v36
.LBB2_5017:                             ;   in Loop: Header=BB2_4512 Depth=2
	s_and_not1_saveexec_b32 s41, s41
; %bb.5018:                             ;   in Loop: Header=BB2_4512 Depth=2
	v_cmp_lt_i16_e32 vcc_lo, -1, v68
	v_cndmask_b32_e32 v36, 0xff800000, v45, vcc_lo
	v_cmp_eq_u32_e32 vcc_lo, 0, v70
	s_delay_alu instid0(VALU_DEP_2)
	v_cndmask_b32_e32 v69, 0x7f800001, v36, vcc_lo
; %bb.5019:                             ;   in Loop: Header=BB2_4512 Depth=2
	s_or_b32 exec_lo, exec_lo, s41
.LBB2_5020:                             ;   in Loop: Header=BB2_4512 Depth=2
	s_delay_alu instid0(SALU_CYCLE_1)
	s_or_b32 exec_lo, exec_lo, s7
.LBB2_5021:                             ;   in Loop: Header=BB2_4512 Depth=2
	s_delay_alu instid0(SALU_CYCLE_1) | instskip(NEXT) | instid1(SALU_CYCLE_1)
	s_or_b32 exec_lo, exec_lo, s14
	s_mov_b32 s7, exec_lo
	s_wait_loadcnt_dscnt 0x0
	v_cmpx_ne_u16_e32 0, v16
	s_cbranch_execz .LBB2_5031
; %bb.5022:                             ;   in Loop: Header=BB2_4512 Depth=2
	v_bfrev_b32_e32 v17, 1
	s_mov_b32 s14, exec_lo
	v_cmpx_ne_u16_e32 0xff80, v16
	s_cbranch_execz .LBB2_5030
; %bb.5023:                             ;   in Loop: Header=BB2_4512 Depth=2
	v_and_b32_e32 v17, 0x7c, v16
	v_and_b32_e32 v36, 3, v16
	s_delay_alu instid0(VALU_DEP_2) | instskip(SKIP_1) | instid1(SALU_CYCLE_1)
	v_cmp_ne_u32_e32 vcc_lo, 0x7c, v17
                                        ; implicit-def: $vgpr17
	s_and_saveexec_b32 s41, vcc_lo
	s_xor_b32 s41, exec_lo, s41
	s_cbranch_execz .LBB2_5027
; %bb.5024:                             ;   in Loop: Header=BB2_4512 Depth=2
	v_and_b32_e32 v17, 0xff, v16
	s_mov_b32 s42, exec_lo
	s_delay_alu instid0(VALU_DEP_1) | instskip(NEXT) | instid1(VALU_DEP_1)
	v_bfe_u32 v17, v17, 2, 5
	v_cmpx_eq_u32_e32 0, v17
	s_cbranch_execz .LBB2_5026
; %bb.5025:                             ;   in Loop: Header=BB2_4512 Depth=2
	v_clz_i32_u32_e32 v17, v36
	s_delay_alu instid0(VALU_DEP_1) | instskip(SKIP_1) | instid1(VALU_DEP_2)
	v_min_u32_e32 v36, 32, v17
	v_mov_b32_e32 v17, v37
	v_subrev_nc_u32_e32 v68, 29, v36
	s_delay_alu instid0(VALU_DEP_1) | instskip(SKIP_1) | instid1(VALU_DEP_2)
	v_lshlrev_b64_e32 v[80:81], v68, v[16:17]
	v_sub_nc_u32_e32 v17, 30, v36
	v_and_b32_e32 v36, 3, v80
.LBB2_5026:                             ;   in Loop: Header=BB2_4512 Depth=2
	s_or_b32 exec_lo, exec_lo, s42
	v_bfe_i32 v16, v16, 0, 16
	s_delay_alu instid0(VALU_DEP_1) | instskip(NEXT) | instid1(VALU_DEP_1)
	v_and_b32_e32 v16, 0x80000000, v16
	v_lshl_add_u32 v16, v17, 23, v16
	s_delay_alu instid0(VALU_DEP_1) | instskip(NEXT) | instid1(VALU_DEP_1)
	v_lshl_or_b32 v16, v36, 21, v16
                                        ; implicit-def: $vgpr36
	v_add_nc_u32_e32 v17, 0x38000000, v16
                                        ; implicit-def: $vgpr16
.LBB2_5027:                             ;   in Loop: Header=BB2_4512 Depth=2
	s_and_not1_saveexec_b32 s41, s41
; %bb.5028:                             ;   in Loop: Header=BB2_4512 Depth=2
	v_cmp_lt_i16_e32 vcc_lo, -1, v16
	v_cndmask_b32_e32 v16, 0xff800000, v45, vcc_lo
	v_cmp_eq_u32_e32 vcc_lo, 0, v36
	s_delay_alu instid0(VALU_DEP_2)
	v_cndmask_b32_e32 v17, 0x7f800001, v16, vcc_lo
; %bb.5029:                             ;   in Loop: Header=BB2_4512 Depth=2
	s_or_b32 exec_lo, exec_lo, s41
.LBB2_5030:                             ;   in Loop: Header=BB2_4512 Depth=2
	s_delay_alu instid0(SALU_CYCLE_1)
	s_or_b32 exec_lo, exec_lo, s14
.LBB2_5031:                             ;   in Loop: Header=BB2_4512 Depth=2
	s_delay_alu instid0(SALU_CYCLE_1) | instskip(NEXT) | instid1(VALU_DEP_1)
	s_or_b32 exec_lo, exec_lo, s7
	v_max_num_f32_e32 v16, v17, v17
	v_max_num_f32_e32 v17, v69, v69
	s_delay_alu instid0(VALU_DEP_1)
	v_min_num_f32_e32 v69, v17, v16
.LBB2_5032:                             ;   in Loop: Header=BB2_4512 Depth=2
	s_wait_loadcnt_dscnt 0x0
	s_delay_alu instid0(VALU_DEP_1) | instskip(SKIP_2) | instid1(VALU_DEP_2)
	v_and_b32_e32 v16, 0x7f800000, v69
	v_mov_b32_e32 v17, v37
	v_and_b32_e32 v36, 0x7fffff, v69
	v_cmp_ne_u64_e32 vcc_lo, 0x7f800000, v[16:17]
                                        ; implicit-def: $vgpr17
	s_and_saveexec_b32 s7, vcc_lo
	s_delay_alu instid0(SALU_CYCLE_1)
	s_xor_b32 s14, exec_lo, s7
	s_cbranch_execz .LBB2_5050
; %bb.5033:                             ;   in Loop: Header=BB2_4512 Depth=2
	v_and_b32_e32 v16, 0x7fffffff, v69
	v_dual_mov_b32 v17, v37 :: v_dual_lshrrev_b32 v68, 24, v69
	s_delay_alu instid0(VALU_DEP_1) | instskip(NEXT) | instid1(VALU_DEP_2)
	v_cmp_gt_u64_e32 vcc_lo, 0x47600001, v[16:17]
	v_and_b32_e32 v70, 0x80, v68
                                        ; implicit-def: $vgpr17
	s_and_saveexec_b32 s7, vcc_lo
	s_delay_alu instid0(SALU_CYCLE_1)
	s_xor_b32 s41, exec_lo, s7
	s_cbranch_execz .LBB2_5047
; %bb.5034:                             ;   in Loop: Header=BB2_4512 Depth=2
	v_mov_b32_e32 v17, 0
	s_mov_b32 s42, exec_lo
	v_cmpx_ne_u32_e32 0, v69
	s_cbranch_execz .LBB2_5046
; %bb.5035:                             ;   in Loop: Header=BB2_4512 Depth=2
	v_bfe_u32 v80, v69, 23, 8
	v_or_b32_e32 v68, 0x800000, v36
	s_delay_alu instid0(VALU_DEP_2) | instskip(SKIP_1) | instid1(VALU_DEP_2)
	v_sub_nc_u32_e32 v16, 0x71, v80
	v_cmp_gt_u32_e32 vcc_lo, 0x72, v80
	v_cndmask_b32_e32 v16, 0, v16, vcc_lo
	v_cmp_eq_u32_e32 vcc_lo, 0, v80
	s_delay_alu instid0(VALU_DEP_2) | instskip(NEXT) | instid1(VALU_DEP_1)
	v_cndmask_b32_e64 v81, v16, 0x70, vcc_lo
	v_dual_cndmask_b32 v36, v68, v36, vcc_lo :: v_dual_add_nc_u32 v16, 21, v81
	v_add_nc_u32_e32 v69, 20, v81
	s_delay_alu instid0(VALU_DEP_2) | instskip(NEXT) | instid1(VALU_DEP_2)
	v_lshlrev_b64_e64 v[16:17], v16, -1
	v_lshlrev_b64_e64 v[68:69], v69, 1
	s_delay_alu instid0(VALU_DEP_2) | instskip(NEXT) | instid1(VALU_DEP_3)
	v_bfi_b32 v85, v17, 0, 0
	v_bfi_b32 v84, v16, 0, v36
	v_lshrrev_b64 v[16:17], v81, v[36:37]
	s_delay_alu instid0(VALU_DEP_2) | instskip(NEXT) | instid1(VALU_DEP_2)
	v_cmp_eq_u64_e64 s7, v[84:85], v[68:69]
	v_mov_b64_e32 v[68:69], v[16:17]
	s_and_saveexec_b32 s43, s7
; %bb.5036:                             ;   in Loop: Header=BB2_4512 Depth=2
	v_bfe_u32 v36, v16, 21, 1
	s_delay_alu instid0(VALU_DEP_1) | instskip(NEXT) | instid1(VALU_DEP_1)
	v_add_nc_u64_e32 v[68:69], v[16:17], v[36:37]
	v_add_nc_u64_e32 v[68:69], -1, v[68:69]
; %bb.5037:                             ;   in Loop: Header=BB2_4512 Depth=2
	s_or_b32 exec_lo, exec_lo, s43
	v_add_nc_u32_e32 v17, 0xffffff81, v80
	v_lshrrev_b32_e32 v36, 23, v16
	s_mov_b32 s7, exec_lo
	s_delay_alu instid0(VALU_DEP_2) | instskip(NEXT) | instid1(VALU_DEP_1)
	v_cndmask_b32_e64 v17, v17, 0xffffff82, vcc_lo
	v_add3_u32 v69, v81, v17, v36
	v_and_b32_e32 v17, 0x1fffff, v68
                                        ; implicit-def: $vgpr68
	s_delay_alu instid0(VALU_DEP_1) | instskip(NEXT) | instid1(VALU_DEP_1)
	v_dual_add_nc_u32 v80, 14, v69 :: v_dual_add_nc_u32 v36, v17, v16
                                        ; implicit-def: $vgpr16_vgpr17
	v_cmpx_ne_u32_e32 0, v80
	s_xor_b32 s7, exec_lo, s7
; %bb.5038:                             ;   in Loop: Header=BB2_4512 Depth=2
	s_delay_alu instid0(VALU_DEP_2) | instskip(SKIP_1) | instid1(VALU_DEP_1)
	v_cmp_lt_u64_e32 vcc_lo, 0xffffff, v[36:37]
	v_add_nc_u32_e32 v16, 15, v69
	v_cndmask_b32_e32 v68, v80, v16, vcc_lo
	v_cndmask_b32_e64 v16, 0, 1, vcc_lo
	s_delay_alu instid0(VALU_DEP_1)
	v_lshrrev_b64 v[16:17], v16, v[36:37]
; %bb.5039:                             ;   in Loop: Header=BB2_4512 Depth=2
	s_and_not1_saveexec_b32 s7, s7
; %bb.5040:                             ;   in Loop: Header=BB2_4512 Depth=2
	v_mov_b64_e32 v[16:17], v[36:37]
	v_bfe_u32 v68, v36, 23, 1
; %bb.5041:                             ;   in Loop: Header=BB2_4512 Depth=2
	s_or_b32 exec_lo, exec_lo, s7
	s_delay_alu instid0(VALU_DEP_2) | instskip(NEXT) | instid1(VALU_DEP_2)
	v_lshrrev_b64 v[16:17], 21, v[16:17]
	v_cmp_gt_i32_e32 vcc_lo, 32, v68
	v_cmp_ne_u32_e64 s7, 0, v68
	s_delay_alu instid0(VALU_DEP_3) | instskip(NEXT) | instid1(VALU_DEP_1)
	v_dual_cndmask_b32 v17, 0, v17 :: v_dual_cndmask_b32 v16, 3, v16
	v_cmp_ne_u64_e32 vcc_lo, 0, v[16:17]
                                        ; implicit-def: $vgpr17
	s_or_b32 s7, s7, vcc_lo
	s_delay_alu instid0(SALU_CYCLE_1) | instskip(NEXT) | instid1(SALU_CYCLE_1)
	s_and_saveexec_b32 s43, s7
	s_xor_b32 s7, exec_lo, s43
; %bb.5042:                             ;   in Loop: Header=BB2_4512 Depth=2
	v_min_i32_e32 v17, 31, v68
	s_delay_alu instid0(VALU_DEP_1) | instskip(NEXT) | instid1(VALU_DEP_1)
	v_lshl_or_b32 v17, v17, 2, v70
                                        ; implicit-def: $vgpr70
	v_and_or_b32 v17, v16, 3, v17
; %bb.5043:                             ;   in Loop: Header=BB2_4512 Depth=2
	s_and_not1_saveexec_b32 s7, s7
; %bb.5044:                             ;   in Loop: Header=BB2_4512 Depth=2
	v_mov_b32_e32 v17, v70
; %bb.5045:                             ;   in Loop: Header=BB2_4512 Depth=2
	s_or_b32 exec_lo, exec_lo, s7
.LBB2_5046:                             ;   in Loop: Header=BB2_4512 Depth=2
	s_delay_alu instid0(SALU_CYCLE_1)
	s_or_b32 exec_lo, exec_lo, s42
                                        ; implicit-def: $vgpr70
.LBB2_5047:                             ;   in Loop: Header=BB2_4512 Depth=2
	s_and_not1_saveexec_b32 s7, s41
; %bb.5048:                             ;   in Loop: Header=BB2_4512 Depth=2
	v_or_b32_e32 v17, 0x7b, v70
; %bb.5049:                             ;   in Loop: Header=BB2_4512 Depth=2
	s_or_b32 exec_lo, exec_lo, s7
                                        ; implicit-def: $vgpr69
.LBB2_5050:                             ;   in Loop: Header=BB2_4512 Depth=2
	s_and_not1_saveexec_b32 s7, s14
	s_cbranch_execz .LBB2_4511
; %bb.5051:                             ;   in Loop: Header=BB2_4512 Depth=2
	s_mov_b32 s14, exec_lo
                                        ; implicit-def: $vgpr17
	v_cmpx_ne_u64_e32 0, v[36:37]
	s_xor_b32 s14, exec_lo, s14
; %bb.5052:                             ;   in Loop: Header=BB2_4512 Depth=2
	v_lshrrev_b32_e32 v16, 24, v69
                                        ; implicit-def: $vgpr69
	s_delay_alu instid0(VALU_DEP_1)
	v_or_b32_e32 v17, 0x7f, v16
; %bb.5053:                             ;   in Loop: Header=BB2_4512 Depth=2
	s_and_not1_saveexec_b32 s14, s14
	s_cbranch_execz .LBB2_4510
; %bb.5054:                             ;   in Loop: Header=BB2_4512 Depth=2
	v_cmp_lt_i32_e32 vcc_lo, -1, v69
	v_cndmask_b32_e64 v17, -4, 0x7c, vcc_lo
	s_branch .LBB2_4510
.LBB2_5055:                             ;   in Loop: Header=BB2_2633 Depth=1
	s_or_b32 exec_lo, exec_lo, s11
.LBB2_5056:                             ;   in Loop: Header=BB2_2633 Depth=1
	s_delay_alu instid0(SALU_CYCLE_1) | instskip(SKIP_1) | instid1(VALU_DEP_1)
	s_or_b32 exec_lo, exec_lo, s10
	v_and_b32_e32 v10, 0x3fffff00, v59
	v_cmp_ne_u32_e32 vcc_lo, v59, v10
	s_and_b32 exec_lo, exec_lo, vcc_lo
	s_cbranch_execz .LBB2_5128
; %bb.5057:                             ;   in Loop: Header=BB2_2633 Depth=1
	v_dual_lshlrev_b32 v11, 5, v60 :: v_dual_lshlrev_b32 v12, 5, v61
	s_delay_alu instid0(VALU_DEP_1) | instskip(NEXT) | instid1(VALU_DEP_1)
	v_sub_nc_u32_e32 v11, v30, v11
	v_sub_nc_u32_e32 v11, v11, v12
	v_and_b32_e32 v12, 0xff, v59
	s_delay_alu instid0(VALU_DEP_1) | instskip(NEXT) | instid1(VALU_DEP_1)
	v_sub_nc_u32_e32 v30, v12, v11
	v_cmp_lt_i32_e32 vcc_lo, 0, v30
	s_and_b32 exec_lo, exec_lo, vcc_lo
	s_cbranch_execz .LBB2_5128
; %bb.5058:                             ;   in Loop: Header=BB2_2633 Depth=1
	s_trap 2
	ds_load_b128 v[12:15], v0
	ds_load_b64 v[16:17], v0
	v_add3_u32 v68, v10, v58, v11
	s_bitcmp1_b32 s40, 0
	s_mov_b32 s13, 0
	s_cselect_b32 s14, -1, 0
	s_delay_alu instid0(VALU_DEP_1) | instskip(SKIP_1) | instid1(VALU_DEP_1)
	v_ashrrev_i32_e32 v69, 31, v68
	s_wait_dscnt 0x1
	v_add_nc_u64_e32 v[10:11], v[12:13], v[68:69]
	v_add_nc_u64_e32 v[12:13], v[14:15], v[68:69]
	s_wait_dscnt 0x0
	v_add_nc_u64_e32 v[14:15], v[16:17], v[68:69]
	s_branch .LBB2_5061
.LBB2_5059:                             ;   in Loop: Header=BB2_5061 Depth=2
	s_or_b32 exec_lo, exec_lo, s10
.LBB2_5060:                             ;   in Loop: Header=BB2_5061 Depth=2
	s_delay_alu instid0(SALU_CYCLE_1)
	s_or_b32 exec_lo, exec_lo, s7
	v_sub_nc_u32_e32 v30, v30, v54
	flat_store_b8 v[14:15], v17 th:TH_STORE_NT
	v_add_nc_u64_e32 v[10:11], v[10:11], v[54:55]
	v_add_nc_u64_e32 v[12:13], v[12:13], v[54:55]
	s_wait_xcnt 0x0
	v_add_nc_u64_e32 v[14:15], v[14:15], v[54:55]
	v_cmp_gt_i32_e32 vcc_lo, 1, v30
	s_or_b32 s13, vcc_lo, s13
	s_delay_alu instid0(SALU_CYCLE_1)
	s_and_not1_b32 exec_lo, exec_lo, s13
	s_cbranch_execz .LBB2_5128
.LBB2_5061:                             ;   Parent Loop BB2_2633 Depth=1
                                        ; =>  This Inner Loop Header: Depth=2
	flat_load_u8 v17, v[10:11] th:TH_LOAD_NT
	flat_load_u8 v68, v[12:13] th:TH_LOAD_NT
	s_mov_b32 s40, -1
                                        ; implicit-def: $vgpr80
	s_wait_loadcnt_dscnt 0x101
	v_bfe_i32 v16, v17, 0, 8
	s_wait_loadcnt_dscnt 0x0
	v_bfe_i32 v69, v68, 0, 8
	v_lshlrev_b32_e32 v70, 24, v68
	v_cmp_ne_u16_e64 s10, 0, v68
	v_and_b32_e32 v36, 0xffff, v68
	v_cmp_ne_u16_e64 s7, 0x80, v68
	v_cmp_lt_i16_e32 vcc_lo, -1, v69
	v_and_b32_e32 v71, 0xffff, v17
	v_cmp_ne_u16_e64 s11, 0, v17
	v_and_or_b32 v68, v70, s27, 0x38000000
	v_cndmask_b32_e32 v70, 0xff800000, v45, vcc_lo
	s_and_b32 vcc_lo, exec_lo, s14
	s_cbranch_vccz .LBB2_5083
; %bb.5062:                             ;   in Loop: Header=BB2_5061 Depth=2
	v_dual_mov_b32 v80, 0 :: v_dual_mov_b32 v17, 0
	s_wait_xcnt 0x0
	s_and_saveexec_b32 s40, s11
	s_cbranch_execz .LBB2_5072
; %bb.5063:                             ;   in Loop: Header=BB2_5061 Depth=2
	v_bfrev_b32_e32 v17, 1
	s_mov_b32 s41, exec_lo
	v_cmpx_ne_u16_e32 0xff80, v16
	s_cbranch_execz .LBB2_5071
; %bb.5064:                             ;   in Loop: Header=BB2_5061 Depth=2
	v_and_b32_e32 v17, 0x7c, v71
	v_and_b32_e32 v81, 3, v71
	s_delay_alu instid0(VALU_DEP_2) | instskip(SKIP_1) | instid1(SALU_CYCLE_1)
	v_cmp_ne_u32_e32 vcc_lo, 0x7c, v17
                                        ; implicit-def: $vgpr17
	s_and_saveexec_b32 s42, vcc_lo
	s_xor_b32 s42, exec_lo, s42
	s_cbranch_execz .LBB2_5068
; %bb.5065:                             ;   in Loop: Header=BB2_5061 Depth=2
	v_bfe_u32 v17, v71, 2, 5
	s_mov_b32 s43, exec_lo
	s_delay_alu instid0(VALU_DEP_1)
	v_cmpx_eq_u32_e32 0, v17
; %bb.5066:                             ;   in Loop: Header=BB2_5061 Depth=2
	v_clz_i32_u32_e32 v17, v81
	s_delay_alu instid0(VALU_DEP_1) | instskip(SKIP_1) | instid1(VALU_DEP_2)
	v_min_u32_e32 v81, 32, v17
	v_mov_b32_e32 v17, v37
	v_subrev_nc_u32_e32 v82, 29, v81
	s_delay_alu instid0(VALU_DEP_1) | instskip(NEXT) | instid1(VALU_DEP_1)
	v_lshlrev_b64_e32 v[82:83], v82, v[16:17]
	v_dual_sub_nc_u32 v17, 30, v81 :: v_dual_bitop2_b32 v81, 3, v82 bitop3:0x40
; %bb.5067:                             ;   in Loop: Header=BB2_5061 Depth=2
	s_or_b32 exec_lo, exec_lo, s43
	v_bfe_i32 v82, v16, 0, 16
	s_delay_alu instid0(VALU_DEP_1) | instskip(NEXT) | instid1(VALU_DEP_1)
	v_and_b32_e32 v82, 0x80000000, v82
	v_lshl_add_u32 v17, v17, 23, v82
	s_delay_alu instid0(VALU_DEP_1) | instskip(NEXT) | instid1(VALU_DEP_1)
	v_lshl_or_b32 v17, v81, 21, v17
                                        ; implicit-def: $vgpr81
	v_add_nc_u32_e32 v17, 0x38000000, v17
.LBB2_5068:                             ;   in Loop: Header=BB2_5061 Depth=2
	s_and_not1_saveexec_b32 s42, s42
; %bb.5069:                             ;   in Loop: Header=BB2_5061 Depth=2
	v_cmp_lt_i16_e32 vcc_lo, -1, v16
	v_cndmask_b32_e32 v17, 0xff800000, v45, vcc_lo
	v_cmp_eq_u32_e32 vcc_lo, 0, v81
	s_delay_alu instid0(VALU_DEP_2)
	v_cndmask_b32_e32 v17, 0x7f800001, v17, vcc_lo
; %bb.5070:                             ;   in Loop: Header=BB2_5061 Depth=2
	s_or_b32 exec_lo, exec_lo, s42
.LBB2_5071:                             ;   in Loop: Header=BB2_5061 Depth=2
	s_delay_alu instid0(SALU_CYCLE_1)
	s_or_b32 exec_lo, exec_lo, s41
.LBB2_5072:                             ;   in Loop: Header=BB2_5061 Depth=2
	s_delay_alu instid0(SALU_CYCLE_1)
	s_or_b32 exec_lo, exec_lo, s40
	s_and_saveexec_b32 s40, s10
	s_cbranch_execz .LBB2_5082
; %bb.5073:                             ;   in Loop: Header=BB2_5061 Depth=2
	v_bfrev_b32_e32 v80, 1
	s_and_saveexec_b32 s41, s7
	s_cbranch_execz .LBB2_5081
; %bb.5074:                             ;   in Loop: Header=BB2_5061 Depth=2
	v_and_b32_e32 v80, 0x7c, v69
	v_and_b32_e32 v81, 3, v69
	s_delay_alu instid0(VALU_DEP_2) | instskip(SKIP_1) | instid1(SALU_CYCLE_1)
	v_cmp_ne_u32_e32 vcc_lo, 0x7c, v80
                                        ; implicit-def: $vgpr80
	s_and_saveexec_b32 s42, vcc_lo
	s_xor_b32 s42, exec_lo, s42
	s_cbranch_execz .LBB2_5078
; %bb.5075:                             ;   in Loop: Header=BB2_5061 Depth=2
	v_and_b32_e32 v80, 0xff, v69
	s_mov_b32 s43, exec_lo
	s_delay_alu instid0(VALU_DEP_1) | instskip(NEXT) | instid1(VALU_DEP_1)
	v_bfe_u32 v80, v80, 2, 5
	v_cmpx_eq_u32_e32 0, v80
; %bb.5076:                             ;   in Loop: Header=BB2_5061 Depth=2
	v_clz_i32_u32_e32 v80, v81
	s_delay_alu instid0(VALU_DEP_1) | instskip(NEXT) | instid1(VALU_DEP_1)
	v_min_u32_e32 v80, 32, v80
	v_subrev_nc_u32_e32 v81, 29, v80
	s_delay_alu instid0(VALU_DEP_1) | instskip(NEXT) | instid1(VALU_DEP_1)
	v_lshlrev_b64_e32 v[82:83], v81, v[36:37]
	v_dual_sub_nc_u32 v80, 30, v80 :: v_dual_bitop2_b32 v81, 3, v82 bitop3:0x40
; %bb.5077:                             ;   in Loop: Header=BB2_5061 Depth=2
	s_or_b32 exec_lo, exec_lo, s43
	s_delay_alu instid0(VALU_DEP_1) | instskip(NEXT) | instid1(VALU_DEP_1)
	v_lshl_add_u32 v80, v80, 23, v68
	v_lshl_or_b32 v80, v81, 21, v80
                                        ; implicit-def: $vgpr81
.LBB2_5078:                             ;   in Loop: Header=BB2_5061 Depth=2
	s_and_not1_saveexec_b32 s42, s42
; %bb.5079:                             ;   in Loop: Header=BB2_5061 Depth=2
	v_cmp_eq_u32_e32 vcc_lo, 0, v81
	v_cndmask_b32_e32 v80, 0x7f800001, v70, vcc_lo
; %bb.5080:                             ;   in Loop: Header=BB2_5061 Depth=2
	s_or_b32 exec_lo, exec_lo, s42
.LBB2_5081:                             ;   in Loop: Header=BB2_5061 Depth=2
	s_delay_alu instid0(SALU_CYCLE_1)
	s_or_b32 exec_lo, exec_lo, s41
.LBB2_5082:                             ;   in Loop: Header=BB2_5061 Depth=2
	s_delay_alu instid0(SALU_CYCLE_1) | instskip(NEXT) | instid1(VALU_DEP_1)
	s_or_b32 exec_lo, exec_lo, s40
	v_dual_max_num_f32 v80, v80, v80 :: v_dual_max_num_f32 v17, v17, v17
	s_mov_b32 s40, 0
	s_delay_alu instid0(VALU_DEP_1)
	v_max_num_f32_e32 v80, v17, v80
.LBB2_5083:                             ;   in Loop: Header=BB2_5061 Depth=2
	s_and_b32 vcc_lo, exec_lo, s40
	s_cbranch_vccz .LBB2_5105
; %bb.5084:                             ;   in Loop: Header=BB2_5061 Depth=2
	v_dual_mov_b32 v80, 0 :: v_dual_mov_b32 v17, 0
	s_wait_xcnt 0x0
	s_and_saveexec_b32 s40, s11
	s_cbranch_execz .LBB2_5094
; %bb.5085:                             ;   in Loop: Header=BB2_5061 Depth=2
	v_bfrev_b32_e32 v17, 1
	s_mov_b32 s11, exec_lo
	v_cmpx_ne_u16_e32 0xff80, v16
	s_cbranch_execz .LBB2_5093
; %bb.5086:                             ;   in Loop: Header=BB2_5061 Depth=2
	v_and_b32_e32 v17, 0x7c, v71
	v_and_b32_e32 v81, 3, v71
	s_delay_alu instid0(VALU_DEP_2) | instskip(SKIP_1) | instid1(SALU_CYCLE_1)
	v_cmp_ne_u32_e32 vcc_lo, 0x7c, v17
                                        ; implicit-def: $vgpr17
	s_and_saveexec_b32 s41, vcc_lo
	s_xor_b32 s41, exec_lo, s41
	s_cbranch_execz .LBB2_5090
; %bb.5087:                             ;   in Loop: Header=BB2_5061 Depth=2
	v_bfe_u32 v17, v71, 2, 5
	s_mov_b32 s42, exec_lo
	s_delay_alu instid0(VALU_DEP_1)
	v_cmpx_eq_u32_e32 0, v17
; %bb.5088:                             ;   in Loop: Header=BB2_5061 Depth=2
	v_clz_i32_u32_e32 v17, v81
	s_delay_alu instid0(VALU_DEP_1) | instskip(SKIP_1) | instid1(VALU_DEP_2)
	v_min_u32_e32 v71, 32, v17
	v_mov_b32_e32 v17, v37
	v_subrev_nc_u32_e32 v81, 29, v71
	s_delay_alu instid0(VALU_DEP_1) | instskip(NEXT) | instid1(VALU_DEP_1)
	v_lshlrev_b64_e32 v[82:83], v81, v[16:17]
	v_dual_sub_nc_u32 v17, 30, v71 :: v_dual_bitop2_b32 v81, 3, v82 bitop3:0x40
; %bb.5089:                             ;   in Loop: Header=BB2_5061 Depth=2
	s_or_b32 exec_lo, exec_lo, s42
	v_bfe_i32 v16, v16, 0, 16
	s_delay_alu instid0(VALU_DEP_1) | instskip(NEXT) | instid1(VALU_DEP_1)
	v_and_b32_e32 v16, 0x80000000, v16
	v_lshl_add_u32 v16, v17, 23, v16
	s_delay_alu instid0(VALU_DEP_1) | instskip(NEXT) | instid1(VALU_DEP_1)
	v_lshl_or_b32 v16, v81, 21, v16
                                        ; implicit-def: $vgpr81
	v_add_nc_u32_e32 v17, 0x38000000, v16
                                        ; implicit-def: $vgpr16
.LBB2_5090:                             ;   in Loop: Header=BB2_5061 Depth=2
	s_and_not1_saveexec_b32 s41, s41
; %bb.5091:                             ;   in Loop: Header=BB2_5061 Depth=2
	v_cmp_lt_i16_e32 vcc_lo, -1, v16
	v_cndmask_b32_e32 v16, 0xff800000, v45, vcc_lo
	v_cmp_eq_u32_e32 vcc_lo, 0, v81
	s_delay_alu instid0(VALU_DEP_2)
	v_cndmask_b32_e32 v17, 0x7f800001, v16, vcc_lo
; %bb.5092:                             ;   in Loop: Header=BB2_5061 Depth=2
	s_or_b32 exec_lo, exec_lo, s41
.LBB2_5093:                             ;   in Loop: Header=BB2_5061 Depth=2
	s_delay_alu instid0(SALU_CYCLE_1)
	s_or_b32 exec_lo, exec_lo, s11
.LBB2_5094:                             ;   in Loop: Header=BB2_5061 Depth=2
	s_delay_alu instid0(SALU_CYCLE_1)
	s_or_b32 exec_lo, exec_lo, s40
	s_and_saveexec_b32 s11, s10
	s_cbranch_execz .LBB2_5104
; %bb.5095:                             ;   in Loop: Header=BB2_5061 Depth=2
	v_bfrev_b32_e32 v80, 1
	s_and_saveexec_b32 s10, s7
	s_cbranch_execz .LBB2_5103
; %bb.5096:                             ;   in Loop: Header=BB2_5061 Depth=2
	v_and_b32_e32 v71, 0x7c, v69
	v_and_b32_e32 v16, 3, v69
	s_mov_b32 s7, exec_lo
                                        ; implicit-def: $vgpr80
	s_delay_alu instid0(VALU_DEP_2)
	v_cmpx_ne_u32_e32 0x7c, v71
	s_xor_b32 s7, exec_lo, s7
	s_cbranch_execz .LBB2_5100
; %bb.5097:                             ;   in Loop: Header=BB2_5061 Depth=2
	v_and_b32_e32 v69, 0xff, v69
	s_mov_b32 s40, exec_lo
	s_delay_alu instid0(VALU_DEP_1) | instskip(NEXT) | instid1(VALU_DEP_1)
	v_bfe_u32 v69, v69, 2, 5
	v_cmpx_eq_u32_e32 0, v69
; %bb.5098:                             ;   in Loop: Header=BB2_5061 Depth=2
	v_clz_i32_u32_e32 v16, v16
	s_delay_alu instid0(VALU_DEP_1) | instskip(NEXT) | instid1(VALU_DEP_1)
	v_min_u32_e32 v16, 32, v16
	v_subrev_nc_u32_e32 v69, 29, v16
	s_delay_alu instid0(VALU_DEP_1) | instskip(NEXT) | instid1(VALU_DEP_1)
	v_lshlrev_b64_e32 v[70:71], v69, v[36:37]
	v_dual_sub_nc_u32 v69, 30, v16 :: v_dual_bitop2_b32 v16, 3, v70 bitop3:0x40
; %bb.5099:                             ;   in Loop: Header=BB2_5061 Depth=2
	s_or_b32 exec_lo, exec_lo, s40
	s_delay_alu instid0(VALU_DEP_1) | instskip(NEXT) | instid1(VALU_DEP_1)
	v_lshl_add_u32 v36, v69, 23, v68
                                        ; implicit-def: $vgpr70
	v_lshl_or_b32 v80, v16, 21, v36
                                        ; implicit-def: $vgpr16
.LBB2_5100:                             ;   in Loop: Header=BB2_5061 Depth=2
	s_and_not1_saveexec_b32 s7, s7
; %bb.5101:                             ;   in Loop: Header=BB2_5061 Depth=2
	v_cmp_eq_u32_e32 vcc_lo, 0, v16
	v_cndmask_b32_e32 v80, 0x7f800001, v70, vcc_lo
; %bb.5102:                             ;   in Loop: Header=BB2_5061 Depth=2
	s_or_b32 exec_lo, exec_lo, s7
.LBB2_5103:                             ;   in Loop: Header=BB2_5061 Depth=2
	s_delay_alu instid0(SALU_CYCLE_1)
	s_or_b32 exec_lo, exec_lo, s10
.LBB2_5104:                             ;   in Loop: Header=BB2_5061 Depth=2
	s_delay_alu instid0(SALU_CYCLE_1) | instskip(NEXT) | instid1(VALU_DEP_1)
	s_or_b32 exec_lo, exec_lo, s11
	v_dual_max_num_f32 v16, v80, v80 :: v_dual_max_num_f32 v17, v17, v17
	s_delay_alu instid0(VALU_DEP_1)
	v_min_num_f32_e32 v80, v17, v16
.LBB2_5105:                             ;   in Loop: Header=BB2_5061 Depth=2
	s_delay_alu instid0(VALU_DEP_1) | instskip(SKIP_2) | instid1(VALU_DEP_2)
	v_and_b32_e32 v16, 0x7f800000, v80
	v_mov_b32_e32 v17, v37
	v_and_b32_e32 v36, 0x7fffff, v80
	v_cmp_ne_u64_e32 vcc_lo, 0x7f800000, v[16:17]
                                        ; implicit-def: $vgpr17
	s_wait_xcnt 0x0
	s_and_saveexec_b32 s7, vcc_lo
	s_delay_alu instid0(SALU_CYCLE_1)
	s_xor_b32 s10, exec_lo, s7
	s_cbranch_execz .LBB2_5123
; %bb.5106:                             ;   in Loop: Header=BB2_5061 Depth=2
	v_and_b32_e32 v16, 0x7fffffff, v80
	v_dual_mov_b32 v17, v37 :: v_dual_lshrrev_b32 v68, 24, v80
	s_delay_alu instid0(VALU_DEP_1) | instskip(NEXT) | instid1(VALU_DEP_2)
	v_cmp_gt_u64_e32 vcc_lo, 0x47600001, v[16:17]
	v_and_b32_e32 v70, 0x80, v68
                                        ; implicit-def: $vgpr17
	s_and_saveexec_b32 s7, vcc_lo
	s_delay_alu instid0(SALU_CYCLE_1)
	s_xor_b32 s11, exec_lo, s7
	s_cbranch_execz .LBB2_5120
; %bb.5107:                             ;   in Loop: Header=BB2_5061 Depth=2
	v_mov_b32_e32 v17, 0
	s_mov_b32 s40, exec_lo
	v_cmpx_ne_u32_e32 0, v80
	s_cbranch_execz .LBB2_5119
; %bb.5108:                             ;   in Loop: Header=BB2_5061 Depth=2
	v_bfe_u32 v71, v80, 23, 8
	v_or_b32_e32 v68, 0x800000, v36
	s_delay_alu instid0(VALU_DEP_2) | instskip(SKIP_1) | instid1(VALU_DEP_2)
	v_sub_nc_u32_e32 v16, 0x71, v71
	v_cmp_gt_u32_e32 vcc_lo, 0x72, v71
	v_cndmask_b32_e32 v16, 0, v16, vcc_lo
	v_cmp_eq_u32_e32 vcc_lo, 0, v71
	s_delay_alu instid0(VALU_DEP_2) | instskip(SKIP_1) | instid1(VALU_DEP_2)
	v_cndmask_b32_e64 v80, v16, 0x70, vcc_lo
	v_cndmask_b32_e32 v36, v68, v36, vcc_lo
	v_dual_add_nc_u32 v16, 21, v80 :: v_dual_add_nc_u32 v69, 20, v80
	s_delay_alu instid0(VALU_DEP_1) | instskip(NEXT) | instid1(VALU_DEP_2)
	v_lshlrev_b64_e64 v[16:17], v16, -1
	v_lshlrev_b64_e64 v[68:69], v69, 1
	s_delay_alu instid0(VALU_DEP_2) | instskip(NEXT) | instid1(VALU_DEP_3)
	v_bfi_b32 v83, v17, 0, 0
	v_bfi_b32 v82, v16, 0, v36
	v_lshrrev_b64 v[16:17], v80, v[36:37]
	s_delay_alu instid0(VALU_DEP_2) | instskip(NEXT) | instid1(VALU_DEP_2)
	v_cmp_eq_u64_e64 s7, v[82:83], v[68:69]
	v_mov_b64_e32 v[68:69], v[16:17]
	s_and_saveexec_b32 s41, s7
; %bb.5109:                             ;   in Loop: Header=BB2_5061 Depth=2
	v_bfe_u32 v36, v16, 21, 1
	s_delay_alu instid0(VALU_DEP_1) | instskip(NEXT) | instid1(VALU_DEP_1)
	v_add_nc_u64_e32 v[68:69], v[16:17], v[36:37]
	v_add_nc_u64_e32 v[68:69], -1, v[68:69]
; %bb.5110:                             ;   in Loop: Header=BB2_5061 Depth=2
	s_or_b32 exec_lo, exec_lo, s41
	v_add_nc_u32_e32 v17, 0xffffff81, v71
	v_lshrrev_b32_e32 v36, 23, v16
	s_mov_b32 s7, exec_lo
	s_delay_alu instid0(VALU_DEP_2) | instskip(NEXT) | instid1(VALU_DEP_1)
	v_cndmask_b32_e64 v17, v17, 0xffffff82, vcc_lo
	v_add3_u32 v69, v80, v17, v36
	v_and_b32_e32 v17, 0x1fffff, v68
                                        ; implicit-def: $vgpr68
	s_delay_alu instid0(VALU_DEP_1) | instskip(NEXT) | instid1(VALU_DEP_1)
	v_dual_add_nc_u32 v71, 14, v69 :: v_dual_add_nc_u32 v36, v17, v16
                                        ; implicit-def: $vgpr16_vgpr17
	v_cmpx_ne_u32_e32 0, v71
	s_xor_b32 s7, exec_lo, s7
; %bb.5111:                             ;   in Loop: Header=BB2_5061 Depth=2
	s_delay_alu instid0(VALU_DEP_2) | instskip(SKIP_1) | instid1(VALU_DEP_1)
	v_cmp_lt_u64_e32 vcc_lo, 0xffffff, v[36:37]
	v_add_nc_u32_e32 v16, 15, v69
	v_cndmask_b32_e32 v68, v71, v16, vcc_lo
	v_cndmask_b32_e64 v16, 0, 1, vcc_lo
	s_delay_alu instid0(VALU_DEP_1)
	v_lshrrev_b64 v[16:17], v16, v[36:37]
; %bb.5112:                             ;   in Loop: Header=BB2_5061 Depth=2
	s_and_not1_saveexec_b32 s7, s7
; %bb.5113:                             ;   in Loop: Header=BB2_5061 Depth=2
	v_mov_b64_e32 v[16:17], v[36:37]
	v_bfe_u32 v68, v36, 23, 1
; %bb.5114:                             ;   in Loop: Header=BB2_5061 Depth=2
	s_or_b32 exec_lo, exec_lo, s7
	s_delay_alu instid0(VALU_DEP_2) | instskip(NEXT) | instid1(VALU_DEP_2)
	v_lshrrev_b64 v[16:17], 21, v[16:17]
	v_cmp_gt_i32_e32 vcc_lo, 32, v68
	v_cmp_ne_u32_e64 s7, 0, v68
	s_delay_alu instid0(VALU_DEP_3) | instskip(NEXT) | instid1(VALU_DEP_1)
	v_dual_cndmask_b32 v17, 0, v17 :: v_dual_cndmask_b32 v16, 3, v16
	v_cmp_ne_u64_e32 vcc_lo, 0, v[16:17]
                                        ; implicit-def: $vgpr17
	s_or_b32 s7, s7, vcc_lo
	s_delay_alu instid0(SALU_CYCLE_1) | instskip(NEXT) | instid1(SALU_CYCLE_1)
	s_and_saveexec_b32 s41, s7
	s_xor_b32 s7, exec_lo, s41
; %bb.5115:                             ;   in Loop: Header=BB2_5061 Depth=2
	v_min_i32_e32 v17, 31, v68
	s_delay_alu instid0(VALU_DEP_1) | instskip(NEXT) | instid1(VALU_DEP_1)
	v_lshl_or_b32 v17, v17, 2, v70
                                        ; implicit-def: $vgpr70
	v_and_or_b32 v17, v16, 3, v17
; %bb.5116:                             ;   in Loop: Header=BB2_5061 Depth=2
	s_and_not1_saveexec_b32 s7, s7
; %bb.5117:                             ;   in Loop: Header=BB2_5061 Depth=2
	v_mov_b32_e32 v17, v70
; %bb.5118:                             ;   in Loop: Header=BB2_5061 Depth=2
	s_or_b32 exec_lo, exec_lo, s7
.LBB2_5119:                             ;   in Loop: Header=BB2_5061 Depth=2
	s_delay_alu instid0(SALU_CYCLE_1)
	s_or_b32 exec_lo, exec_lo, s40
                                        ; implicit-def: $vgpr70
.LBB2_5120:                             ;   in Loop: Header=BB2_5061 Depth=2
	s_and_not1_saveexec_b32 s7, s11
; %bb.5121:                             ;   in Loop: Header=BB2_5061 Depth=2
	v_or_b32_e32 v17, 0x7b, v70
; %bb.5122:                             ;   in Loop: Header=BB2_5061 Depth=2
	s_or_b32 exec_lo, exec_lo, s7
                                        ; implicit-def: $vgpr80
.LBB2_5123:                             ;   in Loop: Header=BB2_5061 Depth=2
	s_and_not1_saveexec_b32 s7, s10
	s_cbranch_execz .LBB2_5060
; %bb.5124:                             ;   in Loop: Header=BB2_5061 Depth=2
	s_mov_b32 s10, exec_lo
                                        ; implicit-def: $vgpr17
	v_cmpx_ne_u64_e32 0, v[36:37]
	s_xor_b32 s10, exec_lo, s10
; %bb.5125:                             ;   in Loop: Header=BB2_5061 Depth=2
	v_lshrrev_b32_e32 v16, 24, v80
                                        ; implicit-def: $vgpr80
	s_delay_alu instid0(VALU_DEP_1)
	v_or_b32_e32 v17, 0x7f, v16
; %bb.5126:                             ;   in Loop: Header=BB2_5061 Depth=2
	s_and_not1_saveexec_b32 s10, s10
	s_cbranch_execz .LBB2_5059
; %bb.5127:                             ;   in Loop: Header=BB2_5061 Depth=2
	v_cmp_lt_i32_e32 vcc_lo, -1, v80
	v_cndmask_b32_e64 v17, -4, 0x7c, vcc_lo
	s_branch .LBB2_5059
.LBB2_5128:                             ;   in Loop: Header=BB2_2633 Depth=1
	s_or_b32 exec_lo, exec_lo, s12
	v_cmp_ne_u32_e64 s7, 0, v47
	s_and_saveexec_b32 s10, s2
	s_cbranch_execz .LBB2_5147
.LBB2_5129:                             ;   in Loop: Header=BB2_2633 Depth=1
	s_and_saveexec_b32 s11, s3
	s_delay_alu instid0(SALU_CYCLE_1)
	s_xor_b32 s11, exec_lo, s11
	s_cbranch_execz .LBB2_5144
; %bb.5130:                             ;   in Loop: Header=BB2_2633 Depth=1
	s_and_saveexec_b32 s12, s4
	s_cbranch_execz .LBB2_5143
; %bb.5131:                             ;   in Loop: Header=BB2_2633 Depth=1
	s_mov_b32 s14, exec_lo
	s_mov_b32 s13, exec_lo
	v_mbcnt_lo_u32_b32 v10, s14, 0
	global_wb scope:SCOPE_DEV
	s_wait_storecnt 0x0
	s_wait_loadcnt_dscnt 0x0
	global_inv scope:SCOPE_DEV
	v_cmpx_eq_u32_e32 0, v10
	s_cbranch_execz .LBB2_5133
; %bb.5132:                             ;   in Loop: Header=BB2_2633 Depth=1
	s_bcnt1_i32_b32 s14, s14
	s_delay_alu instid0(SALU_CYCLE_1)
	v_mov_b32_e32 v36, s14
	s_wait_loadcnt 0x0
	ds_add_u64 v0, v[36:37]
	s_trap 2
.LBB2_5133:                             ;   in Loop: Header=BB2_2633 Depth=1
	s_or_b32 exec_lo, exec_lo, s13
	s_trap 2
	ds_load_b64 v[10:11], v0
	s_wait_dscnt 0x0
	v_add_nc_u64_e32 v[28:29], v[28:29], v[38:39]
	s_mov_b32 s13, exec_lo
	s_delay_alu instid0(VALU_DEP_1)
	v_cmpx_lt_u64_e64 v[10:11], v[28:29]
	s_cbranch_execz .LBB2_5142
; %bb.5134:                             ;   in Loop: Header=BB2_2633 Depth=1
	s_mov_b32 s14, 0
	s_mov_b32 s42, 0
                                        ; implicit-def: $sgpr40
                                        ; implicit-def: $sgpr41
	s_branch .LBB2_5136
.LBB2_5135:                             ;   in Loop: Header=BB2_5136 Depth=2
	s_or_b32 exec_lo, exec_lo, s44
	s_delay_alu instid0(SALU_CYCLE_1) | instskip(NEXT) | instid1(SALU_CYCLE_1)
	s_and_b32 s43, exec_lo, s45
	s_or_b32 s14, s43, s14
	s_and_not1_b32 s40, s40, exec_lo
	s_and_b32 s43, s41, exec_lo
	s_delay_alu instid0(SALU_CYCLE_1)
	s_or_b32 s40, s40, s43
	s_and_not1_b32 exec_lo, exec_lo, s14
	s_cbranch_execz .LBB2_5140
.LBB2_5136:                             ;   Parent Loop BB2_2633 Depth=1
                                        ; =>  This Inner Loop Header: Depth=2
	s_add_co_i32 s42, s42, 1
	s_delay_alu instid0(SALU_CYCLE_1) | instskip(SKIP_1) | instid1(SALU_CYCLE_1)
	s_cmp_lg_u32 s42, 0x2710
	s_cselect_b32 s43, -1, 0
	s_and_b32 vcc_lo, exec_lo, s43
	s_cbranch_vccz .LBB2_5138
; %bb.5137:                             ;   in Loop: Header=BB2_5136 Depth=2
	s_mov_b32 s45, -1
	s_or_b32 s41, s41, exec_lo
	s_and_saveexec_b32 s44, s43
	s_cbranch_execz .LBB2_5135
	s_branch .LBB2_5139
.LBB2_5138:                             ;   in Loop: Header=BB2_5136 Depth=2
	s_trap 2
	ds_load_b64 v[10:11], v0
	s_and_not1_b32 s43, s43, exec_lo
	s_mov_b32 s42, 0
	s_wait_loadcnt_dscnt 0x0
	flat_load_b32 v10, v[10:11] scope:SCOPE_SYS
	s_wait_loadcnt_dscnt 0x0
	global_inv scope:SCOPE_SYS
	v_cmp_eq_u32_e32 vcc_lo, 0, v10
	s_and_b32 s44, vcc_lo, exec_lo
	s_delay_alu instid0(SALU_CYCLE_1)
	s_or_b32 s43, s43, s44
	s_mov_b32 s45, -1
	s_or_b32 s41, s41, exec_lo
	s_and_saveexec_b32 s44, s43
	s_cbranch_execz .LBB2_5135
.LBB2_5139:                             ;   in Loop: Header=BB2_5136 Depth=2
	s_sleep 1
	s_trap 2
	ds_load_b64 v[10:11], v0
	s_wait_dscnt 0x0
	s_and_not1_b32 s41, s41, exec_lo
	v_cmp_ge_u64_e32 vcc_lo, v[10:11], v[28:29]
	s_or_not1_b32 s45, vcc_lo, exec_lo
	s_branch .LBB2_5135
.LBB2_5140:                             ;   in Loop: Header=BB2_2633 Depth=1
	s_or_b32 exec_lo, exec_lo, s14
	s_and_saveexec_b32 s14, s40
	s_delay_alu instid0(SALU_CYCLE_1)
	s_xor_b32 s14, exec_lo, s14
	s_cbranch_execz .LBB2_5142
; %bb.5141:                             ;   in Loop: Header=BB2_2633 Depth=1
	ds_store_b32 v0, v44
	s_trap 2
.LBB2_5142:                             ;   in Loop: Header=BB2_2633 Depth=1
	s_or_b32 exec_lo, exec_lo, s13
	;;#ASMSTART
	s_wakeup
	;;#ASMEND
.LBB2_5143:                             ;   in Loop: Header=BB2_2633 Depth=1
	s_or_b32 exec_lo, exec_lo, s12
.LBB2_5144:                             ;   in Loop: Header=BB2_2633 Depth=1
	s_and_not1_saveexec_b32 s11, s11
	s_cbranch_execz .LBB2_5146
; %bb.5145:                             ;   in Loop: Header=BB2_2633 Depth=1
	global_wb scope:SCOPE_DEV
	s_wait_storecnt 0x0
	s_wait_loadcnt_dscnt 0x0
	global_inv scope:SCOPE_DEV
	s_barrier_signal -1
	s_barrier_wait -1
.LBB2_5146:                             ;   in Loop: Header=BB2_2633 Depth=1
	s_or_b32 exec_lo, exec_lo, s11
.LBB2_5147:                             ;   in Loop: Header=BB2_2633 Depth=1
	s_delay_alu instid0(SALU_CYCLE_1) | instskip(SKIP_1) | instid1(VALU_DEP_1)
	s_or_b32 exec_lo, exec_lo, s10
	v_and_b32_e32 v10, 16, v56
	v_cmp_ne_u32_e32 vcc_lo, 0, v10
	s_and_b32 s10, vcc_lo, s7
	s_delay_alu instid0(SALU_CYCLE_1)
	s_and_saveexec_b32 s7, s10
	s_cbranch_execz .LBB2_5149
; %bb.5148:                             ;   in Loop: Header=BB2_2633 Depth=1
	global_wb scope:SCOPE_SYS
	s_wait_storecnt 0x0
	s_wait_loadcnt_dscnt 0x0
	global_inv scope:SCOPE_SYS
.LBB2_5149:                             ;   in Loop: Header=BB2_2633 Depth=1
	s_or_b32 exec_lo, exec_lo, s7
	v_and_b32_e32 v10, 32, v56
	s_mov_b32 s7, exec_lo
	s_delay_alu instid0(VALU_DEP_1)
	v_cmpx_ne_u32_e32 0, v10
	s_cbranch_execz .LBB2_5151
; %bb.5150:                             ;   in Loop: Header=BB2_2633 Depth=1
	v_add_nc_u64_e32 v[8:9], 1, v[8:9]
	global_wb scope:SCOPE_SYS
	s_wait_storecnt 0x0
	s_wait_loadcnt_dscnt 0x0
	flat_store_b64 v[22:23], v[8:9] scope:SCOPE_SYS
.LBB2_5151:                             ;   in Loop: Header=BB2_2633 Depth=1
	s_wait_xcnt 0x0
	s_or_b32 exec_lo, exec_lo, s7
	v_mov_b32_e32 v14, v67
.LBB2_5152:                             ;   in Loop: Header=BB2_2633 Depth=1
	s_or_b32 exec_lo, exec_lo, s29
	s_and_saveexec_b32 s10, s28
	s_cbranch_execz .LBB2_2632
; %bb.5153:                             ;   in Loop: Header=BB2_2633 Depth=1
	v_and_b32_e32 v10, 4, v56
	s_mov_b32 s11, exec_lo
	s_delay_alu instid0(VALU_DEP_1)
	v_cmpx_ne_u32_e32 0, v10
	s_cbranch_execz .LBB2_5175
; %bb.5154:                             ;   in Loop: Header=BB2_2633 Depth=1
	s_wait_dscnt 0x0
	v_add_nc_u64_e32 v[10:11], 1, v[8:9]
	s_mov_b32 s12, exec_lo
	s_wait_loadcnt 0x0
	s_delay_alu instid0(VALU_DEP_1)
	v_cmpx_lt_u64_e64 v[32:33], v[10:11]
	s_cbranch_execz .LBB2_5166
; %bb.5155:                             ;   in Loop: Header=BB2_2633 Depth=1
	v_and_b32_e32 v9, 64, v56
	s_mov_b32 s13, 0
	s_mov_b32 s40, 0
                                        ; implicit-def: $sgpr14
                                        ; implicit-def: $sgpr28
                                        ; implicit-def: $sgpr29
	s_delay_alu instid0(VALU_DEP_1)
	v_cmp_eq_u32_e32 vcc_lo, 0, v9
	s_branch .LBB2_5159
.LBB2_5156:                             ;   in Loop: Header=BB2_5159 Depth=2
	s_wait_loadcnt_dscnt 0x0
	v_cmp_ge_u64_e64 s7, v[32:33], v[10:11]
	s_or_b32 s43, s43, exec_lo
	s_or_not1_b32 s42, s7, exec_lo
.LBB2_5157:                             ;   in Loop: Header=BB2_5159 Depth=2
	s_or_b32 exec_lo, exec_lo, s45
	s_delay_alu instid0(SALU_CYCLE_1)
	s_and_not1_b32 s7, s29, exec_lo
	s_and_b32 s29, s43, exec_lo
	s_and_not1_b32 s28, s28, exec_lo
	s_and_b32 s42, s42, exec_lo
	s_or_b32 s29, s7, s29
	s_or_b32 s28, s28, s42
.LBB2_5158:                             ;   in Loop: Header=BB2_5159 Depth=2
	s_or_b32 exec_lo, exec_lo, s41
	s_delay_alu instid0(SALU_CYCLE_1) | instskip(NEXT) | instid1(SALU_CYCLE_1)
	s_and_b32 s7, exec_lo, s28
	s_or_b32 s13, s7, s13
	s_and_not1_b32 s7, s14, exec_lo
	s_and_b32 s14, s29, exec_lo
	s_delay_alu instid0(SALU_CYCLE_1)
	s_or_b32 s14, s7, s14
	s_and_not1_b32 exec_lo, exec_lo, s13
	s_cbranch_execz .LBB2_5163
.LBB2_5159:                             ;   Parent Loop BB2_2633 Depth=1
                                        ; =>  This Inner Loop Header: Depth=2
	s_sleep 1
	s_wait_loadcnt_dscnt 0x0
	flat_load_b64 v[32:33], v[22:23] scope:SCOPE_SYS
	s_or_b32 s29, s29, exec_lo
	s_or_b32 s28, s28, exec_lo
                                        ; implicit-def: $vgpr9
	s_wait_xcnt 0x0
	s_and_saveexec_b32 s41, vcc_lo
	s_cbranch_execz .LBB2_5158
; %bb.5160:                             ;   in Loop: Header=BB2_5159 Depth=2
	s_cmp_lt_i32 s40, 0x270f
	s_mov_b32 s42, -1
	s_cselect_b32 s44, -1, 0
	s_cmp_gt_i32 s40, 0x270e
	s_cbranch_scc0 .LBB2_5162
; %bb.5161:                             ;   in Loop: Header=BB2_5159 Depth=2
	s_trap 2
	ds_load_b64 v[12:13], v0
	s_and_not1_b32 s40, s44, exec_lo
	s_mov_b32 s43, 0
	s_wait_storecnt 0x0
	s_wait_loadcnt_dscnt 0x0
	flat_load_b32 v9, v[12:13] scope:SCOPE_SYS
	s_wait_loadcnt_dscnt 0x0
	global_inv scope:SCOPE_SYS
	v_cmp_eq_u32_e64 s7, 0, v9
	s_and_b32 s7, s7, exec_lo
	s_delay_alu instid0(SALU_CYCLE_1)
	s_or_b32 s44, s40, s7
	s_mov_b32 s40, 0
	s_and_saveexec_b32 s45, s44
	s_cbranch_execz .LBB2_5157
	s_branch .LBB2_5156
.LBB2_5162:                             ;   in Loop: Header=BB2_5159 Depth=2
	s_add_co_i32 s40, s40, 1
	s_mov_b32 s43, -1
                                        ; implicit-def: $vgpr9
	s_and_saveexec_b32 s45, s44
	s_cbranch_execz .LBB2_5157
	s_branch .LBB2_5156
.LBB2_5163:                             ;   in Loop: Header=BB2_2633 Depth=1
	s_or_b32 exec_lo, exec_lo, s13
	s_xor_b32 s7, s14, -1
	s_delay_alu instid0(SALU_CYCLE_1) | instskip(NEXT) | instid1(SALU_CYCLE_1)
	s_and_saveexec_b32 s13, s7
	s_xor_b32 s7, exec_lo, s13
	s_cbranch_execz .LBB2_5165
; %bb.5164:                             ;   in Loop: Header=BB2_2633 Depth=1
	v_or_b32_e32 v56, 64, v56
	s_wait_storecnt 0x0
	s_wait_loadcnt_dscnt 0x0
	ds_store_b32 v0, v9
	s_trap 2
.LBB2_5165:                             ;   in Loop: Header=BB2_2633 Depth=1
	s_or_b32 exec_lo, exec_lo, s7
.LBB2_5166:                             ;   in Loop: Header=BB2_2633 Depth=1
	s_delay_alu instid0(SALU_CYCLE_1) | instskip(SKIP_4) | instid1(VALU_DEP_2)
	s_or_b32 exec_lo, exec_lo, s12
	v_and_b32_e32 v9, 0x100, v56
	v_and_b32_e32 v36, 7, v8
	s_mov_b32 s7, -1
	;;#ASMSTART
	s_wakeup
	;;#ASMEND
	v_cmp_ne_u32_e32 vcc_lo, 0, v9
                                        ; implicit-def: $vgpr8_vgpr9
	s_and_saveexec_b32 s12, vcc_lo
	s_cbranch_execz .LBB2_5170
; %bb.5167:                             ;   in Loop: Header=BB2_2633 Depth=1
	v_mad_nc_u64_u32 v[12:13], v36, 24, v[6:7]
	flat_load_b32 v8, v[12:13]
	s_wait_loadcnt_dscnt 0x0
	v_cmp_eq_u32_e64 s7, 1, v8
	v_cmp_ne_u32_e32 vcc_lo, 1, v8
                                        ; implicit-def: $vgpr8_vgpr9
	s_wait_xcnt 0x0
	s_and_saveexec_b32 s13, s7
	s_cbranch_execz .LBB2_5169
; %bb.5168:                             ;   in Loop: Header=BB2_2633 Depth=1
	flat_load_b32 v8, v[12:13] offset:4 scope:SCOPE_SYS
	s_wait_loadcnt_dscnt 0x0
	v_ashrrev_i32_e32 v9, 31, v8
.LBB2_5169:                             ;   in Loop: Header=BB2_2633 Depth=1
	s_wait_xcnt 0x0
	s_or_b32 exec_lo, exec_lo, s13
	s_delay_alu instid0(SALU_CYCLE_1)
	s_or_not1_b32 s7, vcc_lo, exec_lo
.LBB2_5170:                             ;   in Loop: Header=BB2_2633 Depth=1
	s_or_b32 exec_lo, exec_lo, s12
	s_and_saveexec_b32 s12, s7
; %bb.5171:                             ;   in Loop: Header=BB2_2633 Depth=1
	v_mul_u64_e32 v[8:9], v[36:37], v[24:25]
; %bb.5172:                             ;   in Loop: Header=BB2_2633 Depth=1
	s_or_b32 exec_lo, exec_lo, s12
	s_delay_alu instid0(VALU_DEP_1)
	v_add_nc_u64_e32 v[8:9], v[26:27], v[8:9]
	v_and_b32_e32 v12, 0x2000, v56
	s_mov_b32 s7, exec_lo
	ds_store_b64 v0, v[8:9] offset:728
	v_cmpx_ne_u32_e32 0, v12
	s_cbranch_execz .LBB2_5174
; %bb.5173:                             ;   in Loop: Header=BB2_2633 Depth=1
	ds_load_b64 v[8:9], v0 offset:872
	s_wait_dscnt 0x0
	v_add_nc_u64_e32 v[8:9], 1, v[8:9]
	ds_store_b64 v0, v[8:9] offset:872
.LBB2_5174:                             ;   in Loop: Header=BB2_2633 Depth=1
	s_or_b32 exec_lo, exec_lo, s7
	v_mov_b64_e32 v[8:9], v[10:11]
.LBB2_5175:                             ;   in Loop: Header=BB2_2633 Depth=1
	s_or_b32 exec_lo, exec_lo, s11
	s_and_saveexec_b32 s7, s2
	s_cbranch_execz .LBB2_5194
; %bb.5176:                             ;   in Loop: Header=BB2_2633 Depth=1
	s_and_saveexec_b32 s11, s3
	s_delay_alu instid0(SALU_CYCLE_1)
	s_xor_b32 s11, exec_lo, s11
	s_cbranch_execz .LBB2_5191
; %bb.5177:                             ;   in Loop: Header=BB2_2633 Depth=1
	s_and_saveexec_b32 s12, s4
	s_cbranch_execz .LBB2_5190
; %bb.5178:                             ;   in Loop: Header=BB2_2633 Depth=1
	s_mov_b32 s14, exec_lo
	s_mov_b32 s13, exec_lo
	v_mbcnt_lo_u32_b32 v10, s14, 0
	global_wb scope:SCOPE_DEV
	s_wait_storecnt 0x0
	s_wait_loadcnt_dscnt 0x0
	global_inv scope:SCOPE_DEV
	v_cmpx_eq_u32_e32 0, v10
	s_cbranch_execz .LBB2_5180
; %bb.5179:                             ;   in Loop: Header=BB2_2633 Depth=1
	s_bcnt1_i32_b32 s14, s14
	s_delay_alu instid0(SALU_CYCLE_1)
	v_mov_b32_e32 v36, s14
	s_wait_loadcnt 0x0
	ds_add_u64 v0, v[36:37]
	s_trap 2
.LBB2_5180:                             ;   in Loop: Header=BB2_2633 Depth=1
	s_or_b32 exec_lo, exec_lo, s13
	s_trap 2
	ds_load_b64 v[10:11], v0
	s_wait_dscnt 0x0
	v_add_nc_u64_e32 v[28:29], v[28:29], v[38:39]
	s_mov_b32 s13, exec_lo
	s_delay_alu instid0(VALU_DEP_1)
	v_cmpx_lt_u64_e64 v[10:11], v[28:29]
	s_cbranch_execz .LBB2_5189
; %bb.5181:                             ;   in Loop: Header=BB2_2633 Depth=1
	s_mov_b32 s14, 0
	s_mov_b32 s40, 0
                                        ; implicit-def: $sgpr28
                                        ; implicit-def: $sgpr29
	s_branch .LBB2_5183
.LBB2_5182:                             ;   in Loop: Header=BB2_5183 Depth=2
	s_or_b32 exec_lo, exec_lo, s42
	s_delay_alu instid0(SALU_CYCLE_1) | instskip(NEXT) | instid1(SALU_CYCLE_1)
	s_and_b32 s41, exec_lo, s43
	s_or_b32 s14, s41, s14
	s_and_not1_b32 s28, s28, exec_lo
	s_and_b32 s41, s29, exec_lo
	s_delay_alu instid0(SALU_CYCLE_1)
	s_or_b32 s28, s28, s41
	s_and_not1_b32 exec_lo, exec_lo, s14
	s_cbranch_execz .LBB2_5187
.LBB2_5183:                             ;   Parent Loop BB2_2633 Depth=1
                                        ; =>  This Inner Loop Header: Depth=2
	s_add_co_i32 s40, s40, 1
	s_delay_alu instid0(SALU_CYCLE_1) | instskip(SKIP_1) | instid1(SALU_CYCLE_1)
	s_cmp_lg_u32 s40, 0x2710
	s_cselect_b32 s41, -1, 0
	s_and_b32 vcc_lo, exec_lo, s41
	s_cbranch_vccz .LBB2_5185
; %bb.5184:                             ;   in Loop: Header=BB2_5183 Depth=2
	s_mov_b32 s43, -1
	s_or_b32 s29, s29, exec_lo
	s_and_saveexec_b32 s42, s41
	s_cbranch_execz .LBB2_5182
	s_branch .LBB2_5186
.LBB2_5185:                             ;   in Loop: Header=BB2_5183 Depth=2
	s_trap 2
	ds_load_b64 v[10:11], v0
	s_and_not1_b32 s41, s41, exec_lo
	s_mov_b32 s40, 0
	s_wait_loadcnt_dscnt 0x0
	flat_load_b32 v10, v[10:11] scope:SCOPE_SYS
	s_wait_loadcnt_dscnt 0x0
	global_inv scope:SCOPE_SYS
	v_cmp_eq_u32_e32 vcc_lo, 0, v10
	s_and_b32 s42, vcc_lo, exec_lo
	s_delay_alu instid0(SALU_CYCLE_1)
	s_or_b32 s41, s41, s42
	s_mov_b32 s43, -1
	s_or_b32 s29, s29, exec_lo
	s_and_saveexec_b32 s42, s41
	s_cbranch_execz .LBB2_5182
.LBB2_5186:                             ;   in Loop: Header=BB2_5183 Depth=2
	s_sleep 1
	s_trap 2
	ds_load_b64 v[10:11], v0
	s_wait_dscnt 0x0
	s_and_not1_b32 s29, s29, exec_lo
	v_cmp_ge_u64_e32 vcc_lo, v[10:11], v[28:29]
	s_or_not1_b32 s43, vcc_lo, exec_lo
	s_branch .LBB2_5182
.LBB2_5187:                             ;   in Loop: Header=BB2_2633 Depth=1
	s_or_b32 exec_lo, exec_lo, s14
	s_and_saveexec_b32 s14, s28
	s_delay_alu instid0(SALU_CYCLE_1)
	s_xor_b32 s14, exec_lo, s14
	s_cbranch_execz .LBB2_5189
; %bb.5188:                             ;   in Loop: Header=BB2_2633 Depth=1
	ds_store_b32 v0, v44
	s_trap 2
.LBB2_5189:                             ;   in Loop: Header=BB2_2633 Depth=1
	s_or_b32 exec_lo, exec_lo, s13
	;;#ASMSTART
	s_wakeup
	;;#ASMEND
.LBB2_5190:                             ;   in Loop: Header=BB2_2633 Depth=1
	s_or_b32 exec_lo, exec_lo, s12
.LBB2_5191:                             ;   in Loop: Header=BB2_2633 Depth=1
	s_and_not1_saveexec_b32 s11, s11
	s_cbranch_execz .LBB2_5193
; %bb.5192:                             ;   in Loop: Header=BB2_2633 Depth=1
	global_wb scope:SCOPE_DEV
	s_wait_storecnt 0x0
	s_wait_loadcnt_dscnt 0x0
	global_inv scope:SCOPE_DEV
	s_barrier_signal -1
	s_barrier_wait -1
.LBB2_5193:                             ;   in Loop: Header=BB2_2633 Depth=1
	s_or_b32 exec_lo, exec_lo, s11
.LBB2_5194:                             ;   in Loop: Header=BB2_2633 Depth=1
	s_delay_alu instid0(SALU_CYCLE_1)
	s_or_b32 exec_lo, exec_lo, s7
	s_trap 2
	ds_load_b32 v10, v0
	v_sub_nc_u32_e32 v11, v66, v14
	s_wait_dscnt 0x0
	v_readfirstlane_b32 s7, v10
	v_and_b32_e32 v10, 16, v56
	s_delay_alu instid0(VALU_DEP_3) | instskip(SKIP_1) | instid1(VALU_DEP_2)
	v_min_i32_e32 v11, v67, v11
	s_cmp_eq_u32 s7, 0
	v_cmp_ne_u32_e64 s7, 0, v10
	s_delay_alu instid0(VALU_DEP_2) | instskip(SKIP_1) | instid1(SALU_CYCLE_1)
	v_cmp_lt_i32_e32 vcc_lo, 0, v11
	s_cselect_b32 s11, -1, 0
	s_and_b32 s11, vcc_lo, s11
	s_delay_alu instid0(SALU_CYCLE_1) | instskip(NEXT) | instid1(SALU_CYCLE_1)
	s_and_b32 s11, s7, s11
	s_and_saveexec_b32 s7, s11
	s_cbranch_execz .LBB2_5196
; %bb.5195:                             ;   in Loop: Header=BB2_2633 Depth=1
	global_wb scope:SCOPE_SYS
	s_wait_loadcnt 0x0
	s_wait_storecnt 0x0
	global_inv scope:SCOPE_SYS
.LBB2_5196:                             ;   in Loop: Header=BB2_2633 Depth=1
	s_or_b32 exec_lo, exec_lo, s7
	v_and_b32_e32 v10, 32, v56
	s_mov_b32 s7, exec_lo
	s_delay_alu instid0(VALU_DEP_1)
	v_cmpx_ne_u32_e32 0, v10
	s_cbranch_execz .LBB2_2631
; %bb.5197:                             ;   in Loop: Header=BB2_2633 Depth=1
	v_add_nc_u64_e32 v[8:9], 1, v[8:9]
	global_wb scope:SCOPE_SYS
	s_wait_loadcnt 0x0
	s_wait_storecnt 0x0
	flat_store_b64 v[22:23], v[8:9] scope:SCOPE_SYS
	s_branch .LBB2_2631
.LBB2_5198:
	s_or_b32 exec_lo, exec_lo, s25
.LBB2_5199:
	s_delay_alu instid0(SALU_CYCLE_1)
	s_or_b32 exec_lo, exec_lo, s23
.LBB2_5200:
	s_delay_alu instid0(SALU_CYCLE_1)
	s_or_b32 exec_lo, exec_lo, s15
                                        ; implicit-def: $vgpr18_vgpr19
                                        ; implicit-def: $vgpr4_vgpr5
                                        ; implicit-def: $vgpr36_vgpr37
                                        ; implicit-def: $vgpr24
                                        ; implicit-def: $vgpr32_vgpr33
                                        ; implicit-def: $vgpr26_vgpr27
                                        ; implicit-def: $vgpr22_vgpr23
                                        ; implicit-def: $vgpr0
                                        ; implicit-def: $vgpr15
                                        ; implicit-def: $vgpr34_vgpr35
.LBB2_5201:
	s_and_not1_saveexec_b32 s11, s22
	s_cbranch_execz .LBB2_5373
; %bb.5202:
	v_mov_b64_e32 v[28:29], 0
	s_mov_b32 s12, exec_lo
	v_cmpx_ne_u64_e32 0, v[4:5]
	s_cbranch_execz .LBB2_5372
; %bb.5203:
	s_wait_dscnt 0x0
	v_dual_mov_b32 v11, 0 :: v_dual_bitop2_b32 v30, 31, v0 bitop3:0x40
	v_dual_ashrrev_i32 v25, 31, v24 :: v_dual_bitop2_b32 v10, 31, v31 bitop3:0x40
	v_dual_lshrrev_b32 v82, 5, v0 :: v_dual_lshrrev_b32 v12, 5, v1
	s_delay_alu instid0(VALU_DEP_3) | instskip(NEXT) | instid1(VALU_DEP_3)
	v_dual_mov_b32 v13, v11 :: v_dual_lshlrev_b32 v83, 4, v30
	v_cmp_eq_u32_e64 s4, 0, v10
	s_ashr_i32 s2, s21, 31
	v_cmp_eq_u32_e32 vcc_lo, 32, v1
	s_lshr_b32 s2, s2, 24
	v_lshl_or_b32 v10, v82, 10, v83
	v_mov_b64_e32 v[50:51], 0
	v_cmp_ne_u64_e64 s7, 0, v[36:37]
	v_mov_b64_e32 v[52:53], 0
	v_mov_b64_e32 v[28:29], 0
	;; [unrolled: 1-line block ×3, first 2 shown]
	v_cmp_ge_u32_e64 s1, v0, v1
	s_add_co_i32 s21, s21, s2
	v_cmp_ne_u32_e64 s2, 32, v1
	v_cmp_ne_u32_e64 s3, v1, v57
	v_cmp_eq_u32_e64 s5, 0, v30
	v_cmp_lt_u32_e64 s6, v30, v15
	v_dual_mov_b32 v15, v11 :: v_dual_lshlrev_b32 v14, 10, v12
	v_dual_mov_b32 v17, v11 :: v_dual_lshlrev_b32 v16, 9, v12
	;; [unrolled: 1-line block ×3, first 2 shown]
	v_and_b32_e32 v48, 0x1fe0, v1
	v_dual_mov_b32 v49, v11 :: v_dual_mov_b32 v84, 1
	s_ashr_i32 s14, s21, 8
	s_mov_b32 s13, 0
	s_xor_b32 s15, vcc_lo, -1
	s_trap 2
	s_branch .LBB2_5207
.LBB2_5204:                             ;   in Loop: Header=BB2_5207 Depth=1
	s_wait_xcnt 0x0
	s_or_b32 exec_lo, exec_lo, s16
	v_add_nc_u64_e32 v[8:9], 1, v[8:9]
	global_wb scope:SCOPE_SYS
	s_wait_storecnt 0x0
	s_wait_loadcnt_dscnt 0x0
	flat_store_b64 v[22:23], v[8:9] scope:SCOPE_SYS
.LBB2_5205:                             ;   in Loop: Header=BB2_5207 Depth=1
	s_wait_xcnt 0x0
	s_or_b32 exec_lo, exec_lo, s10
.LBB2_5206:                             ;   in Loop: Header=BB2_5207 Depth=1
	s_delay_alu instid0(SALU_CYCLE_1) | instskip(SKIP_1) | instid1(VALU_DEP_1)
	s_or_b32 exec_lo, exec_lo, s17
	v_add_nc_u64_e32 v[52:53], v[52:53], v[34:35]
	v_cmp_ge_u64_e32 vcc_lo, v[52:53], v[4:5]
	s_or_b32 s13, vcc_lo, s13
	s_delay_alu instid0(SALU_CYCLE_1)
	s_and_not1_b32 exec_lo, exec_lo, s13
	s_cbranch_execz .LBB2_5371
.LBB2_5207:                             ; =>This Loop Header: Depth=1
                                        ;     Child Loop BB2_5216 Depth 2
                                        ;     Child Loop BB2_5240 Depth 2
	;; [unrolled: 1-line block ×10, first 2 shown]
	v_sub_nc_u64_e32 v[64:65], v[4:5], v[52:53]
	s_delay_alu instid0(VALU_DEP_1) | instskip(NEXT) | instid1(VALU_DEP_1)
	v_min_u64 v[64:65], v[34:35], v[64:65]
	v_add_nc_u32_e32 v10, 15, v64
	s_delay_alu instid0(VALU_DEP_2) | instskip(NEXT) | instid1(VALU_DEP_2)
	v_cmp_eq_u64_e32 vcc_lo, 0, v[64:65]
	v_and_b32_e32 v10, 0x7ffffff0, v10
	s_or_b32 s16, s1, vcc_lo
	s_delay_alu instid0(SALU_CYCLE_1) | instskip(NEXT) | instid1(VALU_DEP_1)
	s_xor_b32 s10, s16, -1
	v_dual_mov_b32 v10, 0 :: v_dual_max_i32 v66, s14, v10
	s_and_saveexec_b32 s17, s10
	s_cbranch_execz .LBB2_5324
; %bb.5208:                             ;   in Loop: Header=BB2_5207 Depth=1
	s_and_saveexec_b32 s10, s0
	s_cbranch_execz .LBB2_5210
; %bb.5209:                             ;   in Loop: Header=BB2_5207 Depth=1
	s_trap 2
	ds_load_b64 v[68:69], v0
	s_wait_dscnt 0x0
	v_add_nc_u64_e32 v[68:69], v[68:69], v[18:19]
	s_delay_alu instid0(VALU_DEP_1)
	v_add_nc_u64_e32 v[68:69], v[68:69], v[52:53]
	ds_store_b64 v0, v[68:69]
	ds_store_b64 v0, v[50:51]
.LBB2_5210:                             ;   in Loop: Header=BB2_5207 Depth=1
	s_or_b32 exec_lo, exec_lo, s10
	v_and_b32_e32 v10, 8, v56
	v_min_u32_e32 v66, v66, v64
	s_mov_b32 s18, exec_lo
	s_delay_alu instid0(VALU_DEP_2)
	v_cmpx_ne_u32_e32 0, v10
	s_cbranch_execz .LBB2_5232
; %bb.5211:                             ;   in Loop: Header=BB2_5207 Depth=1
	s_wait_loadcnt 0x0
	v_add_nc_u64_e32 v[70:71], 8, v[32:33]
	v_add_nc_u64_e32 v[68:69], 1, v[8:9]
	s_mov_b32 s19, exec_lo
	s_delay_alu instid0(VALU_DEP_1)
	v_cmpx_lt_u64_e64 v[70:71], v[68:69]
	s_cbranch_execz .LBB2_5223
; %bb.5212:                             ;   in Loop: Header=BB2_5207 Depth=1
	v_and_b32_e32 v9, 64, v56
	s_mov_b32 s21, 0
	s_mov_b32 s25, 0
                                        ; implicit-def: $sgpr22
                                        ; implicit-def: $sgpr23
                                        ; implicit-def: $sgpr24
	s_delay_alu instid0(VALU_DEP_1)
	v_cmp_eq_u32_e32 vcc_lo, 0, v9
	s_branch .LBB2_5216
.LBB2_5213:                             ;   in Loop: Header=BB2_5216 Depth=2
	s_wait_loadcnt_dscnt 0x0
	v_add_nc_u64_e32 v[70:71], 8, v[32:33]
	s_or_b32 s28, s28, exec_lo
	s_delay_alu instid0(VALU_DEP_1)
	v_cmp_ge_u64_e64 s10, v[70:71], v[68:69]
	s_or_not1_b32 s27, s10, exec_lo
.LBB2_5214:                             ;   in Loop: Header=BB2_5216 Depth=2
	s_or_b32 exec_lo, exec_lo, s40
	s_delay_alu instid0(SALU_CYCLE_1)
	s_and_not1_b32 s10, s24, exec_lo
	s_and_b32 s24, s28, exec_lo
	s_and_not1_b32 s23, s23, exec_lo
	s_and_b32 s27, s27, exec_lo
	s_or_b32 s24, s10, s24
	s_or_b32 s23, s23, s27
.LBB2_5215:                             ;   in Loop: Header=BB2_5216 Depth=2
	s_or_b32 exec_lo, exec_lo, s26
	s_delay_alu instid0(SALU_CYCLE_1) | instskip(NEXT) | instid1(SALU_CYCLE_1)
	s_and_b32 s10, exec_lo, s23
	s_or_b32 s21, s10, s21
	s_and_not1_b32 s10, s22, exec_lo
	s_and_b32 s22, s24, exec_lo
	s_delay_alu instid0(SALU_CYCLE_1)
	s_or_b32 s22, s10, s22
	s_and_not1_b32 exec_lo, exec_lo, s21
	s_cbranch_execz .LBB2_5220
.LBB2_5216:                             ;   Parent Loop BB2_5207 Depth=1
                                        ; =>  This Inner Loop Header: Depth=2
	s_sleep 1
	s_wait_loadcnt_dscnt 0x0
	flat_load_b64 v[32:33], v[22:23] scope:SCOPE_SYS
	s_or_b32 s24, s24, exec_lo
	s_or_b32 s23, s23, exec_lo
                                        ; implicit-def: $vgpr9
	s_wait_xcnt 0x0
	s_and_saveexec_b32 s26, vcc_lo
	s_cbranch_execz .LBB2_5215
; %bb.5217:                             ;   in Loop: Header=BB2_5216 Depth=2
	s_cmp_lt_i32 s25, 0x270f
	s_mov_b32 s27, -1
	s_cselect_b32 s29, -1, 0
	s_cmp_gt_i32 s25, 0x270e
	s_cbranch_scc0 .LBB2_5219
; %bb.5218:                             ;   in Loop: Header=BB2_5216 Depth=2
	s_trap 2
	ds_load_b64 v[70:71], v0
	s_and_not1_b32 s25, s29, exec_lo
	s_mov_b32 s28, 0
	s_wait_storecnt 0x0
	s_wait_loadcnt_dscnt 0x0
	flat_load_b32 v9, v[70:71] scope:SCOPE_SYS
	s_wait_loadcnt_dscnt 0x0
	global_inv scope:SCOPE_SYS
	v_cmp_eq_u32_e64 s10, 0, v9
	s_and_b32 s10, s10, exec_lo
	s_delay_alu instid0(SALU_CYCLE_1)
	s_or_b32 s29, s25, s10
	s_mov_b32 s25, 0
	s_and_saveexec_b32 s40, s29
	s_cbranch_execz .LBB2_5214
	s_branch .LBB2_5213
.LBB2_5219:                             ;   in Loop: Header=BB2_5216 Depth=2
	s_add_co_i32 s25, s25, 1
	s_mov_b32 s28, -1
                                        ; implicit-def: $vgpr9
	s_and_saveexec_b32 s40, s29
	s_cbranch_execz .LBB2_5214
	s_branch .LBB2_5213
.LBB2_5220:                             ;   in Loop: Header=BB2_5207 Depth=1
	s_or_b32 exec_lo, exec_lo, s21
	s_xor_b32 s10, s22, -1
	s_delay_alu instid0(SALU_CYCLE_1) | instskip(NEXT) | instid1(SALU_CYCLE_1)
	s_and_saveexec_b32 s21, s10
	s_xor_b32 s10, exec_lo, s21
	s_cbranch_execz .LBB2_5222
; %bb.5221:                             ;   in Loop: Header=BB2_5207 Depth=1
	v_or_b32_e32 v56, 64, v56
	s_wait_storecnt 0x0
	s_wait_loadcnt_dscnt 0x0
	ds_store_b32 v0, v9
	s_trap 2
.LBB2_5222:                             ;   in Loop: Header=BB2_5207 Depth=1
	s_or_b32 exec_lo, exec_lo, s10
.LBB2_5223:                             ;   in Loop: Header=BB2_5207 Depth=1
	s_delay_alu instid0(SALU_CYCLE_1) | instskip(SKIP_4) | instid1(VALU_DEP_2)
	s_or_b32 exec_lo, exec_lo, s19
	v_and_b32_e32 v9, 0x100, v56
	v_and_b32_e32 v10, 7, v8
	s_mov_b32 s10, -1
	;;#ASMSTART
	s_wakeup
	;;#ASMEND
	v_cmp_ne_u32_e32 vcc_lo, 0, v9
                                        ; implicit-def: $vgpr8_vgpr9
	s_and_saveexec_b32 s19, vcc_lo
	s_cbranch_execz .LBB2_5227
; %bb.5224:                             ;   in Loop: Header=BB2_5207 Depth=1
	v_mad_nc_u64_u32 v[70:71], v10, 24, v[6:7]
	v_mov_b32_e32 v67, v11
	s_clause 0x1
	flat_load_b32 v8, v[70:71]
	flat_store_b64 v[70:71], v[66:67] offset:8
	s_wait_loadcnt_dscnt 0x1
	v_cmp_eq_u32_e64 s10, 1, v8
	v_cmp_ne_u32_e32 vcc_lo, 1, v8
                                        ; implicit-def: $vgpr8_vgpr9
	s_wait_xcnt 0x0
	s_and_saveexec_b32 s21, s10
	s_cbranch_execz .LBB2_5226
; %bb.5225:                             ;   in Loop: Header=BB2_5207 Depth=1
	flat_load_b32 v8, v[70:71] offset:4 scope:SCOPE_SYS
	s_wait_loadcnt_dscnt 0x0
	v_ashrrev_i32_e32 v9, 31, v8
.LBB2_5226:                             ;   in Loop: Header=BB2_5207 Depth=1
	s_wait_xcnt 0x0
	s_or_b32 exec_lo, exec_lo, s21
	s_delay_alu instid0(SALU_CYCLE_1)
	s_or_not1_b32 s10, vcc_lo, exec_lo
.LBB2_5227:                             ;   in Loop: Header=BB2_5207 Depth=1
	s_or_b32 exec_lo, exec_lo, s19
	s_and_saveexec_b32 s19, s10
; %bb.5228:                             ;   in Loop: Header=BB2_5207 Depth=1
	v_mul_u64_e32 v[8:9], v[10:11], v[24:25]
; %bb.5229:                             ;   in Loop: Header=BB2_5207 Depth=1
	s_or_b32 exec_lo, exec_lo, s19
	s_delay_alu instid0(VALU_DEP_1)
	v_add_nc_u64_e32 v[8:9], v[26:27], v[8:9]
	v_and_b32_e32 v10, 0x2000, v56
	s_mov_b32 s10, exec_lo
	ds_store_b64 v0, v[8:9] offset:784
	v_cmpx_ne_u32_e32 0, v10
	s_cbranch_execz .LBB2_5231
; %bb.5230:                             ;   in Loop: Header=BB2_5207 Depth=1
	ds_load_b64 v[8:9], v0 offset:872
	s_wait_dscnt 0x0
	v_add_nc_u64_e32 v[8:9], 1, v[8:9]
	ds_store_b64 v0, v[8:9] offset:872
.LBB2_5231:                             ;   in Loop: Header=BB2_5207 Depth=1
	s_or_b32 exec_lo, exec_lo, s10
	v_mov_b64_e32 v[8:9], v[68:69]
.LBB2_5232:                             ;   in Loop: Header=BB2_5207 Depth=1
	s_or_b32 exec_lo, exec_lo, s18
	s_and_saveexec_b32 s10, s2
	s_cbranch_execz .LBB2_5251
; %bb.5233:                             ;   in Loop: Header=BB2_5207 Depth=1
	s_and_saveexec_b32 s18, s3
	s_delay_alu instid0(SALU_CYCLE_1)
	s_xor_b32 s18, exec_lo, s18
	s_cbranch_execz .LBB2_5248
; %bb.5234:                             ;   in Loop: Header=BB2_5207 Depth=1
	s_and_saveexec_b32 s19, s4
	s_cbranch_execz .LBB2_5247
; %bb.5235:                             ;   in Loop: Header=BB2_5207 Depth=1
	s_mov_b32 s22, exec_lo
	s_mov_b32 s21, exec_lo
	v_mbcnt_lo_u32_b32 v10, s22, 0
	global_wb scope:SCOPE_DEV
	s_wait_storecnt 0x0
	s_wait_loadcnt_dscnt 0x0
	global_inv scope:SCOPE_DEV
	v_cmpx_eq_u32_e32 0, v10
	s_cbranch_execz .LBB2_5237
; %bb.5236:                             ;   in Loop: Header=BB2_5207 Depth=1
	s_bcnt1_i32_b32 s22, s22
	s_delay_alu instid0(SALU_CYCLE_1)
	v_mov_b32_e32 v10, s22
	s_wait_loadcnt 0x0
	ds_add_u64 v0, v[10:11]
	s_trap 2
.LBB2_5237:                             ;   in Loop: Header=BB2_5207 Depth=1
	s_or_b32 exec_lo, exec_lo, s21
	s_trap 2
	ds_load_b64 v[68:69], v0
	s_wait_dscnt 0x0
	v_add_nc_u64_e32 v[28:29], v[28:29], v[12:13]
	s_mov_b32 s21, exec_lo
	s_delay_alu instid0(VALU_DEP_1)
	v_cmpx_lt_u64_e64 v[68:69], v[28:29]
	s_cbranch_execz .LBB2_5246
; %bb.5238:                             ;   in Loop: Header=BB2_5207 Depth=1
	s_mov_b32 s22, 0
	s_mov_b32 s25, 0
                                        ; implicit-def: $sgpr23
                                        ; implicit-def: $sgpr24
	s_branch .LBB2_5240
.LBB2_5239:                             ;   in Loop: Header=BB2_5240 Depth=2
	s_or_b32 exec_lo, exec_lo, s27
	s_delay_alu instid0(SALU_CYCLE_1) | instskip(NEXT) | instid1(SALU_CYCLE_1)
	s_and_b32 s26, exec_lo, s28
	s_or_b32 s22, s26, s22
	s_and_not1_b32 s23, s23, exec_lo
	s_and_b32 s26, s24, exec_lo
	s_delay_alu instid0(SALU_CYCLE_1)
	s_or_b32 s23, s23, s26
	s_and_not1_b32 exec_lo, exec_lo, s22
	s_cbranch_execz .LBB2_5244
.LBB2_5240:                             ;   Parent Loop BB2_5207 Depth=1
                                        ; =>  This Inner Loop Header: Depth=2
	s_add_co_i32 s25, s25, 1
	s_delay_alu instid0(SALU_CYCLE_1) | instskip(SKIP_1) | instid1(SALU_CYCLE_1)
	s_cmp_lg_u32 s25, 0x2710
	s_cselect_b32 s26, -1, 0
	s_and_b32 vcc_lo, exec_lo, s26
	s_cbranch_vccz .LBB2_5242
; %bb.5241:                             ;   in Loop: Header=BB2_5240 Depth=2
	s_mov_b32 s28, -1
	s_or_b32 s24, s24, exec_lo
	s_and_saveexec_b32 s27, s26
	s_cbranch_execz .LBB2_5239
	s_branch .LBB2_5243
.LBB2_5242:                             ;   in Loop: Header=BB2_5240 Depth=2
	s_trap 2
	ds_load_b64 v[68:69], v0
	s_and_not1_b32 s26, s26, exec_lo
	s_mov_b32 s25, 0
	s_wait_loadcnt_dscnt 0x0
	flat_load_b32 v10, v[68:69] scope:SCOPE_SYS
	s_wait_loadcnt_dscnt 0x0
	global_inv scope:SCOPE_SYS
	v_cmp_eq_u32_e32 vcc_lo, 0, v10
	s_and_b32 s27, vcc_lo, exec_lo
	s_delay_alu instid0(SALU_CYCLE_1)
	s_or_b32 s26, s26, s27
	s_mov_b32 s28, -1
	s_or_b32 s24, s24, exec_lo
	s_and_saveexec_b32 s27, s26
	s_cbranch_execz .LBB2_5239
.LBB2_5243:                             ;   in Loop: Header=BB2_5240 Depth=2
	s_sleep 1
	s_trap 2
	ds_load_b64 v[68:69], v0
	s_wait_dscnt 0x0
	s_and_not1_b32 s24, s24, exec_lo
	v_cmp_ge_u64_e32 vcc_lo, v[68:69], v[28:29]
	s_or_not1_b32 s28, vcc_lo, exec_lo
	s_branch .LBB2_5239
.LBB2_5244:                             ;   in Loop: Header=BB2_5207 Depth=1
	s_or_b32 exec_lo, exec_lo, s22
	s_and_saveexec_b32 s22, s23
	s_delay_alu instid0(SALU_CYCLE_1)
	s_xor_b32 s22, exec_lo, s22
	s_cbranch_execz .LBB2_5246
; %bb.5245:                             ;   in Loop: Header=BB2_5207 Depth=1
	ds_store_b32 v0, v84
	s_trap 2
.LBB2_5246:                             ;   in Loop: Header=BB2_5207 Depth=1
	s_or_b32 exec_lo, exec_lo, s21
	;;#ASMSTART
	s_wakeup
	;;#ASMEND
.LBB2_5247:                             ;   in Loop: Header=BB2_5207 Depth=1
	s_or_b32 exec_lo, exec_lo, s19
.LBB2_5248:                             ;   in Loop: Header=BB2_5207 Depth=1
	s_and_not1_saveexec_b32 s18, s18
	s_cbranch_execz .LBB2_5250
; %bb.5249:                             ;   in Loop: Header=BB2_5207 Depth=1
	global_wb scope:SCOPE_DEV
	s_wait_storecnt 0x0
	s_wait_loadcnt_dscnt 0x0
	global_inv scope:SCOPE_DEV
	s_barrier_signal -1
	s_barrier_wait -1
.LBB2_5250:                             ;   in Loop: Header=BB2_5207 Depth=1
	s_or_b32 exec_lo, exec_lo, s18
.LBB2_5251:                             ;   in Loop: Header=BB2_5207 Depth=1
	s_delay_alu instid0(SALU_CYCLE_1) | instskip(SKIP_3) | instid1(VALU_DEP_1)
	s_or_b32 exec_lo, exec_lo, s10
	s_trap 2
	ds_load_b32 v65, v0
	v_and_b32_e32 v10, 0x4000, v56
	v_cmp_ne_u32_e32 vcc_lo, 0, v10
	s_and_b32 s18, s15, vcc_lo
	s_delay_alu instid0(SALU_CYCLE_1)
	s_and_saveexec_b32 s10, s18
	s_cbranch_execz .LBB2_5270
; %bb.5252:                             ;   in Loop: Header=BB2_5207 Depth=1
	s_and_saveexec_b32 s18, s3
	s_delay_alu instid0(SALU_CYCLE_1)
	s_xor_b32 s18, exec_lo, s18
	s_cbranch_execz .LBB2_5267
; %bb.5253:                             ;   in Loop: Header=BB2_5207 Depth=1
	s_and_saveexec_b32 s19, s4
	s_cbranch_execz .LBB2_5266
; %bb.5254:                             ;   in Loop: Header=BB2_5207 Depth=1
	s_mov_b32 s22, exec_lo
	s_mov_b32 s21, exec_lo
	v_mbcnt_lo_u32_b32 v10, s22, 0
	global_wb scope:SCOPE_DEV
	s_wait_storecnt 0x0
	s_wait_loadcnt_dscnt 0x0
	global_inv scope:SCOPE_DEV
	v_cmpx_eq_u32_e32 0, v10
	s_cbranch_execz .LBB2_5256
; %bb.5255:                             ;   in Loop: Header=BB2_5207 Depth=1
	s_bcnt1_i32_b32 s22, s22
	s_delay_alu instid0(SALU_CYCLE_1)
	v_mov_b32_e32 v10, s22
	s_wait_loadcnt 0x0
	ds_add_u64 v0, v[10:11]
	s_trap 2
.LBB2_5256:                             ;   in Loop: Header=BB2_5207 Depth=1
	s_or_b32 exec_lo, exec_lo, s21
	s_trap 2
	ds_load_b64 v[68:69], v0
	s_wait_dscnt 0x0
	v_add_nc_u64_e32 v[28:29], v[28:29], v[12:13]
	s_mov_b32 s21, exec_lo
	s_delay_alu instid0(VALU_DEP_1)
	v_cmpx_lt_u64_e64 v[68:69], v[28:29]
	s_cbranch_execz .LBB2_5265
; %bb.5257:                             ;   in Loop: Header=BB2_5207 Depth=1
	s_mov_b32 s22, 0
	s_mov_b32 s25, 0
                                        ; implicit-def: $sgpr23
                                        ; implicit-def: $sgpr24
	s_branch .LBB2_5259
.LBB2_5258:                             ;   in Loop: Header=BB2_5259 Depth=2
	s_or_b32 exec_lo, exec_lo, s27
	s_delay_alu instid0(SALU_CYCLE_1) | instskip(NEXT) | instid1(SALU_CYCLE_1)
	s_and_b32 s26, exec_lo, s28
	s_or_b32 s22, s26, s22
	s_and_not1_b32 s23, s23, exec_lo
	s_and_b32 s26, s24, exec_lo
	s_delay_alu instid0(SALU_CYCLE_1)
	s_or_b32 s23, s23, s26
	s_and_not1_b32 exec_lo, exec_lo, s22
	s_cbranch_execz .LBB2_5263
.LBB2_5259:                             ;   Parent Loop BB2_5207 Depth=1
                                        ; =>  This Inner Loop Header: Depth=2
	s_add_co_i32 s25, s25, 1
	s_delay_alu instid0(SALU_CYCLE_1) | instskip(SKIP_1) | instid1(SALU_CYCLE_1)
	s_cmp_lg_u32 s25, 0x2710
	s_cselect_b32 s26, -1, 0
	s_and_b32 vcc_lo, exec_lo, s26
	s_cbranch_vccz .LBB2_5261
; %bb.5260:                             ;   in Loop: Header=BB2_5259 Depth=2
	s_mov_b32 s28, -1
	s_or_b32 s24, s24, exec_lo
	s_and_saveexec_b32 s27, s26
	s_cbranch_execz .LBB2_5258
	s_branch .LBB2_5262
.LBB2_5261:                             ;   in Loop: Header=BB2_5259 Depth=2
	s_trap 2
	ds_load_b64 v[68:69], v0
	s_and_not1_b32 s26, s26, exec_lo
	s_mov_b32 s25, 0
	s_wait_loadcnt_dscnt 0x0
	flat_load_b32 v10, v[68:69] scope:SCOPE_SYS
	s_wait_loadcnt_dscnt 0x0
	global_inv scope:SCOPE_SYS
	v_cmp_eq_u32_e32 vcc_lo, 0, v10
	s_and_b32 s27, vcc_lo, exec_lo
	s_delay_alu instid0(SALU_CYCLE_1)
	s_or_b32 s26, s26, s27
	s_mov_b32 s28, -1
	s_or_b32 s24, s24, exec_lo
	s_and_saveexec_b32 s27, s26
	s_cbranch_execz .LBB2_5258
.LBB2_5262:                             ;   in Loop: Header=BB2_5259 Depth=2
	s_sleep 1
	s_trap 2
	ds_load_b64 v[68:69], v0
	s_wait_dscnt 0x0
	s_and_not1_b32 s24, s24, exec_lo
	v_cmp_ge_u64_e32 vcc_lo, v[68:69], v[28:29]
	s_or_not1_b32 s28, vcc_lo, exec_lo
	s_branch .LBB2_5258
.LBB2_5263:                             ;   in Loop: Header=BB2_5207 Depth=1
	s_or_b32 exec_lo, exec_lo, s22
	s_and_saveexec_b32 s22, s23
	s_delay_alu instid0(SALU_CYCLE_1)
	s_xor_b32 s22, exec_lo, s22
	s_cbranch_execz .LBB2_5265
; %bb.5264:                             ;   in Loop: Header=BB2_5207 Depth=1
	ds_store_b32 v0, v84
	s_trap 2
.LBB2_5265:                             ;   in Loop: Header=BB2_5207 Depth=1
	s_or_b32 exec_lo, exec_lo, s21
	;;#ASMSTART
	s_wakeup
	;;#ASMEND
.LBB2_5266:                             ;   in Loop: Header=BB2_5207 Depth=1
	s_or_b32 exec_lo, exec_lo, s19
.LBB2_5267:                             ;   in Loop: Header=BB2_5207 Depth=1
	s_and_not1_saveexec_b32 s18, s18
	s_cbranch_execz .LBB2_5269
; %bb.5268:                             ;   in Loop: Header=BB2_5207 Depth=1
	global_wb scope:SCOPE_DEV
	s_wait_storecnt 0x0
	s_wait_loadcnt_dscnt 0x0
	global_inv scope:SCOPE_DEV
	s_barrier_signal -1
	s_barrier_wait -1
.LBB2_5269:                             ;   in Loop: Header=BB2_5207 Depth=1
	s_or_b32 exec_lo, exec_lo, s18
.LBB2_5270:                             ;   in Loop: Header=BB2_5207 Depth=1
	s_delay_alu instid0(SALU_CYCLE_1)
	s_or_b32 exec_lo, exec_lo, s10
	s_trap 2
	ds_load_b64 v[68:69], v0
	s_wait_dscnt 0x0
	v_cmp_eq_u64_e32 vcc_lo, 0, v[68:69]
	s_cbranch_vccnz .LBB2_5278
; %bb.5271:                             ;   in Loop: Header=BB2_5207 Depth=1
	s_trap 2
	ds_load_b64 v[70:71], v0
	s_wait_dscnt 0x0
	v_cmp_eq_u64_e32 vcc_lo, 0, v[70:71]
	s_cbranch_vccnz .LBB2_5278
; %bb.5272:                             ;   in Loop: Header=BB2_5207 Depth=1
	s_mov_b32 s10, -1
	s_and_saveexec_b32 s18, s5
	s_cbranch_execz .LBB2_5274
; %bb.5273:                             ;   in Loop: Header=BB2_5207 Depth=1
	ds_load_b32 v10, v0 offset:720
	s_wait_dscnt 0x0
	v_and_b32_e32 v10, 15, v10
	s_delay_alu instid0(VALU_DEP_1)
	v_cmp_eq_u32_e32 vcc_lo, 0, v10
	s_or_not1_b32 s10, vcc_lo, exec_lo
.LBB2_5274:                             ;   in Loop: Header=BB2_5207 Depth=1
	s_or_b32 exec_lo, exec_lo, s18
	s_and_saveexec_b32 s18, s6
	s_cbranch_execz .LBB2_5276
; %bb.5275:                             ;   in Loop: Header=BB2_5207 Depth=1
	ds_load_b32 v10, v0 offset:784
	s_wait_dscnt 0x0
	v_and_b32_e32 v10, 15, v10
	s_delay_alu instid0(VALU_DEP_1) | instskip(SKIP_3) | instid1(SALU_CYCLE_1)
	v_cmp_eq_u32_e32 vcc_lo, 0, v10
	s_and_b32 s19, s10, vcc_lo
	s_and_not1_b32 s10, s10, exec_lo
	s_and_b32 s19, s19, exec_lo
	s_or_b32 s10, s10, s19
.LBB2_5276:                             ;   in Loop: Header=BB2_5207 Depth=1
	s_or_b32 exec_lo, exec_lo, s18
	v_cmp_eq_u32_e32 vcc_lo, 0, v65
	s_xor_b32 s10, s10, -1
	s_mov_b32 s19, -1
	v_cndmask_b32_e64 v10, 0, 1, s10
	v_dual_mov_b32 v85, v0 :: v_dual_cndmask_b32 v65, 0, v66, vcc_lo
	s_delay_alu instid0(VALU_DEP_2) | instskip(NEXT) | instid1(VALU_DEP_2)
	v_cmp_ne_u32_e32 vcc_lo, 0, v10
	v_dual_mov_b32 v10, 0 :: v_dual_mov_b32 v67, v65
	s_cbranch_vccz .LBB2_5279
; %bb.5277:                             ;   in Loop: Header=BB2_5207 Depth=1
	s_and_saveexec_b32 s10, s19
	s_cbranch_execnz .LBB2_5290
	s_branch .LBB2_5298
.LBB2_5278:                             ;   in Loop: Header=BB2_5207 Depth=1
	s_mov_b32 s10, 0
	s_and_saveexec_b32 s18, s2
	s_cbranch_execnz .LBB2_5299
	s_branch .LBB2_5317
.LBB2_5279:                             ;   in Loop: Header=BB2_5207 Depth=1
	v_lshrrev_b32_e32 v10, 10, v65
	s_mov_b32 s10, exec_lo
	s_delay_alu instid0(VALU_DEP_1) | instskip(NEXT) | instid1(VALU_DEP_1)
	v_sub_nc_u32_e32 v86, v10, v82
	v_cmpx_lt_i32_e32 0, v86
	s_cbranch_execz .LBB2_5283
; %bb.5280:                             ;   in Loop: Header=BB2_5207 Depth=1
	v_mov_b64_e32 v[80:81], v[54:55]
	s_mov_b32 s18, 0
.LBB2_5281:                             ;   Parent Loop BB2_5207 Depth=1
                                        ; =>  This Inner Loop Header: Depth=2
	s_delay_alu instid0(VALU_DEP_1)
	v_add_nc_u64_e32 v[100:101], v[68:69], v[80:81]
	v_sub_nc_u32_e32 v86, v86, v12
	v_add_nc_u64_e32 v[112:113], v[70:71], v[80:81]
	v_add_nc_u64_e32 v[80:81], v[80:81], v[14:15]
	s_clause 0x1
	global_load_b128 v[96:99], v[100:101], off th:TH_LOAD_NT
	global_load_b128 v[100:103], v[100:101], off offset:512 th:TH_LOAD_NT
	v_cmp_gt_i32_e32 vcc_lo, 1, v86
	s_wait_loadcnt 0x1
	global_store_b128 v[112:113], v[96:99], off th:TH_STORE_NT
	s_wait_loadcnt 0x0
	global_store_b128 v[112:113], v[100:103], off offset:512 th:TH_STORE_NT
	s_or_b32 s18, vcc_lo, s18
	s_wait_xcnt 0x0
	s_and_not1_b32 exec_lo, exec_lo, s18
	s_cbranch_execnz .LBB2_5281
; %bb.5282:                             ;   in Loop: Header=BB2_5207 Depth=1
	s_or_b32 exec_lo, exec_lo, s18
.LBB2_5283:                             ;   in Loop: Header=BB2_5207 Depth=1
	s_delay_alu instid0(SALU_CYCLE_1) | instskip(SKIP_4) | instid1(VALU_DEP_2)
	s_or_b32 exec_lo, exec_lo, s10
	v_and_b32_e32 v80, 0x3ffffc00, v65
	v_mov_b32_e32 v10, 0
	s_mov_b32 s19, 0
	s_mov_b32 s18, exec_lo
                                        ; implicit-def: $vgpr67
                                        ; implicit-def: $vgpr85
	v_cmpx_ne_u32_e64 v65, v80
	s_cbranch_execz .LBB2_5289
; %bb.5284:                             ;   in Loop: Header=BB2_5207 Depth=1
	v_and_b32_e32 v67, 0x1ff, v65
	v_dual_lshlrev_b32 v10, 9, v86 :: v_dual_sub_nc_u32 v81, 0, v86
	v_bfe_u32 v86, v65, 9, 1
	v_and_b32_e32 v85, 0x3ff, v65
	s_delay_alu instid0(VALU_DEP_4) | instskip(NEXT) | instid1(VALU_DEP_4)
	v_cmp_lt_u32_e32 vcc_lo, 15, v67
	v_sub_nc_u32_e32 v10, v83, v10
	v_and_b32_e32 v81, 0x7ffffff, v81
	s_mov_b32 s19, exec_lo
	v_add_co_ci_u32_e64 v87, null, 0, v86, vcc_lo
	s_delay_alu instid0(VALU_DEP_1) | instskip(NEXT) | instid1(VALU_DEP_1)
	v_dual_sub_nc_u32 v86, v85, v10 :: v_dual_sub_nc_u32 v85, v87, v81
	v_cmpx_lt_i32_e32 15, v86
	s_cbranch_execz .LBB2_5288
; %bb.5285:                             ;   in Loop: Header=BB2_5207 Depth=1
	v_add_nc_u32_e32 v10, v10, v80
	s_mov_b32 s21, 0
	s_delay_alu instid0(VALU_DEP_1)
	v_mov_b64_e32 v[80:81], v[10:11]
.LBB2_5286:                             ;   Parent Loop BB2_5207 Depth=1
                                        ; =>  This Inner Loop Header: Depth=2
	s_delay_alu instid0(VALU_DEP_1) | instskip(SKIP_4) | instid1(VALU_DEP_4)
	v_add_nc_u64_e32 v[96:97], v[68:69], v[80:81]
	v_sub_nc_u32_e32 v86, v86, v16
	v_add_nc_u64_e32 v[100:101], v[70:71], v[80:81]
	v_add_nc_u64_e32 v[80:81], v[80:81], v[16:17]
	v_sub_nc_u32_e32 v85, v85, v12
	v_cmp_gt_i32_e64 s10, 16, v86
	global_load_b128 v[96:99], v[96:97], off th:TH_LOAD_NT
	s_or_b32 s21, s10, s21
	s_wait_loadcnt 0x0
	global_store_b128 v[100:101], v[96:99], off th:TH_STORE_NT
	s_wait_xcnt 0x0
	s_and_not1_b32 exec_lo, exec_lo, s21
	s_cbranch_execnz .LBB2_5286
; %bb.5287:                             ;   in Loop: Header=BB2_5207 Depth=1
	s_or_b32 exec_lo, exec_lo, s21
.LBB2_5288:                             ;   in Loop: Header=BB2_5207 Depth=1
	s_delay_alu instid0(SALU_CYCLE_1) | instskip(NEXT) | instid1(VALU_DEP_2)
	s_or_b32 exec_lo, exec_lo, s19
	v_cmp_lt_i32_e64 s10, 0, v85
	v_and_b32_e32 v10, 15, v65
	v_and_b32_e32 v80, 0x1f0, v65
	s_delay_alu instid0(VALU_DEP_2) | instskip(NEXT) | instid1(VALU_DEP_1)
	v_dual_cndmask_b32 v81, 0, v12, s10 :: v_dual_cndmask_b32 v67, v67, v10, vcc_lo
	v_dual_cndmask_b32 v10, 0, v80, vcc_lo :: v_dual_sub_nc_u32 v80, v81, v85
	s_delay_alu instid0(VALU_DEP_2) | instskip(NEXT) | instid1(VALU_DEP_2)
	v_cmp_ne_u32_e32 vcc_lo, 0, v67
	v_and_or_b32 v10, 0x3ffffe00, v65, v10
	s_delay_alu instid0(VALU_DEP_3)
	v_lshl_or_b32 v85, v80, 5, v30
	s_and_b32 s19, vcc_lo, exec_lo
.LBB2_5289:                             ;   in Loop: Header=BB2_5207 Depth=1
	s_or_b32 exec_lo, exec_lo, s18
	s_and_saveexec_b32 s10, s19
	s_cbranch_execz .LBB2_5298
.LBB2_5290:                             ;   in Loop: Header=BB2_5207 Depth=1
	v_dual_ashrrev_i32 v80, 31, v85 :: v_dual_lshrrev_b32 v81, 8, v67
	s_mov_b32 s18, exec_lo
	s_delay_alu instid0(VALU_DEP_1) | instskip(NEXT) | instid1(VALU_DEP_1)
	v_lshrrev_b32_e32 v80, 27, v80
	v_add_nc_u32_e32 v80, v85, v80
	s_delay_alu instid0(VALU_DEP_1) | instskip(NEXT) | instid1(VALU_DEP_1)
	v_ashrrev_i32_e32 v86, 5, v80
	v_sub_nc_u32_e32 v87, v81, v86
	s_delay_alu instid0(VALU_DEP_1)
	v_cmpx_lt_i32_e32 0, v87
	s_cbranch_execz .LBB2_5294
; %bb.5291:                             ;   in Loop: Header=BB2_5207 Depth=1
	v_and_b32_e32 v80, 0xffffffe0, v80
	s_mov_b32 s19, 0
	s_delay_alu instid0(VALU_DEP_1) | instskip(NEXT) | instid1(VALU_DEP_1)
	v_dual_lshlrev_b32 v81, 8, v86 :: v_dual_sub_nc_u32 v80, v85, v80
	v_add3_u32 v80, v10, v80, v81
	s_delay_alu instid0(VALU_DEP_1)
	v_ashrrev_i32_e32 v81, 31, v80
.LBB2_5292:                             ;   Parent Loop BB2_5207 Depth=1
                                        ; =>  This Inner Loop Header: Depth=2
	s_delay_alu instid0(VALU_DEP_1)
	v_add_nc_u64_e32 v[96:97], v[80:81], v[68:69]
	v_sub_nc_u32_e32 v87, v87, v12
	v_add_nc_u64_e32 v[68:69], v[68:69], v[38:39]
	s_clause 0x7
	flat_load_u8 v98, v[96:97] th:TH_LOAD_NT
	flat_load_u8 v99, v[96:97] offset:32 th:TH_LOAD_NT
	flat_load_u8 v100, v[96:97] offset:64 th:TH_LOAD_NT
	;; [unrolled: 1-line block ×7, first 2 shown]
	s_wait_xcnt 0x0
	v_add_nc_u64_e32 v[96:97], v[80:81], v[70:71]
	v_add_nc_u64_e32 v[70:71], v[70:71], v[38:39]
	v_cmp_gt_i32_e32 vcc_lo, 1, v87
	s_wait_loadcnt_dscnt 0x707
	flat_store_b8 v[96:97], v98 th:TH_STORE_NT
	s_wait_loadcnt_dscnt 0x607
	flat_store_b8 v[96:97], v99 offset:32 th:TH_STORE_NT
	s_wait_loadcnt_dscnt 0x507
	flat_store_b8 v[96:97], v100 offset:64 th:TH_STORE_NT
	;; [unrolled: 2-line block ×7, first 2 shown]
	s_or_b32 s19, vcc_lo, s19
	s_wait_xcnt 0x0
	s_and_not1_b32 exec_lo, exec_lo, s19
	s_cbranch_execnz .LBB2_5292
; %bb.5293:                             ;   in Loop: Header=BB2_5207 Depth=1
	s_or_b32 exec_lo, exec_lo, s19
.LBB2_5294:                             ;   in Loop: Header=BB2_5207 Depth=1
	s_delay_alu instid0(SALU_CYCLE_1) | instskip(SKIP_1) | instid1(VALU_DEP_1)
	s_or_b32 exec_lo, exec_lo, s18
	v_and_b32_e32 v70, 0xffffff00, v67
	v_cmp_ne_u32_e32 vcc_lo, v67, v70
	s_and_b32 exec_lo, exec_lo, vcc_lo
	s_cbranch_execz .LBB2_5298
; %bb.5295:                             ;   in Loop: Header=BB2_5207 Depth=1
	v_dual_lshlrev_b32 v68, 5, v86 :: v_dual_lshlrev_b32 v69, 5, v87
	v_and_b32_e32 v67, 0xff, v67
	s_delay_alu instid0(VALU_DEP_2) | instskip(NEXT) | instid1(VALU_DEP_1)
	v_sub_nc_u32_e32 v68, v85, v68
	v_sub_nc_u32_e32 v71, v68, v69
	s_delay_alu instid0(VALU_DEP_1) | instskip(NEXT) | instid1(VALU_DEP_1)
	v_sub_nc_u32_e32 v67, v67, v71
	v_cmp_lt_i32_e32 vcc_lo, 0, v67
	s_and_b32 exec_lo, exec_lo, vcc_lo
	s_cbranch_execz .LBB2_5298
; %bb.5296:                             ;   in Loop: Header=BB2_5207 Depth=1
	s_trap 2
	ds_load_b64 v[68:69], v0
	v_add3_u32 v70, v70, v10, v71
	s_mov_b32 s18, 0
	s_delay_alu instid0(VALU_DEP_1)
	v_ashrrev_i32_e32 v71, 31, v70
.LBB2_5297:                             ;   Parent Loop BB2_5207 Depth=1
                                        ; =>  This Inner Loop Header: Depth=2
	s_wait_dscnt 0x0
	s_delay_alu instid0(VALU_DEP_1) | instskip(SKIP_2) | instid1(VALU_DEP_2)
	v_add_nc_u64_e32 v[80:81], v[68:69], v[70:71]
	v_sub_nc_u32_e32 v67, v67, v48
	v_add_nc_u64_e32 v[70:71], v[70:71], v[48:49]
	v_cmp_gt_i32_e32 vcc_lo, 1, v67
	flat_load_u8 v10, v[80:81] th:TH_LOAD_NT
	s_or_b32 s18, vcc_lo, s18
	s_wait_loadcnt_dscnt 0x0
	flat_store_b8 v[80:81], v10 th:TH_STORE_NT
	s_wait_xcnt 0x0
	s_and_not1_b32 exec_lo, exec_lo, s18
	s_cbranch_execnz .LBB2_5297
.LBB2_5298:                             ;   in Loop: Header=BB2_5207 Depth=1
	s_or_b32 exec_lo, exec_lo, s10
	v_cmp_ne_u32_e64 s10, 0, v65
	s_and_saveexec_b32 s18, s2
	s_cbranch_execz .LBB2_5317
.LBB2_5299:                             ;   in Loop: Header=BB2_5207 Depth=1
	s_and_saveexec_b32 s19, s3
	s_delay_alu instid0(SALU_CYCLE_1)
	s_xor_b32 s19, exec_lo, s19
	s_cbranch_execz .LBB2_5314
; %bb.5300:                             ;   in Loop: Header=BB2_5207 Depth=1
	s_and_saveexec_b32 s21, s4
	s_cbranch_execz .LBB2_5313
; %bb.5301:                             ;   in Loop: Header=BB2_5207 Depth=1
	s_mov_b32 s23, exec_lo
	s_mov_b32 s22, exec_lo
	v_mbcnt_lo_u32_b32 v10, s23, 0
	global_wb scope:SCOPE_DEV
	s_wait_storecnt 0x0
	s_wait_loadcnt_dscnt 0x0
	global_inv scope:SCOPE_DEV
	v_cmpx_eq_u32_e32 0, v10
	s_cbranch_execz .LBB2_5303
; %bb.5302:                             ;   in Loop: Header=BB2_5207 Depth=1
	s_bcnt1_i32_b32 s23, s23
	s_delay_alu instid0(SALU_CYCLE_1)
	v_mov_b32_e32 v10, s23
	s_wait_loadcnt 0x0
	ds_add_u64 v0, v[10:11]
	s_trap 2
.LBB2_5303:                             ;   in Loop: Header=BB2_5207 Depth=1
	s_or_b32 exec_lo, exec_lo, s22
	s_trap 2
	ds_load_b64 v[68:69], v0
	s_wait_dscnt 0x0
	v_add_nc_u64_e32 v[28:29], v[28:29], v[12:13]
	s_mov_b32 s22, exec_lo
	s_delay_alu instid0(VALU_DEP_1)
	v_cmpx_lt_u64_e64 v[68:69], v[28:29]
	s_cbranch_execz .LBB2_5312
; %bb.5304:                             ;   in Loop: Header=BB2_5207 Depth=1
	s_mov_b32 s23, 0
	s_mov_b32 s26, 0
                                        ; implicit-def: $sgpr24
                                        ; implicit-def: $sgpr25
	s_branch .LBB2_5306
.LBB2_5305:                             ;   in Loop: Header=BB2_5306 Depth=2
	s_or_b32 exec_lo, exec_lo, s28
	s_delay_alu instid0(SALU_CYCLE_1) | instskip(NEXT) | instid1(SALU_CYCLE_1)
	s_and_b32 s27, exec_lo, s29
	s_or_b32 s23, s27, s23
	s_and_not1_b32 s24, s24, exec_lo
	s_and_b32 s27, s25, exec_lo
	s_delay_alu instid0(SALU_CYCLE_1)
	s_or_b32 s24, s24, s27
	s_and_not1_b32 exec_lo, exec_lo, s23
	s_cbranch_execz .LBB2_5310
.LBB2_5306:                             ;   Parent Loop BB2_5207 Depth=1
                                        ; =>  This Inner Loop Header: Depth=2
	s_add_co_i32 s26, s26, 1
	s_delay_alu instid0(SALU_CYCLE_1) | instskip(SKIP_1) | instid1(SALU_CYCLE_1)
	s_cmp_lg_u32 s26, 0x2710
	s_cselect_b32 s27, -1, 0
	s_and_b32 vcc_lo, exec_lo, s27
	s_cbranch_vccz .LBB2_5308
; %bb.5307:                             ;   in Loop: Header=BB2_5306 Depth=2
	s_mov_b32 s29, -1
	s_or_b32 s25, s25, exec_lo
	s_and_saveexec_b32 s28, s27
	s_cbranch_execz .LBB2_5305
	s_branch .LBB2_5309
.LBB2_5308:                             ;   in Loop: Header=BB2_5306 Depth=2
	s_trap 2
	ds_load_b64 v[68:69], v0
	s_and_not1_b32 s27, s27, exec_lo
	s_mov_b32 s26, 0
	s_wait_loadcnt_dscnt 0x0
	flat_load_b32 v10, v[68:69] scope:SCOPE_SYS
	s_wait_loadcnt_dscnt 0x0
	global_inv scope:SCOPE_SYS
	v_cmp_eq_u32_e32 vcc_lo, 0, v10
	s_and_b32 s28, vcc_lo, exec_lo
	s_delay_alu instid0(SALU_CYCLE_1)
	s_or_b32 s27, s27, s28
	s_mov_b32 s29, -1
	s_or_b32 s25, s25, exec_lo
	s_and_saveexec_b32 s28, s27
	s_cbranch_execz .LBB2_5305
.LBB2_5309:                             ;   in Loop: Header=BB2_5306 Depth=2
	s_sleep 1
	s_trap 2
	ds_load_b64 v[68:69], v0
	s_wait_dscnt 0x0
	s_and_not1_b32 s25, s25, exec_lo
	v_cmp_ge_u64_e32 vcc_lo, v[68:69], v[28:29]
	s_or_not1_b32 s29, vcc_lo, exec_lo
	s_branch .LBB2_5305
.LBB2_5310:                             ;   in Loop: Header=BB2_5207 Depth=1
	s_or_b32 exec_lo, exec_lo, s23
	s_and_saveexec_b32 s23, s24
	s_delay_alu instid0(SALU_CYCLE_1)
	s_xor_b32 s23, exec_lo, s23
	s_cbranch_execz .LBB2_5312
; %bb.5311:                             ;   in Loop: Header=BB2_5207 Depth=1
	ds_store_b32 v0, v84
	s_trap 2
.LBB2_5312:                             ;   in Loop: Header=BB2_5207 Depth=1
	s_or_b32 exec_lo, exec_lo, s22
	;;#ASMSTART
	s_wakeup
	;;#ASMEND
.LBB2_5313:                             ;   in Loop: Header=BB2_5207 Depth=1
	s_or_b32 exec_lo, exec_lo, s21
.LBB2_5314:                             ;   in Loop: Header=BB2_5207 Depth=1
	s_and_not1_saveexec_b32 s19, s19
	s_cbranch_execz .LBB2_5316
; %bb.5315:                             ;   in Loop: Header=BB2_5207 Depth=1
	global_wb scope:SCOPE_DEV
	s_wait_storecnt 0x0
	s_wait_loadcnt_dscnt 0x0
	global_inv scope:SCOPE_DEV
	s_barrier_signal -1
	s_barrier_wait -1
.LBB2_5316:                             ;   in Loop: Header=BB2_5207 Depth=1
	s_or_b32 exec_lo, exec_lo, s19
.LBB2_5317:                             ;   in Loop: Header=BB2_5207 Depth=1
	s_delay_alu instid0(SALU_CYCLE_1) | instskip(SKIP_1) | instid1(VALU_DEP_1)
	s_or_b32 exec_lo, exec_lo, s18
	v_and_b32_e32 v10, 16, v56
	v_cmp_ne_u32_e32 vcc_lo, 0, v10
	s_and_b32 s18, vcc_lo, s10
	s_delay_alu instid0(SALU_CYCLE_1)
	s_and_saveexec_b32 s10, s18
	s_cbranch_execz .LBB2_5319
; %bb.5318:                             ;   in Loop: Header=BB2_5207 Depth=1
	global_wb scope:SCOPE_SYS
	s_wait_storecnt 0x0
	s_wait_loadcnt_dscnt 0x0
	global_inv scope:SCOPE_SYS
.LBB2_5319:                             ;   in Loop: Header=BB2_5207 Depth=1
	s_or_b32 exec_lo, exec_lo, s10
	s_delay_alu instid0(SALU_CYCLE_1)
	s_mov_b32 s10, exec_lo
	v_cmpx_ne_u32_e32 0, v10
	s_cbranch_execz .LBB2_5323
; %bb.5320:                             ;   in Loop: Header=BB2_5207 Depth=1
	s_and_saveexec_b32 s18, s7
	s_cbranch_execz .LBB2_5322
; %bb.5321:                             ;   in Loop: Header=BB2_5207 Depth=1
	global_wb scope:SCOPE_SYS
	s_wait_storecnt 0x0
	s_wait_loadcnt_dscnt 0x0
	flat_store_b32 v[36:37], v84 scope:SCOPE_SYS
.LBB2_5322:                             ;   in Loop: Header=BB2_5207 Depth=1
	s_wait_xcnt 0x0
	s_or_b32 exec_lo, exec_lo, s18
	v_add_nc_u64_e32 v[8:9], 1, v[8:9]
	global_wb scope:SCOPE_SYS
	s_wait_storecnt 0x0
	s_wait_loadcnt_dscnt 0x0
	flat_store_b64 v[22:23], v[8:9] scope:SCOPE_SYS
.LBB2_5323:                             ;   in Loop: Header=BB2_5207 Depth=1
	s_wait_xcnt 0x0
	s_or_b32 exec_lo, exec_lo, s10
	v_mov_b32_e32 v10, v66
.LBB2_5324:                             ;   in Loop: Header=BB2_5207 Depth=1
	s_or_b32 exec_lo, exec_lo, s17
	s_and_saveexec_b32 s17, s16
	s_cbranch_execz .LBB2_5206
; %bb.5325:                             ;   in Loop: Header=BB2_5207 Depth=1
	s_delay_alu instid0(VALU_DEP_1) | instskip(SKIP_1) | instid1(VALU_DEP_1)
	v_dual_sub_nc_u32 v10, v64, v10 :: v_dual_bitop2_b32 v65, 8, v56 bitop3:0x40
	s_mov_b32 s16, exec_lo
	v_min_i32_e32 v64, v66, v10
	s_delay_alu instid0(VALU_DEP_2)
	v_cmpx_ne_u32_e32 0, v65
	s_cbranch_execz .LBB2_5347
; %bb.5326:                             ;   in Loop: Header=BB2_5207 Depth=1
	s_wait_loadcnt 0x0
	v_add_nc_u64_e32 v[68:69], 8, v[32:33]
	v_add_nc_u64_e32 v[66:67], 1, v[8:9]
	s_mov_b32 s18, exec_lo
	s_delay_alu instid0(VALU_DEP_1)
	v_cmpx_lt_u64_e64 v[68:69], v[66:67]
	s_cbranch_execz .LBB2_5338
; %bb.5327:                             ;   in Loop: Header=BB2_5207 Depth=1
	v_and_b32_e32 v9, 64, v56
	s_mov_b32 s19, 0
	s_mov_b32 s24, 0
                                        ; implicit-def: $sgpr21
                                        ; implicit-def: $sgpr22
                                        ; implicit-def: $sgpr23
	s_delay_alu instid0(VALU_DEP_1)
	v_cmp_eq_u32_e32 vcc_lo, 0, v9
	s_branch .LBB2_5331
.LBB2_5328:                             ;   in Loop: Header=BB2_5331 Depth=2
	s_wait_loadcnt_dscnt 0x0
	v_add_nc_u64_e32 v[68:69], 8, v[32:33]
	s_or_b32 s27, s27, exec_lo
	s_delay_alu instid0(VALU_DEP_1)
	v_cmp_ge_u64_e64 s10, v[68:69], v[66:67]
	s_or_not1_b32 s26, s10, exec_lo
.LBB2_5329:                             ;   in Loop: Header=BB2_5331 Depth=2
	s_or_b32 exec_lo, exec_lo, s29
	s_delay_alu instid0(SALU_CYCLE_1)
	s_and_not1_b32 s10, s23, exec_lo
	s_and_b32 s23, s27, exec_lo
	s_and_not1_b32 s22, s22, exec_lo
	s_and_b32 s26, s26, exec_lo
	s_or_b32 s23, s10, s23
	s_or_b32 s22, s22, s26
.LBB2_5330:                             ;   in Loop: Header=BB2_5331 Depth=2
	s_or_b32 exec_lo, exec_lo, s25
	s_delay_alu instid0(SALU_CYCLE_1) | instskip(NEXT) | instid1(SALU_CYCLE_1)
	s_and_b32 s10, exec_lo, s22
	s_or_b32 s19, s10, s19
	s_and_not1_b32 s10, s21, exec_lo
	s_and_b32 s21, s23, exec_lo
	s_delay_alu instid0(SALU_CYCLE_1)
	s_or_b32 s21, s10, s21
	s_and_not1_b32 exec_lo, exec_lo, s19
	s_cbranch_execz .LBB2_5335
.LBB2_5331:                             ;   Parent Loop BB2_5207 Depth=1
                                        ; =>  This Inner Loop Header: Depth=2
	s_sleep 1
	s_wait_loadcnt_dscnt 0x0
	flat_load_b64 v[32:33], v[22:23] scope:SCOPE_SYS
	s_or_b32 s23, s23, exec_lo
	s_or_b32 s22, s22, exec_lo
                                        ; implicit-def: $vgpr9
	s_wait_xcnt 0x0
	s_and_saveexec_b32 s25, vcc_lo
	s_cbranch_execz .LBB2_5330
; %bb.5332:                             ;   in Loop: Header=BB2_5331 Depth=2
	s_cmp_lt_i32 s24, 0x270f
	s_mov_b32 s26, -1
	s_cselect_b32 s28, -1, 0
	s_cmp_gt_i32 s24, 0x270e
	s_cbranch_scc0 .LBB2_5334
; %bb.5333:                             ;   in Loop: Header=BB2_5331 Depth=2
	s_trap 2
	ds_load_b64 v[68:69], v0
	s_and_not1_b32 s24, s28, exec_lo
	s_mov_b32 s27, 0
	s_wait_storecnt 0x0
	s_wait_loadcnt_dscnt 0x0
	flat_load_b32 v9, v[68:69] scope:SCOPE_SYS
	s_wait_loadcnt_dscnt 0x0
	global_inv scope:SCOPE_SYS
	v_cmp_eq_u32_e64 s10, 0, v9
	s_and_b32 s10, s10, exec_lo
	s_delay_alu instid0(SALU_CYCLE_1)
	s_or_b32 s28, s24, s10
	s_mov_b32 s24, 0
	s_and_saveexec_b32 s29, s28
	s_cbranch_execz .LBB2_5329
	s_branch .LBB2_5328
.LBB2_5334:                             ;   in Loop: Header=BB2_5331 Depth=2
	s_add_co_i32 s24, s24, 1
	s_mov_b32 s27, -1
                                        ; implicit-def: $vgpr9
	s_and_saveexec_b32 s29, s28
	s_cbranch_execz .LBB2_5329
	s_branch .LBB2_5328
.LBB2_5335:                             ;   in Loop: Header=BB2_5207 Depth=1
	s_or_b32 exec_lo, exec_lo, s19
	s_xor_b32 s10, s21, -1
	s_delay_alu instid0(SALU_CYCLE_1) | instskip(NEXT) | instid1(SALU_CYCLE_1)
	s_and_saveexec_b32 s19, s10
	s_xor_b32 s10, exec_lo, s19
	s_cbranch_execz .LBB2_5337
; %bb.5336:                             ;   in Loop: Header=BB2_5207 Depth=1
	v_or_b32_e32 v56, 64, v56
	s_wait_storecnt 0x0
	s_wait_loadcnt_dscnt 0x0
	ds_store_b32 v0, v9
	s_trap 2
.LBB2_5337:                             ;   in Loop: Header=BB2_5207 Depth=1
	s_or_b32 exec_lo, exec_lo, s10
.LBB2_5338:                             ;   in Loop: Header=BB2_5207 Depth=1
	s_delay_alu instid0(SALU_CYCLE_1) | instskip(SKIP_4) | instid1(VALU_DEP_2)
	s_or_b32 exec_lo, exec_lo, s18
	v_and_b32_e32 v9, 0x100, v56
	v_and_b32_e32 v10, 7, v8
	s_mov_b32 s10, -1
	;;#ASMSTART
	s_wakeup
	;;#ASMEND
	v_cmp_ne_u32_e32 vcc_lo, 0, v9
                                        ; implicit-def: $vgpr8_vgpr9
	s_and_saveexec_b32 s18, vcc_lo
	s_cbranch_execz .LBB2_5342
; %bb.5339:                             ;   in Loop: Header=BB2_5207 Depth=1
	v_mad_nc_u64_u32 v[68:69], v10, 24, v[6:7]
	v_ashrrev_i32_e32 v65, 31, v64
	s_clause 0x1
	flat_load_b32 v8, v[68:69]
	flat_store_b64 v[68:69], v[64:65] offset:8
	s_wait_loadcnt_dscnt 0x1
	v_cmp_eq_u32_e64 s10, 1, v8
	v_cmp_ne_u32_e32 vcc_lo, 1, v8
                                        ; implicit-def: $vgpr8_vgpr9
	s_wait_xcnt 0x0
	s_and_saveexec_b32 s19, s10
	s_cbranch_execz .LBB2_5341
; %bb.5340:                             ;   in Loop: Header=BB2_5207 Depth=1
	flat_load_b32 v8, v[68:69] offset:4 scope:SCOPE_SYS
	s_wait_loadcnt_dscnt 0x0
	v_ashrrev_i32_e32 v9, 31, v8
.LBB2_5341:                             ;   in Loop: Header=BB2_5207 Depth=1
	s_wait_xcnt 0x0
	s_or_b32 exec_lo, exec_lo, s19
	s_delay_alu instid0(SALU_CYCLE_1)
	s_or_not1_b32 s10, vcc_lo, exec_lo
.LBB2_5342:                             ;   in Loop: Header=BB2_5207 Depth=1
	s_or_b32 exec_lo, exec_lo, s18
	s_and_saveexec_b32 s18, s10
; %bb.5343:                             ;   in Loop: Header=BB2_5207 Depth=1
	v_mul_u64_e32 v[8:9], v[10:11], v[24:25]
; %bb.5344:                             ;   in Loop: Header=BB2_5207 Depth=1
	s_or_b32 exec_lo, exec_lo, s18
	s_delay_alu instid0(VALU_DEP_1)
	v_add_nc_u64_e32 v[8:9], v[26:27], v[8:9]
	v_and_b32_e32 v10, 0x2000, v56
	s_mov_b32 s10, exec_lo
	ds_store_b64 v0, v[8:9] offset:784
	v_cmpx_ne_u32_e32 0, v10
	s_cbranch_execz .LBB2_5346
; %bb.5345:                             ;   in Loop: Header=BB2_5207 Depth=1
	ds_load_b64 v[8:9], v0 offset:872
	s_wait_dscnt 0x0
	v_add_nc_u64_e32 v[8:9], 1, v[8:9]
	ds_store_b64 v0, v[8:9] offset:872
.LBB2_5346:                             ;   in Loop: Header=BB2_5207 Depth=1
	s_or_b32 exec_lo, exec_lo, s10
	v_mov_b64_e32 v[8:9], v[66:67]
.LBB2_5347:                             ;   in Loop: Header=BB2_5207 Depth=1
	s_or_b32 exec_lo, exec_lo, s16
	s_and_saveexec_b32 s10, s2
	s_cbranch_execz .LBB2_5366
; %bb.5348:                             ;   in Loop: Header=BB2_5207 Depth=1
	s_and_saveexec_b32 s16, s3
	s_delay_alu instid0(SALU_CYCLE_1)
	s_xor_b32 s16, exec_lo, s16
	s_cbranch_execz .LBB2_5363
; %bb.5349:                             ;   in Loop: Header=BB2_5207 Depth=1
	s_and_saveexec_b32 s18, s4
	s_cbranch_execz .LBB2_5362
; %bb.5350:                             ;   in Loop: Header=BB2_5207 Depth=1
	s_mov_b32 s21, exec_lo
	s_mov_b32 s19, exec_lo
	v_mbcnt_lo_u32_b32 v10, s21, 0
	global_wb scope:SCOPE_DEV
	s_wait_storecnt 0x0
	s_wait_loadcnt_dscnt 0x0
	global_inv scope:SCOPE_DEV
	v_cmpx_eq_u32_e32 0, v10
	s_cbranch_execz .LBB2_5352
; %bb.5351:                             ;   in Loop: Header=BB2_5207 Depth=1
	s_bcnt1_i32_b32 s21, s21
	s_delay_alu instid0(SALU_CYCLE_1)
	v_mov_b32_e32 v10, s21
	s_wait_loadcnt 0x0
	ds_add_u64 v0, v[10:11]
	s_trap 2
.LBB2_5352:                             ;   in Loop: Header=BB2_5207 Depth=1
	s_or_b32 exec_lo, exec_lo, s19
	s_trap 2
	ds_load_b64 v[66:67], v0
	s_wait_dscnt 0x0
	v_add_nc_u64_e32 v[28:29], v[28:29], v[12:13]
	s_mov_b32 s19, exec_lo
	s_delay_alu instid0(VALU_DEP_1)
	v_cmpx_lt_u64_e64 v[66:67], v[28:29]
	s_cbranch_execz .LBB2_5361
; %bb.5353:                             ;   in Loop: Header=BB2_5207 Depth=1
	s_mov_b32 s21, 0
	s_mov_b32 s24, 0
                                        ; implicit-def: $sgpr22
                                        ; implicit-def: $sgpr23
	s_branch .LBB2_5355
.LBB2_5354:                             ;   in Loop: Header=BB2_5355 Depth=2
	s_or_b32 exec_lo, exec_lo, s26
	s_delay_alu instid0(SALU_CYCLE_1) | instskip(NEXT) | instid1(SALU_CYCLE_1)
	s_and_b32 s25, exec_lo, s27
	s_or_b32 s21, s25, s21
	s_and_not1_b32 s22, s22, exec_lo
	s_and_b32 s25, s23, exec_lo
	s_delay_alu instid0(SALU_CYCLE_1)
	s_or_b32 s22, s22, s25
	s_and_not1_b32 exec_lo, exec_lo, s21
	s_cbranch_execz .LBB2_5359
.LBB2_5355:                             ;   Parent Loop BB2_5207 Depth=1
                                        ; =>  This Inner Loop Header: Depth=2
	s_add_co_i32 s24, s24, 1
	s_delay_alu instid0(SALU_CYCLE_1) | instskip(SKIP_1) | instid1(SALU_CYCLE_1)
	s_cmp_lg_u32 s24, 0x2710
	s_cselect_b32 s25, -1, 0
	s_and_b32 vcc_lo, exec_lo, s25
	s_cbranch_vccz .LBB2_5357
; %bb.5356:                             ;   in Loop: Header=BB2_5355 Depth=2
	s_mov_b32 s27, -1
	s_or_b32 s23, s23, exec_lo
	s_and_saveexec_b32 s26, s25
	s_cbranch_execz .LBB2_5354
	s_branch .LBB2_5358
.LBB2_5357:                             ;   in Loop: Header=BB2_5355 Depth=2
	s_trap 2
	ds_load_b64 v[66:67], v0
	s_and_not1_b32 s25, s25, exec_lo
	s_mov_b32 s24, 0
	s_wait_loadcnt_dscnt 0x0
	flat_load_b32 v10, v[66:67] scope:SCOPE_SYS
	s_wait_loadcnt_dscnt 0x0
	global_inv scope:SCOPE_SYS
	v_cmp_eq_u32_e32 vcc_lo, 0, v10
	s_and_b32 s26, vcc_lo, exec_lo
	s_delay_alu instid0(SALU_CYCLE_1)
	s_or_b32 s25, s25, s26
	s_mov_b32 s27, -1
	s_or_b32 s23, s23, exec_lo
	s_and_saveexec_b32 s26, s25
	s_cbranch_execz .LBB2_5354
.LBB2_5358:                             ;   in Loop: Header=BB2_5355 Depth=2
	s_sleep 1
	s_trap 2
	ds_load_b64 v[66:67], v0
	s_wait_dscnt 0x0
	s_and_not1_b32 s23, s23, exec_lo
	v_cmp_ge_u64_e32 vcc_lo, v[66:67], v[28:29]
	s_or_not1_b32 s27, vcc_lo, exec_lo
	s_branch .LBB2_5354
.LBB2_5359:                             ;   in Loop: Header=BB2_5207 Depth=1
	s_or_b32 exec_lo, exec_lo, s21
	s_and_saveexec_b32 s21, s22
	s_delay_alu instid0(SALU_CYCLE_1)
	s_xor_b32 s21, exec_lo, s21
	s_cbranch_execz .LBB2_5361
; %bb.5360:                             ;   in Loop: Header=BB2_5207 Depth=1
	ds_store_b32 v0, v84
	s_trap 2
.LBB2_5361:                             ;   in Loop: Header=BB2_5207 Depth=1
	s_or_b32 exec_lo, exec_lo, s19
	;;#ASMSTART
	s_wakeup
	;;#ASMEND
.LBB2_5362:                             ;   in Loop: Header=BB2_5207 Depth=1
	s_or_b32 exec_lo, exec_lo, s18
.LBB2_5363:                             ;   in Loop: Header=BB2_5207 Depth=1
	s_and_not1_saveexec_b32 s16, s16
	s_cbranch_execz .LBB2_5365
; %bb.5364:                             ;   in Loop: Header=BB2_5207 Depth=1
	global_wb scope:SCOPE_DEV
	s_wait_storecnt 0x0
	s_wait_loadcnt_dscnt 0x0
	global_inv scope:SCOPE_DEV
	s_barrier_signal -1
	s_barrier_wait -1
.LBB2_5365:                             ;   in Loop: Header=BB2_5207 Depth=1
	s_or_b32 exec_lo, exec_lo, s16
.LBB2_5366:                             ;   in Loop: Header=BB2_5207 Depth=1
	s_delay_alu instid0(SALU_CYCLE_1)
	s_or_b32 exec_lo, exec_lo, s10
	s_trap 2
	ds_load_b32 v10, v0
	v_cmp_lt_i32_e32 vcc_lo, 0, v64
	s_wait_dscnt 0x0
	v_readfirstlane_b32 s10, v10
	v_and_b32_e32 v10, 16, v56
	s_cmp_eq_u32 s10, 0
	s_delay_alu instid0(VALU_DEP_1) | instskip(SKIP_1) | instid1(SALU_CYCLE_1)
	v_cmp_ne_u32_e64 s10, 0, v10
	s_cselect_b32 s16, -1, 0
	s_and_b32 s16, vcc_lo, s16
	s_delay_alu instid0(SALU_CYCLE_1) | instskip(NEXT) | instid1(SALU_CYCLE_1)
	s_and_b32 s16, s10, s16
	s_and_saveexec_b32 s10, s16
	s_cbranch_execz .LBB2_5368
; %bb.5367:                             ;   in Loop: Header=BB2_5207 Depth=1
	global_wb scope:SCOPE_SYS
	s_wait_loadcnt 0x0
	s_wait_storecnt 0x0
	global_inv scope:SCOPE_SYS
.LBB2_5368:                             ;   in Loop: Header=BB2_5207 Depth=1
	s_or_b32 exec_lo, exec_lo, s10
	s_delay_alu instid0(SALU_CYCLE_1)
	s_mov_b32 s10, exec_lo
	v_cmpx_ne_u32_e32 0, v10
	s_cbranch_execz .LBB2_5205
; %bb.5369:                             ;   in Loop: Header=BB2_5207 Depth=1
	s_and_saveexec_b32 s16, s7
	s_cbranch_execz .LBB2_5204
; %bb.5370:                             ;   in Loop: Header=BB2_5207 Depth=1
	global_wb scope:SCOPE_SYS
	s_wait_loadcnt 0x0
	s_wait_storecnt 0x0
	flat_store_b32 v[36:37], v84 scope:SCOPE_SYS
	s_branch .LBB2_5204
.LBB2_5371:
	s_or_b32 exec_lo, exec_lo, s13
.LBB2_5372:
	s_delay_alu instid0(SALU_CYCLE_1)
	s_or_b32 exec_lo, exec_lo, s12
.LBB2_5373:
	s_delay_alu instid0(SALU_CYCLE_1) | instskip(SKIP_2) | instid1(VALU_DEP_1)
	s_or_b32 exec_lo, exec_lo, s11
	v_and_b32_e32 v0, 0x800, v56
	s_mov_b32 s1, exec_lo
	v_cmpx_eq_u32_e32 0, v0
	s_cbranch_execz .LBB2_5406
; %bb.5374:
	v_and_b32_e32 v0, 48, v56
	s_mov_b32 s0, exec_lo
	s_delay_alu instid0(VALU_DEP_1)
	v_cmpx_ne_u32_e32 0, v0
	s_cbranch_execz .LBB2_5376
; %bb.5375:
	s_wait_dscnt 0x0
	flat_store_b64 v[20:21], v[8:9] offset:104
.LBB2_5376:
	s_wait_xcnt 0x0
	s_or_b32 exec_lo, exec_lo, s0
	v_and_b32_e32 v0, 0x88, v56
	s_mov_b32 s2, exec_lo
	s_delay_alu instid0(VALU_DEP_1)
	v_cmpx_eq_u32_e32 0x88, v0
	s_cbranch_execz .LBB2_5386
; %bb.5377:
	s_wait_dscnt 0x0
	v_add_nc_u32_e32 v0, -1, v8
	s_mov_b32 s3, 0
	s_delay_alu instid0(VALU_DEP_1) | instskip(NEXT) | instid1(VALU_DEP_1)
	v_and_b32_e32 v0, 7, v0
	v_mad_nc_u64_u32 v[4:5], v0, 24, v[6:7]
	v_and_b32_e32 v0, 64, v56
	s_delay_alu instid0(VALU_DEP_1)
	v_cmp_eq_u32_e64 s0, 0, v0
	flat_load_b64 v[6:7], v[4:5] offset:8 scope:SCOPE_SYS
	s_wait_loadcnt_dscnt 0x0
	v_cmp_ne_u64_e32 vcc_lo, -1, v[6:7]
	s_and_b32 s0, vcc_lo, s0
	s_wait_xcnt 0x0
	s_and_b32 exec_lo, exec_lo, s0
	s_cbranch_execz .LBB2_5386
; %bb.5378:
	s_mov_b32 s5, 0
                                        ; implicit-def: $sgpr0
                                        ; implicit-def: $sgpr4
	s_branch .LBB2_5381
.LBB2_5379:                             ;   in Loop: Header=BB2_5381 Depth=1
	flat_load_b64 v[6:7], v[4:5] offset:8 scope:SCOPE_SYS
	s_wait_loadcnt 0x0
	s_and_not1_b32 s4, s4, exec_lo
	s_wait_dscnt 0x0
	v_cmp_eq_u64_e32 vcc_lo, -1, v[6:7]
	s_or_not1_b32 s7, vcc_lo, exec_lo
.LBB2_5380:                             ;   in Loop: Header=BB2_5381 Depth=1
	s_wait_xcnt 0x0
	s_or_b32 exec_lo, exec_lo, s10
	s_delay_alu instid0(SALU_CYCLE_1) | instskip(NEXT) | instid1(SALU_CYCLE_1)
	s_and_b32 s6, exec_lo, s7
	s_or_b32 s3, s6, s3
	s_and_not1_b32 s0, s0, exec_lo
	s_and_b32 s6, s4, exec_lo
	s_delay_alu instid0(SALU_CYCLE_1)
	s_or_b32 s0, s0, s6
	s_and_not1_b32 exec_lo, exec_lo, s3
	s_cbranch_execz .LBB2_5384
.LBB2_5381:                             ; =>This Inner Loop Header: Depth=1
	s_cmp_lt_i32 s5, 0x270f
	s_cselect_b32 s6, -1, 0
	s_delay_alu instid0(SALU_CYCLE_1)
	s_and_b32 vcc_lo, exec_lo, s6
	s_cbranch_vccnz .LBB2_5383
; %bb.5382:                             ;   in Loop: Header=BB2_5381 Depth=1
	s_trap 2
	ds_load_b64 v[6:7], v0
	s_and_not1_b32 s6, s6, exec_lo
	s_mov_b32 s5, 0
	s_wait_storecnt_dscnt 0x0
	flat_load_b32 v0, v[6:7] scope:SCOPE_SYS
	s_wait_loadcnt_dscnt 0x0
	global_inv scope:SCOPE_SYS
	v_cmp_eq_u32_e32 vcc_lo, 0, v0
	s_and_b32 s7, vcc_lo, exec_lo
	s_delay_alu instid0(SALU_CYCLE_1)
	s_or_b32 s6, s6, s7
	s_mov_b32 s7, -1
	s_or_b32 s4, s4, exec_lo
	s_wait_xcnt 0x0
	s_and_saveexec_b32 s10, s6
	s_cbranch_execz .LBB2_5380
	s_branch .LBB2_5379
.LBB2_5383:                             ;   in Loop: Header=BB2_5381 Depth=1
	s_add_co_i32 s5, s5, 1
                                        ; implicit-def: $vgpr0
	s_mov_b32 s7, -1
	s_or_b32 s4, s4, exec_lo
	s_and_saveexec_b32 s10, s6
	s_cbranch_execz .LBB2_5380
	s_branch .LBB2_5379
.LBB2_5384:
	s_or_b32 exec_lo, exec_lo, s3
	s_and_saveexec_b32 s3, s0
	s_delay_alu instid0(SALU_CYCLE_1)
	s_xor_b32 s3, exec_lo, s3
	s_cbranch_execz .LBB2_5386
; %bb.5385:
	s_wait_loadcnt 0x0
	s_wait_storecnt 0x0
	ds_store_b32 v0, v0
	s_trap 2
.LBB2_5386:
	s_or_b32 exec_lo, exec_lo, s2
	v_and_b32_e32 v0, 0x2000, v56
	s_mov_b32 s0, exec_lo
	s_delay_alu instid0(VALU_DEP_1)
	v_cmpx_ne_u32_e32 0, v0
	s_cbranch_execz .LBB2_5388
; %bb.5387:
	s_trap 2
	ds_load_b64 v[4:5], v0
	s_wait_dscnt 0x0
	flat_store_b64 v[2:3], v[4:5] offset:16
.LBB2_5388:
	s_wait_xcnt 0x0
	s_or_b32 exec_lo, exec_lo, s0
	v_cmp_ne_u32_e32 vcc_lo, 32, v1
	s_and_b32 exec_lo, exec_lo, vcc_lo
	s_cbranch_execz .LBB2_5406
; %bb.5389:
	s_mov_b32 s0, exec_lo
	v_cmpx_ne_u32_e64 v1, v57
	s_xor_b32 s0, exec_lo, s0
	s_cbranch_execz .LBB2_5404
; %bb.5390:
	v_and_b32_e32 v0, 31, v31
	s_mov_b32 s2, exec_lo
	s_delay_alu instid0(VALU_DEP_1)
	v_cmpx_eq_u32_e32 0, v0
	s_cbranch_execz .LBB2_5403
; %bb.5391:
	s_mov_b32 s4, exec_lo
	s_mov_b32 s3, exec_lo
	v_mbcnt_lo_u32_b32 v0, s4, 0
	global_wb scope:SCOPE_DEV
	s_wait_storecnt 0x0
	s_wait_loadcnt_dscnt 0x0
	global_inv scope:SCOPE_DEV
	v_cmpx_eq_u32_e32 0, v0
	s_cbranch_execz .LBB2_5393
; %bb.5392:
	s_bcnt1_i32_b32 s4, s4
	s_delay_alu instid0(SALU_CYCLE_1)
	v_dual_mov_b32 v3, 0 :: v_dual_mov_b32 v2, s4
	s_wait_loadcnt 0x0
	ds_add_u64 v0, v[2:3]
	s_trap 2
.LBB2_5393:
	s_or_b32 exec_lo, exec_lo, s3
	s_trap 2
	ds_load_b64 v[2:3], v0
	s_wait_dscnt 0x0
	v_dual_mov_b32 v1, 0 :: v_dual_lshrrev_b32 v0, 5, v1
	s_mov_b32 s3, exec_lo
	s_delay_alu instid0(VALU_DEP_1) | instskip(NEXT) | instid1(VALU_DEP_1)
	v_add_nc_u64_e32 v[0:1], v[28:29], v[0:1]
	v_cmpx_lt_u64_e64 v[2:3], v[0:1]
	s_cbranch_execz .LBB2_5402
; %bb.5394:
	s_mov_b32 s4, 0
	s_mov_b32 s7, 0
                                        ; implicit-def: $sgpr5
                                        ; implicit-def: $sgpr6
	s_branch .LBB2_5396
.LBB2_5395:                             ;   in Loop: Header=BB2_5396 Depth=1
	s_or_b32 exec_lo, exec_lo, s11
	s_delay_alu instid0(SALU_CYCLE_1) | instskip(NEXT) | instid1(SALU_CYCLE_1)
	s_and_b32 s10, exec_lo, s12
	s_or_b32 s4, s10, s4
	s_and_not1_b32 s5, s5, exec_lo
	s_and_b32 s10, s6, exec_lo
	s_delay_alu instid0(SALU_CYCLE_1)
	s_or_b32 s5, s5, s10
	s_and_not1_b32 exec_lo, exec_lo, s4
	s_cbranch_execz .LBB2_5400
.LBB2_5396:                             ; =>This Inner Loop Header: Depth=1
	s_add_co_i32 s7, s7, 1
	s_delay_alu instid0(SALU_CYCLE_1) | instskip(SKIP_1) | instid1(SALU_CYCLE_1)
	s_cmp_lg_u32 s7, 0x2710
	s_cselect_b32 s10, -1, 0
	s_and_b32 vcc_lo, exec_lo, s10
	s_cbranch_vccz .LBB2_5398
; %bb.5397:                             ;   in Loop: Header=BB2_5396 Depth=1
	s_mov_b32 s12, -1
	s_or_b32 s6, s6, exec_lo
	s_and_saveexec_b32 s11, s10
	s_cbranch_execz .LBB2_5395
	s_branch .LBB2_5399
.LBB2_5398:                             ;   in Loop: Header=BB2_5396 Depth=1
	s_trap 2
	ds_load_b64 v[2:3], v0
	s_and_not1_b32 s10, s10, exec_lo
	s_mov_b32 s7, 0
	s_wait_loadcnt_dscnt 0x0
	flat_load_b32 v2, v[2:3] scope:SCOPE_SYS
	s_wait_loadcnt_dscnt 0x0
	global_inv scope:SCOPE_SYS
	v_cmp_eq_u32_e32 vcc_lo, 0, v2
	s_and_b32 s11, vcc_lo, exec_lo
	s_delay_alu instid0(SALU_CYCLE_1)
	s_or_b32 s10, s10, s11
	s_mov_b32 s12, -1
	s_or_b32 s6, s6, exec_lo
	s_and_saveexec_b32 s11, s10
	s_cbranch_execz .LBB2_5395
.LBB2_5399:                             ;   in Loop: Header=BB2_5396 Depth=1
	s_sleep 1
	s_trap 2
	ds_load_b64 v[2:3], v0
	s_wait_dscnt 0x0
	s_and_not1_b32 s6, s6, exec_lo
	v_cmp_ge_u64_e32 vcc_lo, v[2:3], v[0:1]
	s_or_not1_b32 s12, vcc_lo, exec_lo
	s_branch .LBB2_5395
.LBB2_5400:
	s_or_b32 exec_lo, exec_lo, s4
	s_and_saveexec_b32 s4, s5
	s_delay_alu instid0(SALU_CYCLE_1)
	s_xor_b32 s4, exec_lo, s4
	s_cbranch_execz .LBB2_5402
; %bb.5401:
	v_mov_b32_e32 v0, 1
	ds_store_b32 v0, v0
	s_trap 2
.LBB2_5402:
	s_or_b32 exec_lo, exec_lo, s3
	;;#ASMSTART
	s_wakeup
	;;#ASMEND
.LBB2_5403:
	s_or_b32 exec_lo, exec_lo, s2
.LBB2_5404:
	s_and_not1_saveexec_b32 s0, s0
	s_cbranch_execz .LBB2_5406
; %bb.5405:
	global_wb scope:SCOPE_DEV
	s_wait_storecnt 0x0
	s_wait_loadcnt_dscnt 0x0
	global_inv scope:SCOPE_DEV
	s_barrier_signal -1
	s_barrier_wait -1
.LBB2_5406:
	s_or_b32 exec_lo, exec_lo, s1
.LBB2_5407:
	s_and_not1_saveexec_b32 s21, s20
	s_cbranch_execz .LBB2_5409
; %bb.5408:
	s_get_pc_i64 s[0:1]
	s_add_nc_u64 s[0:1], s[0:1], __PRETTY_FUNCTION__._ZN10PrimitivesI14__hip_fp8_e5m210FuncMinMaxIS0_E12FanSymmetricILi1EELi0E11ProtoSimpleILi1ELi1ELi0ELi1ELi0ELi0EELi0ELb0ELi0ELi0ELi0EEC2EiiPKiS9_PKvPvmhhhP15ncclDevWorkCollP14ncclDevWorkP2pii@rel64+4
	s_get_pc_i64 s[2:3]
	s_add_nc_u64 s[2:3], s[2:3], __assert_fail@rel64+4
	v_dual_mov_b32 v0, s0 :: v_dual_mov_b32 v1, s1
	s_swap_pc_i64 s[30:31], s[2:3]
	; divergent unreachable
.LBB2_5409:
	s_or_b32 exec_lo, exec_lo, s21
	s_clause 0x15
	scratch_load_b32 v77, off, s33
	scratch_load_b32 v76, off, s33 offset:4
	scratch_load_b32 v75, off, s33 offset:8
	;; [unrolled: 1-line block ×21, first 2 shown]
	v_readlane_b32 s30, v78, 0
	v_readlane_b32 s31, v78, 1
	s_mov_b32 s32, s33
	s_wait_xcnt 0x0
	s_or_saveexec_b32 s0, -1
	scratch_load_b32 v78, off, s33 offset:88 ; 4-byte Folded Reload
	s_wait_xcnt 0x0
	s_mov_b32 exec_lo, s0
	s_mov_b32 s33, s57
	s_wait_loadcnt_dscnt 0x0
	s_set_pc_i64 s[30:31]
.Lfunc_end2:
	.size	_ZN12_GLOBAL__N_17runRingI14__hip_fp8_e5m210FuncMinMaxIS1_E11ProtoSimpleILi1ELi1ELi0ELi1ELi0ELi0EELi0ELi1ELi0EEEviiP15ncclDevWorkColl, .Lfunc_end2-_ZN12_GLOBAL__N_17runRingI14__hip_fp8_e5m210FuncMinMaxIS1_E11ProtoSimpleILi1ELi1ELi0ELi1ELi0ELi0EELi0ELi1ELi0EEEviiP15ncclDevWorkColl
                                        ; -- End function
	.set .L_ZN12_GLOBAL__N_17runRingI14__hip_fp8_e5m210FuncMinMaxIS1_E11ProtoSimpleILi1ELi1ELi0ELi1ELi0ELi0EELi0ELi1ELi0EEEviiP15ncclDevWorkColl.num_vgpr, max(120, .L__assert_fail.num_vgpr)
	.set .L_ZN12_GLOBAL__N_17runRingI14__hip_fp8_e5m210FuncMinMaxIS1_E11ProtoSimpleILi1ELi1ELi0ELi1ELi0ELi0EELi0ELi1ELi0EEEviiP15ncclDevWorkColl.num_agpr, max(0, .L__assert_fail.num_agpr)
	.set .L_ZN12_GLOBAL__N_17runRingI14__hip_fp8_e5m210FuncMinMaxIS1_E11ProtoSimpleILi1ELi1ELi0ELi1ELi0ELi0EELi0ELi1ELi0EEEviiP15ncclDevWorkColl.numbered_sgpr, max(58, .L__assert_fail.numbered_sgpr)
	.set .L_ZN12_GLOBAL__N_17runRingI14__hip_fp8_e5m210FuncMinMaxIS1_E11ProtoSimpleILi1ELi1ELi0ELi1ELi0ELi0EELi0ELi1ELi0EEEviiP15ncclDevWorkColl.num_named_barrier, max(0, .L__assert_fail.num_named_barrier)
	.set .L_ZN12_GLOBAL__N_17runRingI14__hip_fp8_e5m210FuncMinMaxIS1_E11ProtoSimpleILi1ELi1ELi0ELi1ELi0ELi0EELi0ELi1ELi0EEEviiP15ncclDevWorkColl.private_seg_size, 96+max(.L__assert_fail.private_seg_size)
	.set .L_ZN12_GLOBAL__N_17runRingI14__hip_fp8_e5m210FuncMinMaxIS1_E11ProtoSimpleILi1ELi1ELi0ELi1ELi0ELi0EELi0ELi1ELi0EEEviiP15ncclDevWorkColl.uses_vcc, or(1, .L__assert_fail.uses_vcc)
	.set .L_ZN12_GLOBAL__N_17runRingI14__hip_fp8_e5m210FuncMinMaxIS1_E11ProtoSimpleILi1ELi1ELi0ELi1ELi0ELi0EELi0ELi1ELi0EEEviiP15ncclDevWorkColl.uses_flat_scratch, or(1, .L__assert_fail.uses_flat_scratch)
	.set .L_ZN12_GLOBAL__N_17runRingI14__hip_fp8_e5m210FuncMinMaxIS1_E11ProtoSimpleILi1ELi1ELi0ELi1ELi0ELi0EELi0ELi1ELi0EEEviiP15ncclDevWorkColl.has_dyn_sized_stack, or(0, .L__assert_fail.has_dyn_sized_stack)
	.set .L_ZN12_GLOBAL__N_17runRingI14__hip_fp8_e5m210FuncMinMaxIS1_E11ProtoSimpleILi1ELi1ELi0ELi1ELi0ELi0EELi0ELi1ELi0EEEviiP15ncclDevWorkColl.has_recursion, or(1, .L__assert_fail.has_recursion)
	.set .L_ZN12_GLOBAL__N_17runRingI14__hip_fp8_e5m210FuncMinMaxIS1_E11ProtoSimpleILi1ELi1ELi0ELi1ELi0ELi0EELi0ELi1ELi0EEEviiP15ncclDevWorkColl.has_indirect_call, or(0, .L__assert_fail.has_indirect_call)
	.section	.AMDGPU.csdata,"",@progbits
; Function info:
; codeLenInByte = 151076
; TotalNumSgprs: 60
; NumVgprs: 120
; ScratchSize: 160
; MemoryBound: 1
	.text
	.p2align	2                               ; -- Begin function _Z50ncclDevFunc_Reduce_RING_SIMPLE_MinMax_f8e5m2_0_0_1v
	.type	_Z50ncclDevFunc_Reduce_RING_SIMPLE_MinMax_f8e5m2_0_0_1v,@function
_Z50ncclDevFunc_Reduce_RING_SIMPLE_MinMax_f8e5m2_0_0_1v: ; @_Z50ncclDevFunc_Reduce_RING_SIMPLE_MinMax_f8e5m2_0_0_1v
; %bb.0:
	s_wait_loadcnt_dscnt 0x0
	s_wait_kmcnt 0x0
	s_mov_b32 s73, s33
	s_mov_b32 s33, s32
	s_or_saveexec_b32 s0, -1
	scratch_store_b32 off, v42, s33 offset:12 ; 4-byte Folded Spill
	s_wait_xcnt 0x0
	s_mov_b32 exec_lo, s0
	s_add_co_i32 s32, s32, 32
	s_clause 0x2
	scratch_store_b32 off, v40, s33 offset:8
	; meta instruction
	scratch_store_b32 off, v41, s33 offset:4
	; meta instruction
	scratch_store_b32 off, v78, s33
	v_writelane_b32 v42, s30, 0
	v_writelane_b32 v42, s31, 1
	s_trap 2
	ds_load_b32 v0, v0
	s_wait_xcnt 0x2
	v_mov_b32_e32 v40, v31
	s_mov_b32 s60, s12
	s_mov_b64 s[58:59], s[8:9]
	s_mov_b32 s2, exec_lo
	s_wait_xcnt 0x1
	v_and_b32_e32 v41, 0x3ff, v40
	s_wait_dscnt 0x0
	s_wait_xcnt 0x0
	s_delay_alu instid0(VALU_DEP_1)
	v_cmpx_lt_i32_e64 v41, v0
	s_cbranch_execz .LBB3_5
; %bb.1:
	s_load_b32 s0, s[58:59], 0x0
	s_bfe_u32 s1, ttmp6, 0x4000c
	s_and_b32 s3, ttmp6, 15
	s_add_co_i32 s1, s1, 1
	s_getreg_b32 s4, hwreg(HW_REG_IB_STS2, 6, 4)
	s_mul_i32 s1, ttmp9, s1
	v_mov_b32_e32 v2, v41
	s_add_co_i32 s3, s3, s1
	s_cmp_eq_u32 s4, 0
                                        ; implicit-def: $vgpr3
	s_cselect_b32 s1, ttmp9, s3
	s_mov_b32 s3, 0
	s_wait_kmcnt 0x0
	s_cmp_lt_u32 s1, s0
	s_mov_b32 s1, 0
	s_cselect_b32 s0, 12, 18
	s_delay_alu instid0(SALU_CYCLE_1)
	s_add_nc_u64 s[4:5], s[58:59], s[0:1]
	s_load_u16 s0, s[4:5], 0x0
	s_trap 2
	ds_load_b32 v1, v0
	s_wait_dscnt 0x0
	s_wait_kmcnt 0x0
	v_mul_lo_u32 v1, v1, s0
	s_branch .LBB3_3
.LBB3_2:                                ;   in Loop: Header=BB3_3 Depth=1
	s_or_b32 exec_lo, exec_lo, s4
	v_dual_add_nc_u32 v2, s0, v2 :: v_dual_add_nc_u32 v3, v3, v1
	s_delay_alu instid0(VALU_DEP_1) | instskip(SKIP_1) | instid1(SALU_CYCLE_1)
	v_cmp_ge_i32_e32 vcc_lo, v2, v0
	s_or_b32 s3, vcc_lo, s3
	s_and_not1_b32 exec_lo, exec_lo, s3
	s_cbranch_execz .LBB3_5
.LBB3_3:                                ; =>This Inner Loop Header: Depth=1
	ds_load_b32 v4, v3
	s_mov_b32 s4, exec_lo
	s_wait_dscnt 0x0
	v_and_b32_e32 v4, 0x1000000, v4
	s_delay_alu instid0(VALU_DEP_1)
	v_cmpx_ne_u32_e32 0, v4
	s_cbranch_execz .LBB3_2
; %bb.4:                                ;   in Loop: Header=BB3_3 Depth=1
	ds_load_b64 v[4:5], v3 offset:104
	s_wait_dscnt 0x0
	flat_load_u8 v4, v[4:5]
	s_wait_xcnt 0x0
	v_mov_b32_e32 v5, s1
	s_wait_loadcnt_dscnt 0x0
	v_and_b32_e32 v4, 0xffff, v4
	ds_store_b64 v3, v[4:5] offset:104
	s_branch .LBB3_2
.LBB3_5:
	s_or_b32 exec_lo, exec_lo, s2
	s_wait_storecnt_dscnt 0x0
	s_barrier_signal -1
	s_barrier_wait -1
	s_trap 2
	ds_load_b32 v0, v0
	s_wait_dscnt 0x0
	v_cmp_gt_i32_e32 vcc_lo, 1, v0
	s_cbranch_vccnz .LBB3_13
; %bb.6:
	s_mov_b32 s61, 0
	s_get_pc_i64 s[62:63]
	s_add_nc_u64 s[62:63], s[62:63], _ZN12_GLOBAL__N_17runRingI14__hip_fp8_e5m210FuncMinMaxIS1_E11ProtoSimpleILi1ELi1ELi0ELi1ELi0ELi0EELi0ELi1ELi0EEEviiP15ncclDevWorkColl@rel64+4
	s_branch .LBB3_8
.LBB3_7:                                ;   in Loop: Header=BB3_8 Depth=1
	s_or_b32 exec_lo, exec_lo, s72
	s_trap 2
	ds_load_b32 v0, v0
	s_add_co_i32 s61, s61, 1
	s_wait_dscnt 0x0
	v_cmp_lt_i32_e32 vcc_lo, s61, v0
	s_cbranch_vccz .LBB3_13
.LBB3_8:                                ; =>This Inner Loop Header: Depth=1
	s_trap 2
	ds_load_b32 v0, v0
	s_cmp_eq_u32 s61, 0
	s_cbranch_scc1 .LBB3_11
; %bb.9:                                ;   in Loop: Header=BB3_8 Depth=1
	s_trap 2
	s_wait_dscnt 0x0
	ds_load_b32 v1, v0
	s_wait_dscnt 0x0
	v_xor_b32_e32 v1, v1, v0
	s_delay_alu instid0(VALU_DEP_1) | instskip(NEXT) | instid1(VALU_DEP_1)
	v_and_b32_e32 v1, 0xff0000, v1
	v_cmp_eq_u32_e32 vcc_lo, 0, v1
	s_cbranch_vccnz .LBB3_11
; %bb.10:                               ;   in Loop: Header=BB3_8 Depth=1
	s_barrier_signal -1
	s_barrier_wait -1
	ds_load_b32 v0, v0
.LBB3_11:                               ;   in Loop: Header=BB3_8 Depth=1
	s_wait_dscnt 0x0
	v_lshrrev_b32_e32 v0, 11, v0
	s_mov_b32 s72, exec_lo
	s_delay_alu instid0(VALU_DEP_1) | instskip(NEXT) | instid1(VALU_DEP_1)
	v_and_b32_e32 v1, 0x1fe0, v0
	v_cmpx_lt_u32_e64 v41, v1
	s_cbranch_execz .LBB3_7
; %bb.12:                               ;   in Loop: Header=BB3_8 Depth=1
	s_mov_b64 s[0:1], src_shared_base
	v_dual_mov_b32 v31, v40 :: v_dual_mov_b32 v0, v41
	v_mov_b32_e32 v3, s1
	s_mov_b64 s[8:9], s[58:59]
	s_mov_b32 s12, s60
	s_swap_pc_i64 s[30:31], s[62:63]
	s_branch .LBB3_7
.LBB3_13:
	s_clause 0x2
	scratch_load_b32 v78, off, s33
	scratch_load_b32 v41, off, s33 offset:4
	scratch_load_b32 v40, off, s33 offset:8
	v_readlane_b32 s30, v42, 0
	v_readlane_b32 s31, v42, 1
	s_mov_b32 s32, s33
	s_wait_xcnt 0x0
	s_or_saveexec_b32 s0, -1
	scratch_load_b32 v42, off, s33 offset:12 ; 4-byte Folded Reload
	s_wait_xcnt 0x0
	s_mov_b32 exec_lo, s0
	s_mov_b32 s33, s73
	s_wait_loadcnt 0x0
	s_set_pc_i64 s[30:31]
.Lfunc_end3:
	.size	_Z50ncclDevFunc_Reduce_RING_SIMPLE_MinMax_f8e5m2_0_0_1v, .Lfunc_end3-_Z50ncclDevFunc_Reduce_RING_SIMPLE_MinMax_f8e5m2_0_0_1v
                                        ; -- End function
	.set .L_Z50ncclDevFunc_Reduce_RING_SIMPLE_MinMax_f8e5m2_0_0_1v.num_vgpr, max(79, .L_ZN12_GLOBAL__N_17runRingI14__hip_fp8_e5m210FuncMinMaxIS1_E11ProtoSimpleILi1ELi1ELi0ELi1ELi0ELi0EELi0ELi1ELi0EEEviiP15ncclDevWorkColl.num_vgpr)
	.set .L_Z50ncclDevFunc_Reduce_RING_SIMPLE_MinMax_f8e5m2_0_0_1v.num_agpr, max(0, .L_ZN12_GLOBAL__N_17runRingI14__hip_fp8_e5m210FuncMinMaxIS1_E11ProtoSimpleILi1ELi1ELi0ELi1ELi0ELi0EELi0ELi1ELi0EEEviiP15ncclDevWorkColl.num_agpr)
	.set .L_Z50ncclDevFunc_Reduce_RING_SIMPLE_MinMax_f8e5m2_0_0_1v.numbered_sgpr, max(74, .L_ZN12_GLOBAL__N_17runRingI14__hip_fp8_e5m210FuncMinMaxIS1_E11ProtoSimpleILi1ELi1ELi0ELi1ELi0ELi0EELi0ELi1ELi0EEEviiP15ncclDevWorkColl.numbered_sgpr)
	.set .L_Z50ncclDevFunc_Reduce_RING_SIMPLE_MinMax_f8e5m2_0_0_1v.num_named_barrier, max(0, .L_ZN12_GLOBAL__N_17runRingI14__hip_fp8_e5m210FuncMinMaxIS1_E11ProtoSimpleILi1ELi1ELi0ELi1ELi0ELi0EELi0ELi1ELi0EEEviiP15ncclDevWorkColl.num_named_barrier)
	.set .L_Z50ncclDevFunc_Reduce_RING_SIMPLE_MinMax_f8e5m2_0_0_1v.private_seg_size, 32+max(.L_ZN12_GLOBAL__N_17runRingI14__hip_fp8_e5m210FuncMinMaxIS1_E11ProtoSimpleILi1ELi1ELi0ELi1ELi0ELi0EELi0ELi1ELi0EEEviiP15ncclDevWorkColl.private_seg_size)
	.set .L_Z50ncclDevFunc_Reduce_RING_SIMPLE_MinMax_f8e5m2_0_0_1v.uses_vcc, or(1, .L_ZN12_GLOBAL__N_17runRingI14__hip_fp8_e5m210FuncMinMaxIS1_E11ProtoSimpleILi1ELi1ELi0ELi1ELi0ELi0EELi0ELi1ELi0EEEviiP15ncclDevWorkColl.uses_vcc)
	.set .L_Z50ncclDevFunc_Reduce_RING_SIMPLE_MinMax_f8e5m2_0_0_1v.uses_flat_scratch, or(1, .L_ZN12_GLOBAL__N_17runRingI14__hip_fp8_e5m210FuncMinMaxIS1_E11ProtoSimpleILi1ELi1ELi0ELi1ELi0ELi0EELi0ELi1ELi0EEEviiP15ncclDevWorkColl.uses_flat_scratch)
	.set .L_Z50ncclDevFunc_Reduce_RING_SIMPLE_MinMax_f8e5m2_0_0_1v.has_dyn_sized_stack, or(0, .L_ZN12_GLOBAL__N_17runRingI14__hip_fp8_e5m210FuncMinMaxIS1_E11ProtoSimpleILi1ELi1ELi0ELi1ELi0ELi0EELi0ELi1ELi0EEEviiP15ncclDevWorkColl.has_dyn_sized_stack)
	.set .L_Z50ncclDevFunc_Reduce_RING_SIMPLE_MinMax_f8e5m2_0_0_1v.has_recursion, or(1, .L_ZN12_GLOBAL__N_17runRingI14__hip_fp8_e5m210FuncMinMaxIS1_E11ProtoSimpleILi1ELi1ELi0ELi1ELi0ELi0EELi0ELi1ELi0EEEviiP15ncclDevWorkColl.has_recursion)
	.set .L_Z50ncclDevFunc_Reduce_RING_SIMPLE_MinMax_f8e5m2_0_0_1v.has_indirect_call, or(0, .L_ZN12_GLOBAL__N_17runRingI14__hip_fp8_e5m210FuncMinMaxIS1_E11ProtoSimpleILi1ELi1ELi0ELi1ELi0ELi0EELi0ELi1ELi0EEEviiP15ncclDevWorkColl.has_indirect_call)
	.section	.AMDGPU.csdata,"",@progbits
; Function info:
; codeLenInByte = 756
; TotalNumSgprs: 76
; NumVgprs: 120
; ScratchSize: 192
; MemoryBound: 0
	.text
	.p2align	2                               ; -- Begin function _ZN12_GLOBAL__N_17runRingI14__hip_fp8_e5m210FuncMinMaxIS1_E11ProtoSimpleILi1ELi1ELi0ELi2ELi0ELi0EELi0ELi2ELi0EEEviiP15ncclDevWorkColl
	.type	_ZN12_GLOBAL__N_17runRingI14__hip_fp8_e5m210FuncMinMaxIS1_E11ProtoSimpleILi1ELi1ELi0ELi2ELi0ELi0EELi0ELi2ELi0EEEviiP15ncclDevWorkColl,@function
_ZN12_GLOBAL__N_17runRingI14__hip_fp8_e5m210FuncMinMaxIS1_E11ProtoSimpleILi1ELi1ELi0ELi2ELi0ELi0EELi0ELi2ELi0EEEviiP15ncclDevWorkColl: ; @_ZN12_GLOBAL__N_17runRingI14__hip_fp8_e5m210FuncMinMaxIS1_E11ProtoSimpleILi1ELi1ELi0ELi2ELi0ELi0EELi0ELi2ELi0EEEviiP15ncclDevWorkColl
; %bb.0:
	s_wait_loadcnt_dscnt 0x0
	s_wait_kmcnt 0x0
	s_mov_b32 s58, s33
	s_mov_b32 s33, s32
	s_or_saveexec_b32 s0, -1
	scratch_store_b32 off, v127, s33 offset:204 ; 4-byte Folded Spill
	s_wait_xcnt 0x0
	s_mov_b32 exec_lo, s0
	s_addk_co_i32 s32, 0xe0
	s_clause 0x2e
	scratch_store_b32 off, v40, s33 offset:184
	; meta instruction
	scratch_store_b32 off, v41, s33 offset:180
	; meta instruction
	;; [unrolled: 2-line block ×46, first 2 shown]
	scratch_store_b32 off, v126, s33
	v_writelane_b32 v127, s30, 0
	v_writelane_b32 v127, s31, 1
	s_trap 2
	ds_load_b64 v[14:15], v0
	ds_load_b32 v9, v0
	flat_load_b64 v[6:7], v[2:3]
	s_wait_xcnt 0x6
	v_mov_b32_e32 v121, v0
                                        ; implicit-def: $vgpr18_vgpr19
                                        ; implicit-def: $vgpr4_vgpr5
                                        ; implicit-def: $vgpr26_vgpr27
	s_wait_dscnt 0x2
	v_readfirstlane_b32 s0, v14
	v_readfirstlane_b32 s1, v15
	flat_load_u16 v17, v[2:3] offset:8
	flat_load_b32 v0, v15, s[0:1] offset:-4 scale_offset
	s_wait_xcnt 0x0
	s_mov_b32 s0, exec_lo
	s_wait_loadcnt_dscnt 0x202
	v_and_b32_e32 v8, 0xff, v6
	v_mov_b32_e32 v16, v7
	s_delay_alu instid0(VALU_DEP_2)
	v_cmpx_ne_u32_e64 v9, v8
	s_xor_b32 s0, exec_lo, s0
	s_cbranch_execz .LBB4_6
; %bb.1:
	v_bfe_u32 v10, v6, 8, 8
	v_not_b32_e32 v8, v8
	s_mov_b32 s1, exec_lo
                                        ; implicit-def: $vgpr18_vgpr19
                                        ; implicit-def: $vgpr4_vgpr5
                                        ; implicit-def: $vgpr26_vgpr27
	s_delay_alu instid0(VALU_DEP_2)
	v_cmpx_ne_u32_e64 v9, v10
	s_xor_b32 s1, exec_lo, s1
	s_cbranch_execz .LBB4_3
; %bb.2:
	s_clause 0x1
	flat_load_b128 v[4:7], v[2:3] offset:72
	flat_load_b64 v[10:11], v[2:3] offset:96
	v_add_nc_u32_e32 v8, v9, v8
	s_wait_loadcnt_dscnt 0x101
	s_delay_alu instid0(VALU_DEP_1) | instskip(SKIP_3) | instid1(VALU_DEP_3)
	v_mad_nc_u64_u32 v[26:27], v6, v8, v[4:5]
	v_ashrrev_i32_e32 v5, 31, v8
	s_wait_loadcnt_dscnt 0x0
	v_lshrrev_b64 v[18:19], 12, v[10:11]
                                        ; implicit-def: $vgpr10
	v_mad_u32 v4, v7, v8, v27
                                        ; implicit-def: $vgpr8
	s_delay_alu instid0(VALU_DEP_1)
	v_mad_u32 v27, v6, v5, v4
	v_mov_b64_e32 v[4:5], v[6:7]
.LBB4_3:
	s_wait_xcnt 0x0
	s_and_not1_saveexec_b32 s1, s1
	s_cbranch_execz .LBB4_5
; %bb.4:
	s_clause 0x1
	flat_load_b128 v[18:21], v[2:3] offset:72
	flat_load_b128 v[4:7], v[2:3] offset:88
	s_wait_loadcnt_dscnt 0x0
	v_add_nc_u32_e32 v6, v10, v8
	s_delay_alu instid0(VALU_DEP_1) | instskip(SKIP_1) | instid1(VALU_DEP_2)
	v_mad_nc_u64_u32 v[26:27], v20, v6, v[18:19]
	v_lshrrev_b32_e32 v18, 1, v7
	v_mad_u32 v8, v21, v6, v27
	v_ashrrev_i32_e32 v6, 31, v6
	s_delay_alu instid0(VALU_DEP_1)
	v_mad_u32 v27, v20, v6, v8
.LBB4_5:
	s_wait_xcnt 0x0
	s_or_b32 exec_lo, exec_lo, s1
.LBB4_6:
	s_and_not1_saveexec_b32 s0, s0
	s_cbranch_execz .LBB4_8
; %bb.7:
	s_clause 0x1
	flat_load_b64 v[6:7], v[2:3] offset:96
	flat_load_b64 v[4:5], v[2:3] offset:72
	v_mov_b64_e32 v[26:27], 0
	s_wait_loadcnt_dscnt 0x101
	v_lshlrev_b64_e32 v[18:19], 9, v[6:7]
.LBB4_8:
	s_wait_xcnt 0x0
	s_or_b32 exec_lo, exec_lo, s0
	s_trap 2
	s_wait_loadcnt_dscnt 0x0
	ds_load_b64 v[6:7], v0
	s_mov_b32 s1, 0
	s_mov_b32 s2, exec_lo
	s_wait_dscnt 0x0
	v_cmp_ne_u32_e32 vcc_lo, -1, v6
	v_cndmask_b32_e64 v15, 0, 1, vcc_lo
	v_cmp_ne_u32_e32 vcc_lo, -1, v7
	s_delay_alu instid0(VALU_DEP_2) | instskip(NEXT) | instid1(VALU_DEP_1)
	v_add_co_ci_u32_e64 v6, null, 0, v15, vcc_lo
	v_lshlrev_b32_e32 v7, 1, v6
	s_delay_alu instid0(VALU_DEP_1)
	v_cmpx_le_u32_e64 v7, v1
	s_xor_b32 s20, exec_lo, s2
	s_cbranch_execnz .LBB4_9
; %bb.8802:
	s_add_pc_i64 .LBB4_8799-.Lpost_addpc2
.Lpost_addpc2:
.LBB4_9:
	s_clause 0x1
	flat_load_b128 v[10:13], v[2:3] offset:16
	flat_load_b64 v[20:21], v[2:3] offset:104
	s_trap 2
	s_load_b32 s0, s[8:9], 0x0
	s_bfe_u32 s2, ttmp6, 0x4000c
	s_and_b32 s3, ttmp6, 15
	s_add_co_i32 s2, s2, 1
	s_getreg_b32 s4, hwreg(HW_REG_IB_STS2, 6, 4)
	s_mul_i32 s2, ttmp9, s2
	v_dual_mov_b32 v2, 0 :: v_dual_mov_b32 v120, 4
	s_add_co_i32 s3, s3, s2
	s_cmp_eq_u32 s4, 0
	ds_load_b32 v3, v0
	s_cselect_b32 s2, ttmp9, s3
	s_wait_kmcnt 0x0
	s_cmp_lt_u32 s2, s0
	s_cselect_b32 s0, 12, 18
	s_delay_alu instid0(SALU_CYCLE_1)
	s_add_nc_u64 s[0:1], s[8:9], s[0:1]
	global_load_u16 v2, v2, s[0:1]
	s_wait_xcnt 0x0
	s_mov_b32 s1, exec_lo
	s_wait_dscnt 0x0
	v_readfirstlane_b32 s21, v3
	v_cmpx_ge_u32_e64 v121, v15
	s_cbranch_execz .LBB4_19
; %bb.10:
	v_cmp_ge_u32_e64 s0, v121, v6
                                        ; implicit-def: $vgpr120
	s_and_saveexec_b32 s2, s0
	s_delay_alu instid0(SALU_CYCLE_1)
	s_xor_b32 s0, exec_lo, s2
	s_cbranch_execz .LBB4_16
; %bb.11:
	v_cndmask_b32_e64 v3, 0, 1, vcc_lo
	s_mov_b32 s2, exec_lo
	s_delay_alu instid0(VALU_DEP_1) | instskip(NEXT) | instid1(VALU_DEP_1)
	v_sub_nc_u32_e32 v3, v1, v3
	v_cmpx_ge_u32_e64 v121, v3
	s_xor_b32 s2, exec_lo, s2
; %bb.12:
                                        ; implicit-def: $vgpr6
; %bb.13:
	s_delay_alu instid0(SALU_CYCLE_1)
	s_or_saveexec_b32 s2, s2
	v_mov_b32_e32 v120, 16
	s_xor_b32 exec_lo, exec_lo, s2
; %bb.14:
	v_sub_nc_u32_e32 v3, v1, v6
	s_delay_alu instid0(VALU_DEP_1)
	v_cmp_lt_i32_e32 vcc_lo, v121, v3
	v_cndmask_b32_e64 v120, 32, 0, vcc_lo
; %bb.15:
	s_or_b32 exec_lo, exec_lo, s2
.LBB4_16:
	s_and_not1_saveexec_b32 s0, s0
; %bb.17:
	v_mov_b32_e32 v120, 8
; %bb.18:
	s_or_b32 exec_lo, exec_lo, s0
.LBB4_19:
	s_delay_alu instid0(SALU_CYCLE_1) | instskip(NEXT) | instid1(VALU_DEP_1)
	s_or_b32 exec_lo, exec_lo, s1
	v_and_b32_e32 v3, 36, v120
	s_delay_alu instid0(VALU_DEP_1)
	v_cmp_ne_u32_e32 vcc_lo, 0, v3
	v_mov_b32_e32 v3, -1
	s_and_saveexec_b32 s0, vcc_lo
	s_cbranch_execz .LBB4_21
; %bb.20:
	s_trap 2
	ds_load_b32 v3, v0
.LBB4_21:
	s_or_b32 exec_lo, exec_lo, s0
	v_and_b32_e32 v6, 24, v120
	s_mov_b32 s1, exec_lo
	s_delay_alu instid0(VALU_DEP_1)
	v_cmpx_ne_u32_e32 0, v6
	s_cbranch_execz .LBB4_23
; %bb.22:
	s_trap 2
	s_wait_dscnt 0x0
	ds_load_b32 v3, v0
.LBB4_23:
	s_or_b32 exec_lo, exec_lo, s1
	v_lshrrev_b64 v[6:7], 31, v[16:17]
	v_mov_b64_e32 v[28:29], 0
                                        ; implicit-def: $vgpr34
                                        ; implicit-def: $vgpr48_vgpr49
                                        ; implicit-def: $vgpr36_vgpr37
                                        ; implicit-def: $vgpr32_vgpr33
	s_delay_alu instid0(VALU_DEP_2) | instskip(SKIP_1) | instid1(VALU_DEP_2)
	v_and_b32_e32 v8, 3, v6
	v_mov_b64_e32 v[6:7], 0
	v_and_b32_e32 v17, 0xffff, v8
                                        ; implicit-def: $vgpr8_vgpr9
                                        ; kill: killed $vgpr8_vgpr9
	s_and_saveexec_b32 s0, vcc_lo
	s_cbranch_execz .LBB4_33
; %bb.24:
	s_trap 2
	ds_load_b64 v[6:7], v0
	s_wait_dscnt 0x0
	v_readfirstlane_b32 s2, v6
	v_readfirstlane_b32 s3, v7
	flat_load_b64 v[6:7], v3, s[2:3] scale_offset
	s_wait_loadcnt_dscnt 0x0
	v_mad_nc_u64_u32 v[22:23], 0xa8, v17, v[6:7]
	flat_load_b32 v6, v[22:23] offset:640
	s_wait_loadcnt_dscnt 0x0
	v_cmp_eq_u32_e32 vcc_lo, 1, v6
                                        ; implicit-def: $vgpr6_vgpr7
                                        ; kill: killed $vgpr6_vgpr7
	s_wait_xcnt 0x0
	s_and_saveexec_b32 s1, vcc_lo
	s_cbranch_execz .LBB4_26
; %bb.25:
	flat_load_b64 v[8:9], v[22:23] offset:648
	v_or_b32_e32 v120, 0x2000, v120
	s_wait_loadcnt_dscnt 0x0
	flat_load_b64 v[6:7], v[8:9]
	s_trap 2
	scratch_store_b64 off, v[8:9], s33 offset:188 ; 8-byte Folded Spill
	s_wait_loadcnt_dscnt 0x0
	ds_store_b64 v0, v[6:7]
	flat_load_b64 v[6:7], v[8:9] offset:8
	s_wait_loadcnt_dscnt 0x0
	ds_store_b64 v0, v[6:7]
	flat_load_b64 v[6:7], v[8:9] offset:16
	s_wait_loadcnt_dscnt 0x0
	ds_store_b64 v0, v[6:7]
.LBB4_26:
	s_wait_xcnt 0x0
	s_or_b32 exec_lo, exec_lo, s1
	flat_load_b64 v[8:9], v[22:23] offset:608
	v_and_b32_e32 v6, 32, v120
	s_mov_b32 s1, exec_lo
                                        ; implicit-def: $vgpr32_vgpr33
	s_wait_xcnt 0x0
	s_delay_alu instid0(VALU_DEP_1)
	v_cmpx_ne_u32_e32 0, v6
	s_cbranch_execz .LBB4_28
; %bb.27:
	flat_load_b64 v[32:33], v[22:23] offset:560
	global_wb scope:SCOPE_SYS
	s_wait_storecnt 0x0
	s_wait_xcnt 0x0
	s_wait_loadcnt_dscnt 0x0
	flat_store_b64 v[32:33], v[8:9] scope:SCOPE_SYS
.LBB4_28:
	s_wait_xcnt 0x0
	s_or_b32 exec_lo, exec_lo, s1
	v_add_nc_u64_e32 v[28:29], 0x1f8, v[22:23]
	v_mov_b64_e32 v[6:7], 0
	v_and_b32_e32 v19, 4, v120
	s_mov_b32 s1, exec_lo
                                        ; implicit-def: $vgpr34
                                        ; implicit-def: $vgpr48_vgpr49
                                        ; implicit-def: $vgpr36_vgpr37
	s_delay_alu instid0(VALU_DEP_1)
	v_cmpx_ne_u32_e32 0, v19
	s_cbranch_execz .LBB4_32
; %bb.29:
	v_and_b32_e32 v6, 0x800, v120
	s_mov_b32 s2, exec_lo
	s_delay_alu instid0(VALU_DEP_1)
	v_cmpx_eq_u32_e32 0, v6
	s_cbranch_execz .LBB4_31
; %bb.30:
	s_trap 2
	ds_store_b64 v0, v[28:29]
.LBB4_31:
	s_or_b32 exec_lo, exec_lo, s2
	flat_load_b64 v[32:33], v[22:23] offset:552
	v_or_b32_e32 v19, 0x100, v120
	s_wait_loadcnt_dscnt 0x0
	flat_load_b64 v[48:49], v[32:33] scope:SCOPE_SYS
	s_clause 0x2
	flat_load_b64 v[6:7], v[22:23] offset:600
	flat_load_b32 v34, v[22:23] offset:576
	flat_load_b64 v[36:37], v[22:23] offset:520
	s_wait_loadcnt_dscnt 0x202
	v_cmp_eq_u64_e32 vcc_lo, 0, v[6:7]
	v_cndmask_b32_e32 v120, v19, v120, vcc_lo
.LBB4_32:
	s_wait_xcnt 0x0
	s_or_b32 exec_lo, exec_lo, s1
.LBB4_33:
	s_delay_alu instid0(SALU_CYCLE_1) | instskip(NEXT) | instid1(VALU_DEP_1)
	s_or_b32 exec_lo, exec_lo, s0
	v_and_b32_e32 v19, 24, v120
	s_mov_b32 s0, exec_lo
                                        ; implicit-def: $vgpr52_vgpr53
	s_delay_alu instid0(VALU_DEP_1)
	v_cmpx_ne_u32_e32 0, v19
	s_cbranch_execz .LBB4_41
; %bb.34:
	s_trap 2
	ds_load_b64 v[6:7], v0
	s_mov_b32 s1, exec_lo
                                        ; implicit-def: $vgpr52_vgpr53
	s_wait_dscnt 0x0
	v_readfirstlane_b32 s2, v6
	v_readfirstlane_b32 s3, v7
	flat_load_b64 v[6:7], v3, s[2:3] scale_offset
	s_wait_xcnt 0x0
	v_or_b32_e32 v3, 0x100, v120
	s_wait_loadcnt_dscnt 0x0
	v_mad_nc_u64_u32 v[28:29], 0xa8, v17, v[6:7]
	flat_load_b128 v[6:9], v[28:29] offset:96
	s_wait_loadcnt_dscnt 0x0
	v_cmp_eq_u64_e32 vcc_lo, 0, v[6:7]
	v_cndmask_b32_e32 v120, v3, v120, vcc_lo
	s_delay_alu instid0(VALU_DEP_1) | instskip(SKIP_1) | instid1(VALU_DEP_1)
	v_and_b32_e32 v3, 16, v120
	s_wait_xcnt 0x0
	v_cmpx_ne_u32_e32 0, v3
	s_cbranch_execz .LBB4_36
; %bb.35:
	s_clause 0x2
	flat_load_b64 v[32:33], v[28:29] offset:48
	flat_load_b64 v[52:53], v[28:29] offset:120
	;; [unrolled: 1-line block ×3, first 2 shown]
.LBB4_36:
	s_wait_xcnt 0x0
	s_or_b32 exec_lo, exec_lo, s1
	v_and_b32_e32 v3, 8, v120
	s_mov_b32 s1, exec_lo
	s_delay_alu instid0(VALU_DEP_1)
	v_cmpx_ne_u32_e32 0, v3
	s_cbranch_execz .LBB4_40
; %bb.37:
	v_and_b32_e32 v3, 0x800, v120
	s_mov_b32 s2, exec_lo
	s_delay_alu instid0(VALU_DEP_1)
	v_cmpx_eq_u32_e32 0, v3
	s_cbranch_execz .LBB4_39
; %bb.38:
	s_trap 2
	ds_store_b64 v0, v[28:29]
.LBB4_39:
	s_or_b32 exec_lo, exec_lo, s2
	s_wait_loadcnt_dscnt 0x202
	flat_load_b64 v[32:33], v[28:29] offset:56
	s_wait_loadcnt_dscnt 0x0
	flat_load_b64 v[48:49], v[32:33] scope:SCOPE_SYS
	s_clause 0x1
	flat_load_b32 v34, v[28:29] offset:72
	flat_load_b64 v[36:37], v[28:29] offset:16
.LBB4_40:
	s_wait_xcnt 0x0
	s_or_b32 exec_lo, exec_lo, s1
.LBB4_41:
	s_delay_alu instid0(SALU_CYCLE_1)
	s_or_b32 exec_lo, exec_lo, s0
	v_cmp_eq_u32_e64 s0, 0, v121
	s_and_saveexec_b32 s1, s0
	s_cbranch_execz .LBB4_43
; %bb.42:
	v_mov_b64_e32 v[22:23], 0
	s_wait_loadcnt 0x2
	ds_store_2addr_b64 v0, v[12:13], v[10:11] offset1:1
	s_trap 2
	ds_store_b64 v0, v[22:23]
	s_wait_loadcnt 0x1
	ds_store_b64 v0, v[20:21]
.LBB4_43:
	s_or_b32 exec_lo, exec_lo, s1
	s_wait_dscnt 0x0
	v_bfe_u32 v3, v16, 1, 30
	v_and_b32_e32 v50, 0x3ffffe00, v18
	v_mov_b32_e32 v51, 0
	s_wait_loadcnt 0x0
	v_and_b32_e32 v2, 0xffff, v2
                                        ; implicit-def: $vgpr38_vgpr39
	s_mov_b32 s1, exec_lo
	v_cmpx_ne_u32_e64 v0, v3
	s_xor_b32 s22, exec_lo, s1
	s_cbranch_execnz .LBB4_44
; %bb.8804:
	s_add_pc_i64 .LBB4_8593-.Lpost_addpc3
.Lpost_addpc3:
.LBB4_44:
                                        ; implicit-def: $vgpr38_vgpr39
	s_mov_b32 s1, exec_lo
	v_cmpx_ne_u32_e64 v14, v3
	s_xor_b32 s23, exec_lo, s1
	s_cbranch_execz .LBB4_4324
; %bb.45:
	v_mov_b64_e32 v[38:39], 0
	s_mov_b32 s24, exec_lo
	v_cmpx_ne_u64_e32 0, v[4:5]
	s_cbranch_execz .LBB4_4323
; %bb.46:
	v_dual_ashrrev_i32 v35, 31, v34 :: v_dual_bitop2_b32 v0, 31, v31 bitop3:0x40
	v_dual_mov_b32 v55, 0 :: v_dual_lshrrev_b32 v66, 5, v121
	s_ashr_i32 s2, s21, 31
	v_and_b32_e32 v67, 31, v121
	s_delay_alu instid0(VALU_DEP_3) | instskip(NEXT) | instid1(VALU_DEP_3)
	v_cmp_eq_u32_e64 s4, 0, v0
	v_dual_lshlrev_b32 v0, 10, v66 :: v_dual_lshrrev_b32 v64, 5, v1
	v_mov_b32_e32 v65, v55
	s_lshr_b32 s2, s2, 24
	v_cmp_eq_u32_e32 vcc_lo, 32, v1
	s_add_co_i32 s2, s21, s2
	v_mov_b64_e32 v[78:79], 0
	v_cmp_eq_u64_e64 s7, 0, v[52:53]
	v_mov_b64_e32 v[84:85], 0
	v_mov_b64_e32 v[38:39], 0
	v_cmp_ge_u32_e64 s1, v121, v1
	s_ashr_i32 s25, s2, 8
	v_cmp_ne_u32_e64 s2, 32, v1
	v_cmp_ne_u32_e64 s3, v1, v2
	v_cmp_le_u32_e64 s5, v67, v15
	v_cmp_lt_u32_e64 s6, v67, v15
	v_lshl_or_b32 v10, v67, 4, v0
	v_dual_mov_b32 v11, v55 :: v_dual_lshlrev_b32 v68, 10, v64
	v_dual_mov_b32 v69, v55 :: v_dual_lshlrev_b32 v70, 9, v64
	v_dual_mov_b32 v71, v55 :: v_dual_mov_b32 v81, v55
	v_and_b32_e32 v80, 0x1fe0, v1
	v_dual_mov_b32 v124, 1 :: v_dual_mov_b32 v125, 0x90
	v_mov_b32_e32 v126, 0x7f800000
	v_mov_b32_e32 v122, 0x7c
	s_mov_b64 s[16:17], 0xffffffffffffff
	s_mov_b64 s[18:19], 0x100000000000000
	s_mov_b32 s26, 0
	s_xor_b32 s27, vcc_lo, -1
	s_brev_b32 s28, 28
	scratch_store_b64 off, v[10:11], s33 offset:196 ; 8-byte Folded Spill
	s_trap 2
	s_branch .LBB4_49
.LBB4_47:                               ;   in Loop: Header=BB4_49 Depth=1
	s_wait_xcnt 0x0
	s_or_b32 exec_lo, exec_lo, s10
.LBB4_48:                               ;   in Loop: Header=BB4_49 Depth=1
	s_delay_alu instid0(SALU_CYCLE_1) | instskip(SKIP_1) | instid1(VALU_DEP_1)
	s_or_b32 exec_lo, exec_lo, s11
	v_add_nc_u64_e32 v[84:85], v[84:85], v[50:51]
	v_cmp_ge_u64_e32 vcc_lo, v[84:85], v[4:5]
	s_or_b32 s26, vcc_lo, s26
	s_delay_alu instid0(SALU_CYCLE_1)
	s_and_not1_b32 exec_lo, exec_lo, s26
	s_cbranch_execz .LBB4_4322
.LBB4_49:                               ; =>This Loop Header: Depth=1
                                        ;     Child Loop BB4_58 Depth 2
                                        ;     Child Loop BB4_86 Depth 2
	;; [unrolled: 1-line block ×10, first 2 shown]
	s_wait_xcnt 0x0
	v_sub_nc_u64_e32 v[10:11], v[4:5], v[84:85]
	s_delay_alu instid0(VALU_DEP_1) | instskip(NEXT) | instid1(VALU_DEP_1)
	v_min_u64 v[86:87], v[50:51], v[10:11]
	v_add_nc_u32_e32 v0, 15, v86
	s_delay_alu instid0(VALU_DEP_2) | instskip(NEXT) | instid1(VALU_DEP_2)
	v_cmp_eq_u64_e32 vcc_lo, 0, v[86:87]
	v_and_b32_e32 v0, 0x7ffffff0, v0
	s_or_b32 s29, s1, vcc_lo
	s_delay_alu instid0(SALU_CYCLE_1) | instskip(NEXT) | instid1(VALU_DEP_1)
	s_xor_b32 s10, s29, -1
	v_dual_mov_b32 v0, v55 :: v_dual_max_i32 v96, s25, v0
	s_and_saveexec_b32 s40, s10
	s_cbranch_execz .LBB4_4270
; %bb.50:                               ;   in Loop: Header=BB4_49 Depth=1
	s_and_saveexec_b32 s10, s0
	s_cbranch_execz .LBB4_52
; %bb.51:                               ;   in Loop: Header=BB4_49 Depth=1
	s_trap 2
	ds_load_b64 v[10:11], v0
	s_wait_dscnt 0x0
	v_add_nc_u64_e32 v[10:11], v[10:11], v[26:27]
	s_delay_alu instid0(VALU_DEP_1)
	v_add_nc_u64_e32 v[10:11], v[10:11], v[84:85]
	ds_store_b64 v0, v[10:11]
	ds_store_b64 v0, v[78:79]
.LBB4_52:                               ;   in Loop: Header=BB4_49 Depth=1
	s_or_b32 exec_lo, exec_lo, s10
	v_and_b32_e32 v0, 12, v120
	v_min_u32_e32 v96, v96, v86
	s_mov_b32 s11, exec_lo
	s_delay_alu instid0(VALU_DEP_2)
	v_cmpx_ne_u32_e32 0, v0
	s_cbranch_execz .LBB4_78
; %bb.53:                               ;   in Loop: Header=BB4_49 Depth=1
	v_and_b32_e32 v54, 8, v120
	v_add_nc_u64_e32 v[10:11], 1, v[8:9]
	s_mov_b32 s12, exec_lo
	s_wait_loadcnt 0x0
	s_delay_alu instid0(VALU_DEP_2) | instskip(NEXT) | instid1(VALU_DEP_1)
	v_add_nc_u64_e32 v[12:13], v[48:49], v[54:55]
	v_cmpx_lt_u64_e64 v[12:13], v[10:11]
	s_cbranch_execz .LBB4_65
; %bb.54:                               ;   in Loop: Header=BB4_49 Depth=1
	v_and_b32_e32 v0, 64, v120
	s_mov_b32 s13, 0
	s_mov_b32 s42, 0
                                        ; implicit-def: $sgpr14
                                        ; implicit-def: $sgpr15
                                        ; implicit-def: $sgpr41
	s_delay_alu instid0(VALU_DEP_1)
	v_cmp_eq_u32_e32 vcc_lo, 0, v0
	s_branch .LBB4_58
.LBB4_55:                               ;   in Loop: Header=BB4_58 Depth=2
	s_wait_loadcnt_dscnt 0x0
	v_add_nc_u64_e32 v[12:13], v[48:49], v[54:55]
	s_or_b32 s45, s45, exec_lo
	s_delay_alu instid0(VALU_DEP_1)
	v_cmp_ge_u64_e64 s10, v[12:13], v[10:11]
	s_or_not1_b32 s44, s10, exec_lo
.LBB4_56:                               ;   in Loop: Header=BB4_58 Depth=2
	s_or_b32 exec_lo, exec_lo, s47
	s_delay_alu instid0(SALU_CYCLE_1)
	s_and_not1_b32 s10, s41, exec_lo
	s_and_b32 s41, s45, exec_lo
	s_and_not1_b32 s15, s15, exec_lo
	s_and_b32 s44, s44, exec_lo
	s_or_b32 s41, s10, s41
	s_or_b32 s15, s15, s44
.LBB4_57:                               ;   in Loop: Header=BB4_58 Depth=2
	s_or_b32 exec_lo, exec_lo, s43
	s_delay_alu instid0(SALU_CYCLE_1) | instskip(NEXT) | instid1(SALU_CYCLE_1)
	s_and_b32 s10, exec_lo, s15
	s_or_b32 s13, s10, s13
	s_and_not1_b32 s10, s14, exec_lo
	s_and_b32 s14, s41, exec_lo
	s_delay_alu instid0(SALU_CYCLE_1)
	s_or_b32 s14, s10, s14
	s_and_not1_b32 exec_lo, exec_lo, s13
	s_cbranch_execz .LBB4_62
.LBB4_58:                               ;   Parent Loop BB4_49 Depth=1
                                        ; =>  This Inner Loop Header: Depth=2
	s_sleep 1
	s_wait_loadcnt_dscnt 0x0
	flat_load_b64 v[48:49], v[32:33] scope:SCOPE_SYS
	s_or_b32 s41, s41, exec_lo
	s_or_b32 s15, s15, exec_lo
                                        ; implicit-def: $vgpr0
	s_wait_xcnt 0x0
	s_and_saveexec_b32 s43, vcc_lo
	s_cbranch_execz .LBB4_57
; %bb.59:                               ;   in Loop: Header=BB4_58 Depth=2
	s_cmp_lt_i32 s42, 0x270f
	s_mov_b32 s44, -1
	s_cselect_b32 s46, -1, 0
	s_cmp_gt_i32 s42, 0x270e
	s_cbranch_scc0 .LBB4_61
; %bb.60:                               ;   in Loop: Header=BB4_58 Depth=2
	s_trap 2
	ds_load_b64 v[12:13], v0
	s_and_not1_b32 s42, s46, exec_lo
	s_mov_b32 s45, 0
	s_wait_storecnt 0x0
	s_wait_loadcnt_dscnt 0x0
	flat_load_b32 v0, v[12:13] scope:SCOPE_SYS
	s_wait_loadcnt_dscnt 0x0
	global_inv scope:SCOPE_SYS
	v_cmp_eq_u32_e64 s10, 0, v0
	s_and_b32 s10, s10, exec_lo
	s_delay_alu instid0(SALU_CYCLE_1)
	s_or_b32 s46, s42, s10
	s_mov_b32 s42, 0
	s_and_saveexec_b32 s47, s46
	s_cbranch_execz .LBB4_56
	s_branch .LBB4_55
.LBB4_61:                               ;   in Loop: Header=BB4_58 Depth=2
	s_add_co_i32 s42, s42, 1
	s_mov_b32 s45, -1
                                        ; implicit-def: $vgpr0
	s_and_saveexec_b32 s47, s46
	s_cbranch_execz .LBB4_56
	s_branch .LBB4_55
.LBB4_62:                               ;   in Loop: Header=BB4_49 Depth=1
	s_or_b32 exec_lo, exec_lo, s13
	s_xor_b32 s10, s14, -1
	s_delay_alu instid0(SALU_CYCLE_1) | instskip(NEXT) | instid1(SALU_CYCLE_1)
	s_and_saveexec_b32 s13, s10
	s_xor_b32 s10, exec_lo, s13
	s_cbranch_execz .LBB4_64
; %bb.63:                               ;   in Loop: Header=BB4_49 Depth=1
	v_or_b32_e32 v120, 64, v120
	s_wait_storecnt 0x0
	s_wait_loadcnt_dscnt 0x0
	ds_store_b32 v0, v0
	s_trap 2
.LBB4_64:                               ;   in Loop: Header=BB4_49 Depth=1
	s_or_b32 exec_lo, exec_lo, s10
.LBB4_65:                               ;   in Loop: Header=BB4_49 Depth=1
	s_delay_alu instid0(SALU_CYCLE_1) | instskip(SKIP_4) | instid1(VALU_DEP_2)
	s_or_b32 exec_lo, exec_lo, s12
	v_and_b32_e32 v0, 0x108, v120
	v_and_b32_e32 v8, 7, v8
	s_mov_b32 s10, exec_lo
	;;#ASMSTART
	s_wakeup
	;;#ASMEND
	v_cmpx_ne_u32_e32 0x108, v0
	s_xor_b32 s10, exec_lo, s10
; %bb.66:                               ;   in Loop: Header=BB4_49 Depth=1
	v_mov_b32_e32 v9, v55
; %bb.67:                               ;   in Loop: Header=BB4_49 Depth=1
	s_and_not1_saveexec_b32 s10, s10
	s_cbranch_execz .LBB4_69
; %bb.68:                               ;   in Loop: Header=BB4_49 Depth=1
	v_mad_nc_u64_u32 v[12:13], v8, 24, v[6:7]
	v_dual_mov_b32 v97, v55 :: v_dual_mov_b32 v9, v55
	flat_store_b64 v[12:13], v[96:97] offset:8
.LBB4_69:                               ;   in Loop: Header=BB4_49 Depth=1
	s_wait_xcnt 0x0
	s_or_b32 exec_lo, exec_lo, s10
	v_and_b32_e32 v0, 0x100, v120
	s_mov_b32 s10, -1
	s_mov_b32 s12, exec_lo
                                        ; implicit-def: $vgpr12_vgpr13
	s_delay_alu instid0(VALU_DEP_1)
	v_cmpx_ne_u32_e32 0, v0
	s_cbranch_execz .LBB4_73
; %bb.70:                               ;   in Loop: Header=BB4_49 Depth=1
	v_mad_nc_u64_u32 v[14:15], v8, 24, v[6:7]
	s_mov_b32 s13, exec_lo
                                        ; implicit-def: $vgpr12_vgpr13
	s_delay_alu instid0(VALU_DEP_1)
	v_mad_u32 v15, v9, 24, v15
	flat_load_b32 v0, v[14:15]
	s_wait_loadcnt_dscnt 0x0
	v_cmp_ne_u32_e32 vcc_lo, 1, v0
	s_wait_xcnt 0x0
	v_cmpx_eq_u32_e32 1, v0
	s_cbranch_execz .LBB4_72
; %bb.71:                               ;   in Loop: Header=BB4_49 Depth=1
	flat_load_b32 v12, v[14:15] offset:4 scope:SCOPE_SYS
	s_wait_loadcnt_dscnt 0x0
	v_ashrrev_i32_e32 v13, 31, v12
.LBB4_72:                               ;   in Loop: Header=BB4_49 Depth=1
	s_wait_xcnt 0x0
	s_or_b32 exec_lo, exec_lo, s13
	s_delay_alu instid0(SALU_CYCLE_1)
	s_or_not1_b32 s10, vcc_lo, exec_lo
.LBB4_73:                               ;   in Loop: Header=BB4_49 Depth=1
	s_or_b32 exec_lo, exec_lo, s12
	s_and_saveexec_b32 s12, s10
; %bb.74:                               ;   in Loop: Header=BB4_49 Depth=1
	v_mul_u64_e32 v[12:13], v[8:9], v[34:35]
; %bb.75:                               ;   in Loop: Header=BB4_49 Depth=1
	s_or_b32 exec_lo, exec_lo, s12
	v_cmp_eq_u32_e32 vcc_lo, 0, v54
	s_delay_alu instid0(VALU_DEP_2) | instskip(SKIP_3) | instid1(VALU_DEP_1)
	v_add_nc_u64_e32 v[8:9], v[36:37], v[12:13]
	v_and_b32_e32 v3, 0x2000, v120
	s_mov_b32 s10, exec_lo
	v_cndmask_b32_e32 v0, 0xc8, v125, vcc_lo
	v_add_nc_u32_e32 v0, v0, v0
	ds_store_b64 v0, v[8:9] offset:584
	v_cmpx_ne_u32_e32 0, v3
	s_cbranch_execz .LBB4_77
; %bb.76:                               ;   in Loop: Header=BB4_49 Depth=1
	ds_load_b64 v[8:9], v0 offset:872
	s_wait_dscnt 0x0
	v_add_nc_u64_e32 v[8:9], 1, v[8:9]
	ds_store_b64 v0, v[8:9] offset:872
.LBB4_77:                               ;   in Loop: Header=BB4_49 Depth=1
	s_or_b32 exec_lo, exec_lo, s10
	v_mov_b64_e32 v[8:9], v[10:11]
.LBB4_78:                               ;   in Loop: Header=BB4_49 Depth=1
	s_or_b32 exec_lo, exec_lo, s11
	s_and_saveexec_b32 s10, s2
	s_cbranch_execz .LBB4_97
; %bb.79:                               ;   in Loop: Header=BB4_49 Depth=1
	s_and_saveexec_b32 s11, s3
	s_delay_alu instid0(SALU_CYCLE_1)
	s_xor_b32 s11, exec_lo, s11
	s_cbranch_execz .LBB4_94
; %bb.80:                               ;   in Loop: Header=BB4_49 Depth=1
	s_and_saveexec_b32 s12, s4
	s_cbranch_execz .LBB4_93
; %bb.81:                               ;   in Loop: Header=BB4_49 Depth=1
	s_mov_b32 s14, exec_lo
	s_mov_b32 s13, exec_lo
	v_mbcnt_lo_u32_b32 v0, s14, 0
	global_wb scope:SCOPE_DEV
	s_wait_storecnt 0x0
	s_wait_loadcnt_dscnt 0x0
	global_inv scope:SCOPE_DEV
	v_cmpx_eq_u32_e32 0, v0
	s_cbranch_execz .LBB4_83
; %bb.82:                               ;   in Loop: Header=BB4_49 Depth=1
	s_bcnt1_i32_b32 s14, s14
	s_delay_alu instid0(SALU_CYCLE_1)
	v_mov_b32_e32 v54, s14
	s_wait_loadcnt 0x0
	ds_add_u64 v0, v[54:55]
	s_trap 2
.LBB4_83:                               ;   in Loop: Header=BB4_49 Depth=1
	s_or_b32 exec_lo, exec_lo, s13
	s_trap 2
	ds_load_b64 v[10:11], v0
	s_wait_dscnt 0x0
	v_add_nc_u64_e32 v[38:39], v[38:39], v[64:65]
	s_mov_b32 s13, exec_lo
	s_delay_alu instid0(VALU_DEP_1)
	v_cmpx_lt_u64_e64 v[10:11], v[38:39]
	s_cbranch_execz .LBB4_92
; %bb.84:                               ;   in Loop: Header=BB4_49 Depth=1
	s_mov_b32 s14, 0
	s_mov_b32 s42, 0
                                        ; implicit-def: $sgpr15
                                        ; implicit-def: $sgpr41
	s_branch .LBB4_86
.LBB4_85:                               ;   in Loop: Header=BB4_86 Depth=2
	s_or_b32 exec_lo, exec_lo, s44
	s_delay_alu instid0(SALU_CYCLE_1) | instskip(NEXT) | instid1(SALU_CYCLE_1)
	s_and_b32 s43, exec_lo, s45
	s_or_b32 s14, s43, s14
	s_and_not1_b32 s15, s15, exec_lo
	s_and_b32 s43, s41, exec_lo
	s_delay_alu instid0(SALU_CYCLE_1)
	s_or_b32 s15, s15, s43
	s_and_not1_b32 exec_lo, exec_lo, s14
	s_cbranch_execz .LBB4_90
.LBB4_86:                               ;   Parent Loop BB4_49 Depth=1
                                        ; =>  This Inner Loop Header: Depth=2
	s_add_co_i32 s42, s42, 1
	s_delay_alu instid0(SALU_CYCLE_1) | instskip(SKIP_1) | instid1(SALU_CYCLE_1)
	s_cmp_lg_u32 s42, 0x2710
	s_cselect_b32 s43, -1, 0
	s_and_b32 vcc_lo, exec_lo, s43
	s_cbranch_vccz .LBB4_88
; %bb.87:                               ;   in Loop: Header=BB4_86 Depth=2
	s_mov_b32 s45, -1
	s_or_b32 s41, s41, exec_lo
	s_and_saveexec_b32 s44, s43
	s_cbranch_execz .LBB4_85
	s_branch .LBB4_89
.LBB4_88:                               ;   in Loop: Header=BB4_86 Depth=2
	s_trap 2
	ds_load_b64 v[10:11], v0
	s_and_not1_b32 s43, s43, exec_lo
	s_mov_b32 s42, 0
	s_wait_loadcnt_dscnt 0x0
	flat_load_b32 v0, v[10:11] scope:SCOPE_SYS
	s_wait_loadcnt_dscnt 0x0
	global_inv scope:SCOPE_SYS
	v_cmp_eq_u32_e32 vcc_lo, 0, v0
	s_and_b32 s44, vcc_lo, exec_lo
	s_delay_alu instid0(SALU_CYCLE_1)
	s_or_b32 s43, s43, s44
	s_mov_b32 s45, -1
	s_or_b32 s41, s41, exec_lo
	s_and_saveexec_b32 s44, s43
	s_cbranch_execz .LBB4_85
.LBB4_89:                               ;   in Loop: Header=BB4_86 Depth=2
	s_sleep 1
	s_trap 2
	ds_load_b64 v[10:11], v0
	s_wait_dscnt 0x0
	s_and_not1_b32 s41, s41, exec_lo
	v_cmp_ge_u64_e32 vcc_lo, v[10:11], v[38:39]
	s_or_not1_b32 s45, vcc_lo, exec_lo
	s_branch .LBB4_85
.LBB4_90:                               ;   in Loop: Header=BB4_49 Depth=1
	s_or_b32 exec_lo, exec_lo, s14
	s_and_saveexec_b32 s14, s15
	s_delay_alu instid0(SALU_CYCLE_1)
	s_xor_b32 s14, exec_lo, s14
	s_cbranch_execz .LBB4_92
; %bb.91:                               ;   in Loop: Header=BB4_49 Depth=1
	ds_store_b32 v0, v124
	s_trap 2
.LBB4_92:                               ;   in Loop: Header=BB4_49 Depth=1
	s_or_b32 exec_lo, exec_lo, s13
	;;#ASMSTART
	s_wakeup
	;;#ASMEND
.LBB4_93:                               ;   in Loop: Header=BB4_49 Depth=1
	s_or_b32 exec_lo, exec_lo, s12
.LBB4_94:                               ;   in Loop: Header=BB4_49 Depth=1
	s_and_not1_saveexec_b32 s11, s11
	s_cbranch_execz .LBB4_96
; %bb.95:                               ;   in Loop: Header=BB4_49 Depth=1
	global_wb scope:SCOPE_DEV
	s_wait_storecnt 0x0
	s_wait_loadcnt_dscnt 0x0
	global_inv scope:SCOPE_DEV
	s_barrier_signal -1
	s_barrier_wait -1
.LBB4_96:                               ;   in Loop: Header=BB4_49 Depth=1
	s_or_b32 exec_lo, exec_lo, s11
.LBB4_97:                               ;   in Loop: Header=BB4_49 Depth=1
	s_delay_alu instid0(SALU_CYCLE_1) | instskip(SKIP_3) | instid1(VALU_DEP_1)
	s_or_b32 exec_lo, exec_lo, s10
	s_trap 2
	ds_load_b32 v0, v0
	v_and_b32_e32 v3, 0x4000, v120
	v_cmp_ne_u32_e32 vcc_lo, 0, v3
	s_and_b32 s11, s27, vcc_lo
	s_delay_alu instid0(SALU_CYCLE_1)
	s_and_saveexec_b32 s10, s11
	s_cbranch_execz .LBB4_116
; %bb.98:                               ;   in Loop: Header=BB4_49 Depth=1
	s_and_saveexec_b32 s11, s3
	s_delay_alu instid0(SALU_CYCLE_1)
	s_xor_b32 s11, exec_lo, s11
	s_cbranch_execz .LBB4_113
; %bb.99:                               ;   in Loop: Header=BB4_49 Depth=1
	s_and_saveexec_b32 s12, s4
	s_cbranch_execz .LBB4_112
; %bb.100:                              ;   in Loop: Header=BB4_49 Depth=1
	s_mov_b32 s14, exec_lo
	s_mov_b32 s13, exec_lo
	v_mbcnt_lo_u32_b32 v3, s14, 0
	global_wb scope:SCOPE_DEV
	s_wait_storecnt 0x0
	s_wait_loadcnt_dscnt 0x0
	global_inv scope:SCOPE_DEV
	v_cmpx_eq_u32_e32 0, v3
	s_cbranch_execz .LBB4_102
; %bb.101:                              ;   in Loop: Header=BB4_49 Depth=1
	s_bcnt1_i32_b32 s14, s14
	s_delay_alu instid0(SALU_CYCLE_1)
	v_mov_b32_e32 v54, s14
	s_wait_loadcnt 0x0
	ds_add_u64 v0, v[54:55]
	s_trap 2
.LBB4_102:                              ;   in Loop: Header=BB4_49 Depth=1
	s_or_b32 exec_lo, exec_lo, s13
	s_trap 2
	ds_load_b64 v[10:11], v0
	s_wait_dscnt 0x0
	v_add_nc_u64_e32 v[38:39], v[38:39], v[64:65]
	s_mov_b32 s13, exec_lo
	s_delay_alu instid0(VALU_DEP_1)
	v_cmpx_lt_u64_e64 v[10:11], v[38:39]
	s_cbranch_execz .LBB4_111
; %bb.103:                              ;   in Loop: Header=BB4_49 Depth=1
	s_mov_b32 s14, 0
	s_mov_b32 s42, 0
                                        ; implicit-def: $sgpr15
                                        ; implicit-def: $sgpr41
	s_branch .LBB4_105
.LBB4_104:                              ;   in Loop: Header=BB4_105 Depth=2
	s_or_b32 exec_lo, exec_lo, s44
	s_delay_alu instid0(SALU_CYCLE_1) | instskip(NEXT) | instid1(SALU_CYCLE_1)
	s_and_b32 s43, exec_lo, s45
	s_or_b32 s14, s43, s14
	s_and_not1_b32 s15, s15, exec_lo
	s_and_b32 s43, s41, exec_lo
	s_delay_alu instid0(SALU_CYCLE_1)
	s_or_b32 s15, s15, s43
	s_and_not1_b32 exec_lo, exec_lo, s14
	s_cbranch_execz .LBB4_109
.LBB4_105:                              ;   Parent Loop BB4_49 Depth=1
                                        ; =>  This Inner Loop Header: Depth=2
	s_add_co_i32 s42, s42, 1
	s_delay_alu instid0(SALU_CYCLE_1) | instskip(SKIP_1) | instid1(SALU_CYCLE_1)
	s_cmp_lg_u32 s42, 0x2710
	s_cselect_b32 s43, -1, 0
	s_and_b32 vcc_lo, exec_lo, s43
	s_cbranch_vccz .LBB4_107
; %bb.106:                              ;   in Loop: Header=BB4_105 Depth=2
	s_mov_b32 s45, -1
	s_or_b32 s41, s41, exec_lo
	s_and_saveexec_b32 s44, s43
	s_cbranch_execz .LBB4_104
	s_branch .LBB4_108
.LBB4_107:                              ;   in Loop: Header=BB4_105 Depth=2
	s_trap 2
	ds_load_b64 v[10:11], v0
	s_and_not1_b32 s43, s43, exec_lo
	s_mov_b32 s42, 0
	s_wait_loadcnt_dscnt 0x0
	flat_load_b32 v3, v[10:11] scope:SCOPE_SYS
	s_wait_loadcnt_dscnt 0x0
	global_inv scope:SCOPE_SYS
	v_cmp_eq_u32_e32 vcc_lo, 0, v3
	s_and_b32 s44, vcc_lo, exec_lo
	s_delay_alu instid0(SALU_CYCLE_1)
	s_or_b32 s43, s43, s44
	s_mov_b32 s45, -1
	s_or_b32 s41, s41, exec_lo
	s_and_saveexec_b32 s44, s43
	s_cbranch_execz .LBB4_104
.LBB4_108:                              ;   in Loop: Header=BB4_105 Depth=2
	s_sleep 1
	s_trap 2
	ds_load_b64 v[10:11], v0
	s_wait_dscnt 0x0
	s_and_not1_b32 s41, s41, exec_lo
	v_cmp_ge_u64_e32 vcc_lo, v[10:11], v[38:39]
	s_or_not1_b32 s45, vcc_lo, exec_lo
	s_branch .LBB4_104
.LBB4_109:                              ;   in Loop: Header=BB4_49 Depth=1
	s_or_b32 exec_lo, exec_lo, s14
	s_and_saveexec_b32 s14, s15
	s_delay_alu instid0(SALU_CYCLE_1)
	s_xor_b32 s14, exec_lo, s14
	s_cbranch_execz .LBB4_111
; %bb.110:                              ;   in Loop: Header=BB4_49 Depth=1
	ds_store_b32 v0, v124
	s_trap 2
.LBB4_111:                              ;   in Loop: Header=BB4_49 Depth=1
	s_or_b32 exec_lo, exec_lo, s13
	;;#ASMSTART
	s_wakeup
	;;#ASMEND
.LBB4_112:                              ;   in Loop: Header=BB4_49 Depth=1
	s_or_b32 exec_lo, exec_lo, s12
.LBB4_113:                              ;   in Loop: Header=BB4_49 Depth=1
	s_and_not1_saveexec_b32 s11, s11
	s_cbranch_execz .LBB4_115
; %bb.114:                              ;   in Loop: Header=BB4_49 Depth=1
	global_wb scope:SCOPE_DEV
	s_wait_storecnt 0x0
	s_wait_loadcnt_dscnt 0x0
	global_inv scope:SCOPE_DEV
	s_barrier_signal -1
	s_barrier_wait -1
.LBB4_115:                              ;   in Loop: Header=BB4_49 Depth=1
	s_or_b32 exec_lo, exec_lo, s11
.LBB4_116:                              ;   in Loop: Header=BB4_49 Depth=1
	s_delay_alu instid0(SALU_CYCLE_1)
	s_or_b32 exec_lo, exec_lo, s10
	s_trap 2
	s_wait_dscnt 0x0
	ds_load_b64 v[98:99], v0
	s_wait_dscnt 0x0
	v_cmp_eq_u64_e32 vcc_lo, 0, v[98:99]
	s_cbranch_vccnz .LBB4_124
; %bb.117:                              ;   in Loop: Header=BB4_49 Depth=1
	s_trap 2
	ds_load_b64 v[100:101], v0
	s_wait_dscnt 0x0
	v_cmp_eq_u64_e32 vcc_lo, 0, v[100:101]
	s_cbranch_vccnz .LBB4_124
; %bb.118:                              ;   in Loop: Header=BB4_49 Depth=1
	s_trap 2
	ds_load_b64 v[10:11], v0
	s_mov_b32 s10, -1
	s_wait_dscnt 0x0
	v_readfirstlane_b32 s41, v10
	s_and_saveexec_b32 s11, s5
	s_cbranch_execz .LBB4_120
; %bb.119:                              ;   in Loop: Header=BB4_49 Depth=1
	ds_load_b32 v3, v0 offset:720
	s_wait_dscnt 0x0
	v_and_b32_e32 v3, 15, v3
	s_delay_alu instid0(VALU_DEP_1)
	v_cmp_eq_u32_e32 vcc_lo, 0, v3
	s_or_not1_b32 s10, vcc_lo, exec_lo
.LBB4_120:                              ;   in Loop: Header=BB4_49 Depth=1
	s_or_b32 exec_lo, exec_lo, s11
	s_and_saveexec_b32 s11, s6
	s_cbranch_execz .LBB4_122
; %bb.121:                              ;   in Loop: Header=BB4_49 Depth=1
	ds_load_b32 v3, v0 offset:784
	s_wait_dscnt 0x0
	v_and_b32_e32 v3, 15, v3
	s_delay_alu instid0(VALU_DEP_1) | instskip(SKIP_3) | instid1(SALU_CYCLE_1)
	v_cmp_eq_u32_e32 vcc_lo, 0, v3
	s_and_b32 s12, s10, vcc_lo
	s_and_not1_b32 s10, s10, exec_lo
	s_and_b32 s12, s12, exec_lo
	s_or_b32 s10, s10, s12
.LBB4_122:                              ;   in Loop: Header=BB4_49 Depth=1
	s_or_b32 exec_lo, exec_lo, s11
	v_cmp_eq_u32_e32 vcc_lo, 0, v0
	s_xor_b32 s10, s10, -1
	v_mov_b32_e32 v30, 0
	v_cndmask_b32_e64 v3, 0, 1, s10
	s_mov_b32 s10, -1
	v_dual_cndmask_b32 v123, 0, v96 :: v_dual_mov_b32 v0, v121
	s_delay_alu instid0(VALU_DEP_2) | instskip(NEXT) | instid1(VALU_DEP_2)
	v_cmp_ne_u32_e32 vcc_lo, 0, v3
	v_mov_b32_e32 v87, v123
	s_cbranch_vccz .LBB4_125
; %bb.123:                              ;   in Loop: Header=BB4_49 Depth=1
	s_and_saveexec_b32 s13, s10
	s_cbranch_execnz .LBB4_3080
	s_branch .LBB4_4244
.LBB4_124:                              ;   in Loop: Header=BB4_49 Depth=1
	s_mov_b32 s10, 0
	s_and_saveexec_b32 s11, s2
	s_cbranch_execnz .LBB4_4245
	s_branch .LBB4_4263
.LBB4_125:                              ;   in Loop: Header=BB4_49 Depth=1
	v_lshrrev_b32_e32 v0, 10, v123
	s_mov_b32 s11, exec_lo
	s_delay_alu instid0(VALU_DEP_1) | instskip(NEXT) | instid1(VALU_DEP_1)
	v_sub_nc_u32_e32 v97, v0, v66
	v_cmpx_lt_i32_e32 0, v97
	s_cbranch_execz .LBB4_2177
; %bb.126:                              ;   in Loop: Header=BB4_49 Depth=1
	s_trap 2
	scratch_load_b64 v[12:13], off, s33 offset:196 ; 8-byte Folded Reload
	ds_load_b64 v[10:11], v0
	s_bitcmp1_b32 s41, 0
	s_mov_b32 s12, 0
	s_cselect_b32 s13, -1, 0
	s_wait_loadcnt 0x0
	v_add_nc_u64_e32 v[102:103], v[98:99], v[12:13]
	s_wait_dscnt 0x0
	v_add_nc_u64_e32 v[112:113], v[10:11], v[12:13]
	v_add_nc_u64_e32 v[114:115], v[100:101], v[12:13]
	s_branch .LBB4_129
.LBB4_127:                              ;   in Loop: Header=BB4_129 Depth=2
	s_or_b32 exec_lo, exec_lo, s14
.LBB4_128:                              ;   in Loop: Header=BB4_129 Depth=2
	s_delay_alu instid0(SALU_CYCLE_1)
	s_or_b32 exec_lo, exec_lo, s10
	v_lshl_or_b32 v11, v40, 8, v46
	v_dual_lshlrev_b32 v12, 16, v118 :: v_dual_lshlrev_b32 v16, 16, v44
	v_dual_lshlrev_b32 v13, 24, v30 :: v_dual_lshlrev_b32 v17, 24, v45
	v_lshl_or_b32 v14, v43, 8, v42
	v_lshl_or_b32 v19, v41, 8, v119
	v_dual_lshlrev_b32 v30, 16, v47 :: v_dual_lshlrev_b32 v54, 24, v56
	s_delay_alu instid0(VALU_DEP_4) | instskip(NEXT) | instid1(VALU_DEP_4)
	v_or3_b32 v13, v11, v12, v13
	v_or3_b32 v12, v14, v16, v17
	v_dual_lshlrev_b32 v0, 24, v0 :: v_dual_lshlrev_b32 v11, 16, v117
	v_lshl_or_b32 v16, v116, 8, v57
	v_or3_b32 v14, v19, v30, v54
	v_lshl_or_b32 v17, v22, 8, v58
	v_dual_lshlrev_b32 v19, 16, v21 :: v_dual_lshlrev_b32 v20, 24, v20
	v_lshl_or_b32 v3, v24, 8, v3
	v_dual_lshlrev_b32 v21, 16, v25 :: v_dual_lshlrev_b32 v22, 24, v87
	;; [unrolled: 2-line block ×3, first 2 shown]
	v_dual_lshlrev_b32 v10, 24, v10 :: v_dual_lshlrev_b32 v30, 16, v15
	v_lshl_or_b32 v54, v18, 8, v62
	v_or3_b32 v15, v16, v11, v0
	v_sub_nc_u32_e32 v97, v97, v64
	v_or3_b32 v17, v17, v19, v20
	v_or3_b32 v16, v3, v21, v22
	;; [unrolled: 1-line block ×4, first 2 shown]
	s_clause 0x1
	global_store_b128 v[114:115], v[12:15], off th:TH_STORE_NT
	global_store_b128 v[114:115], v[16:19], off offset:512 th:TH_STORE_NT
	v_add_nc_u64_e32 v[102:103], v[102:103], v[68:69]
	v_add_nc_u64_e32 v[112:113], v[112:113], v[68:69]
	v_cmp_gt_i32_e32 vcc_lo, 1, v97
	s_wait_xcnt 0x0
	v_add_nc_u64_e32 v[114:115], v[114:115], v[68:69]
	s_or_b32 s12, vcc_lo, s12
	s_delay_alu instid0(SALU_CYCLE_1)
	s_and_not1_b32 exec_lo, exec_lo, s12
	s_cbranch_execz .LBB4_2176
.LBB4_129:                              ;   Parent Loop BB4_49 Depth=1
                                        ; =>  This Inner Loop Header: Depth=2
	global_load_b128 v[22:25], v[102:103], off th:TH_LOAD_NT
	global_load_b128 v[18:21], v[112:113], off th:TH_LOAD_NT
	global_load_b128 v[14:17], v[102:103], off offset:512 th:TH_LOAD_NT
	global_load_b128 v[10:13], v[112:113], off offset:512 th:TH_LOAD_NT
	s_and_b32 vcc_lo, exec_lo, s13
	s_mov_b32 s14, -1
	s_wait_loadcnt 0x3
	v_and_b32_e32 v30, 0xff, v22
	v_bfe_i32 v3, v22, 0, 8
	s_wait_loadcnt 0x2
	v_bfe_i32 v0, v18, 0, 8
	s_delay_alu instid0(VALU_DEP_3)
	v_cmp_ne_u16_e64 s10, 0, v30
                                        ; implicit-def: $vgpr30
	s_cbranch_vccz .LBB4_151
; %bb.130:                              ;   in Loop: Header=BB4_129 Depth=2
	v_dual_mov_b32 v54, 0 :: v_dual_mov_b32 v30, 0
	s_wait_xcnt 0x0
	s_and_saveexec_b32 s14, s10
	s_cbranch_execz .LBB4_140
; %bb.131:                              ;   in Loop: Header=BB4_129 Depth=2
	v_bfrev_b32_e32 v30, 1
	s_mov_b32 s15, exec_lo
	v_cmpx_ne_u16_e32 0xff80, v3
	s_cbranch_execz .LBB4_139
; %bb.132:                              ;   in Loop: Header=BB4_129 Depth=2
	v_and_b32_e32 v30, 0x7c, v22
	v_and_b32_e32 v87, 3, v22
	s_delay_alu instid0(VALU_DEP_2) | instskip(SKIP_1) | instid1(SALU_CYCLE_1)
	v_cmp_ne_u32_e32 vcc_lo, 0x7c, v30
                                        ; implicit-def: $vgpr30
	s_and_saveexec_b32 s42, vcc_lo
	s_xor_b32 s42, exec_lo, s42
	s_cbranch_execz .LBB4_136
; %bb.133:                              ;   in Loop: Header=BB4_129 Depth=2
	v_bfe_u32 v30, v22, 2, 5
	s_mov_b32 s43, exec_lo
	s_delay_alu instid0(VALU_DEP_1)
	v_cmpx_eq_u32_e32 0, v30
; %bb.134:                              ;   in Loop: Header=BB4_129 Depth=2
	v_clz_i32_u32_e32 v30, v87
	s_delay_alu instid0(VALU_DEP_1) | instskip(NEXT) | instid1(VALU_DEP_1)
	v_min_u32_e32 v30, 32, v30
	v_subrev_nc_u32_e32 v82, 29, v30
	s_delay_alu instid0(VALU_DEP_1) | instskip(NEXT) | instid1(VALU_DEP_1)
	v_lshlrev_b64_e32 v[116:117], v82, v[22:23]
	v_dual_sub_nc_u32 v30, 30, v30 :: v_dual_bitop2_b32 v87, 3, v116 bitop3:0x40
; %bb.135:                              ;   in Loop: Header=BB4_129 Depth=2
	s_or_b32 exec_lo, exec_lo, s43
	v_lshlrev_b32_e32 v82, 24, v22
	s_delay_alu instid0(VALU_DEP_1) | instskip(NEXT) | instid1(VALU_DEP_1)
	v_and_b32_e32 v82, 0x80000000, v82
	v_lshl_add_u32 v30, v30, 23, v82
	s_delay_alu instid0(VALU_DEP_1) | instskip(NEXT) | instid1(VALU_DEP_1)
	v_lshl_or_b32 v30, v87, 21, v30
                                        ; implicit-def: $vgpr87
	v_add_nc_u32_e32 v30, 0x38000000, v30
.LBB4_136:                              ;   in Loop: Header=BB4_129 Depth=2
	s_and_not1_saveexec_b32 s42, s42
; %bb.137:                              ;   in Loop: Header=BB4_129 Depth=2
	v_cmp_lt_i16_e32 vcc_lo, -1, v3
	v_cndmask_b32_e32 v30, 0xff800000, v126, vcc_lo
	v_cmp_eq_u32_e32 vcc_lo, 0, v87
	s_delay_alu instid0(VALU_DEP_2)
	v_cndmask_b32_e32 v30, 0x7f800001, v30, vcc_lo
; %bb.138:                              ;   in Loop: Header=BB4_129 Depth=2
	s_or_b32 exec_lo, exec_lo, s42
.LBB4_139:                              ;   in Loop: Header=BB4_129 Depth=2
	s_delay_alu instid0(SALU_CYCLE_1)
	s_or_b32 exec_lo, exec_lo, s15
.LBB4_140:                              ;   in Loop: Header=BB4_129 Depth=2
	s_delay_alu instid0(SALU_CYCLE_1) | instskip(NEXT) | instid1(SALU_CYCLE_1)
	s_or_b32 exec_lo, exec_lo, s14
	s_mov_b32 s14, exec_lo
	v_cmpx_ne_u16_e32 0, v0
	s_cbranch_execz .LBB4_150
; %bb.141:                              ;   in Loop: Header=BB4_129 Depth=2
	v_bfrev_b32_e32 v54, 1
	s_mov_b32 s15, exec_lo
	v_cmpx_ne_u16_e32 0xff80, v0
	s_cbranch_execz .LBB4_149
; %bb.142:                              ;   in Loop: Header=BB4_129 Depth=2
	v_and_b32_e32 v54, 0x7c, v18
	v_and_b32_e32 v87, 3, v18
	s_delay_alu instid0(VALU_DEP_2) | instskip(SKIP_1) | instid1(SALU_CYCLE_1)
	v_cmp_ne_u32_e32 vcc_lo, 0x7c, v54
                                        ; implicit-def: $vgpr54
	s_and_saveexec_b32 s42, vcc_lo
	s_xor_b32 s42, exec_lo, s42
	s_cbranch_execz .LBB4_146
; %bb.143:                              ;   in Loop: Header=BB4_129 Depth=2
	v_bfe_u32 v54, v18, 2, 5
	s_mov_b32 s43, exec_lo
	s_delay_alu instid0(VALU_DEP_1)
	v_cmpx_eq_u32_e32 0, v54
; %bb.144:                              ;   in Loop: Header=BB4_129 Depth=2
	v_clz_i32_u32_e32 v54, v87
	s_delay_alu instid0(VALU_DEP_1) | instskip(NEXT) | instid1(VALU_DEP_1)
	v_min_u32_e32 v54, 32, v54
	v_subrev_nc_u32_e32 v82, 29, v54
	s_delay_alu instid0(VALU_DEP_1) | instskip(NEXT) | instid1(VALU_DEP_1)
	v_lshlrev_b64_e32 v[116:117], v82, v[18:19]
	v_dual_sub_nc_u32 v54, 30, v54 :: v_dual_bitop2_b32 v87, 3, v116 bitop3:0x40
; %bb.145:                              ;   in Loop: Header=BB4_129 Depth=2
	s_or_b32 exec_lo, exec_lo, s43
	v_lshlrev_b32_e32 v82, 24, v18
	s_delay_alu instid0(VALU_DEP_1) | instskip(NEXT) | instid1(VALU_DEP_1)
	v_and_b32_e32 v82, 0x80000000, v82
	v_lshl_add_u32 v54, v54, 23, v82
	s_delay_alu instid0(VALU_DEP_1) | instskip(NEXT) | instid1(VALU_DEP_1)
	v_lshl_or_b32 v54, v87, 21, v54
                                        ; implicit-def: $vgpr87
	v_add_nc_u32_e32 v54, 0x38000000, v54
.LBB4_146:                              ;   in Loop: Header=BB4_129 Depth=2
	s_and_not1_saveexec_b32 s42, s42
; %bb.147:                              ;   in Loop: Header=BB4_129 Depth=2
	v_cmp_lt_i16_e32 vcc_lo, -1, v0
	v_cndmask_b32_e32 v54, 0xff800000, v126, vcc_lo
	v_cmp_eq_u32_e32 vcc_lo, 0, v87
	s_delay_alu instid0(VALU_DEP_2)
	v_cndmask_b32_e32 v54, 0x7f800001, v54, vcc_lo
; %bb.148:                              ;   in Loop: Header=BB4_129 Depth=2
	s_or_b32 exec_lo, exec_lo, s42
.LBB4_149:                              ;   in Loop: Header=BB4_129 Depth=2
	s_delay_alu instid0(SALU_CYCLE_1)
	s_or_b32 exec_lo, exec_lo, s15
.LBB4_150:                              ;   in Loop: Header=BB4_129 Depth=2
	s_delay_alu instid0(SALU_CYCLE_1) | instskip(NEXT) | instid1(VALU_DEP_1)
	s_or_b32 exec_lo, exec_lo, s14
	v_max_num_f32_e32 v54, v54, v54
	v_max_num_f32_e32 v30, v30, v30
	s_mov_b32 s14, 0
	s_delay_alu instid0(VALU_DEP_1)
	v_max_num_f32_e32 v30, v30, v54
.LBB4_151:                              ;   in Loop: Header=BB4_129 Depth=2
	s_and_b32 vcc_lo, exec_lo, s14
	s_cbranch_vccz .LBB4_173
; %bb.152:                              ;   in Loop: Header=BB4_129 Depth=2
	v_dual_mov_b32 v54, 0 :: v_dual_mov_b32 v30, 0
	s_wait_xcnt 0x0
	s_and_saveexec_b32 s14, s10
	s_cbranch_execz .LBB4_162
; %bb.153:                              ;   in Loop: Header=BB4_129 Depth=2
	v_bfrev_b32_e32 v30, 1
	s_mov_b32 s10, exec_lo
	v_cmpx_ne_u16_e32 0xff80, v3
	s_cbranch_execz .LBB4_161
; %bb.154:                              ;   in Loop: Header=BB4_129 Depth=2
	v_and_b32_e32 v30, 0x7c, v22
	v_and_b32_e32 v87, 3, v22
	s_delay_alu instid0(VALU_DEP_2) | instskip(SKIP_1) | instid1(SALU_CYCLE_1)
	v_cmp_ne_u32_e32 vcc_lo, 0x7c, v30
                                        ; implicit-def: $vgpr30
	s_and_saveexec_b32 s15, vcc_lo
	s_xor_b32 s15, exec_lo, s15
	s_cbranch_execz .LBB4_158
; %bb.155:                              ;   in Loop: Header=BB4_129 Depth=2
	v_bfe_u32 v3, v22, 2, 5
	s_mov_b32 s42, exec_lo
	s_delay_alu instid0(VALU_DEP_1)
	v_cmpx_eq_u32_e32 0, v3
; %bb.156:                              ;   in Loop: Header=BB4_129 Depth=2
	v_clz_i32_u32_e32 v3, v87
	s_delay_alu instid0(VALU_DEP_1) | instskip(NEXT) | instid1(VALU_DEP_1)
	v_min_u32_e32 v3, 32, v3
	v_subrev_nc_u32_e32 v30, 29, v3
	s_delay_alu instid0(VALU_DEP_1) | instskip(NEXT) | instid1(VALU_DEP_1)
	v_lshlrev_b64_e32 v[116:117], v30, v[22:23]
	v_dual_sub_nc_u32 v3, 30, v3 :: v_dual_bitop2_b32 v87, 3, v116 bitop3:0x40
; %bb.157:                              ;   in Loop: Header=BB4_129 Depth=2
	s_or_b32 exec_lo, exec_lo, s42
	v_lshlrev_b32_e32 v30, 24, v22
	s_delay_alu instid0(VALU_DEP_1) | instskip(NEXT) | instid1(VALU_DEP_1)
	v_and_b32_e32 v30, 0x80000000, v30
	v_lshl_add_u32 v3, v3, 23, v30
	s_delay_alu instid0(VALU_DEP_1) | instskip(NEXT) | instid1(VALU_DEP_1)
	v_lshl_or_b32 v3, v87, 21, v3
                                        ; implicit-def: $vgpr87
	v_add_nc_u32_e32 v30, 0x38000000, v3
                                        ; implicit-def: $vgpr3
.LBB4_158:                              ;   in Loop: Header=BB4_129 Depth=2
	s_and_not1_saveexec_b32 s15, s15
; %bb.159:                              ;   in Loop: Header=BB4_129 Depth=2
	v_cmp_lt_i16_e32 vcc_lo, -1, v3
	v_cndmask_b32_e32 v3, 0xff800000, v126, vcc_lo
	v_cmp_eq_u32_e32 vcc_lo, 0, v87
	s_delay_alu instid0(VALU_DEP_2)
	v_cndmask_b32_e32 v30, 0x7f800001, v3, vcc_lo
; %bb.160:                              ;   in Loop: Header=BB4_129 Depth=2
	s_or_b32 exec_lo, exec_lo, s15
.LBB4_161:                              ;   in Loop: Header=BB4_129 Depth=2
	s_delay_alu instid0(SALU_CYCLE_1)
	s_or_b32 exec_lo, exec_lo, s10
.LBB4_162:                              ;   in Loop: Header=BB4_129 Depth=2
	s_delay_alu instid0(SALU_CYCLE_1) | instskip(NEXT) | instid1(SALU_CYCLE_1)
	s_or_b32 exec_lo, exec_lo, s14
	s_mov_b32 s10, exec_lo
	v_cmpx_ne_u16_e32 0, v0
	s_cbranch_execz .LBB4_172
; %bb.163:                              ;   in Loop: Header=BB4_129 Depth=2
	v_bfrev_b32_e32 v54, 1
	s_mov_b32 s14, exec_lo
	v_cmpx_ne_u16_e32 0xff80, v0
	s_cbranch_execz .LBB4_171
; %bb.164:                              ;   in Loop: Header=BB4_129 Depth=2
	v_and_b32_e32 v54, 0x7c, v18
	v_and_b32_e32 v3, 3, v18
	s_delay_alu instid0(VALU_DEP_2) | instskip(SKIP_1) | instid1(SALU_CYCLE_1)
	v_cmp_ne_u32_e32 vcc_lo, 0x7c, v54
                                        ; implicit-def: $vgpr54
	s_and_saveexec_b32 s15, vcc_lo
	s_xor_b32 s15, exec_lo, s15
	s_cbranch_execz .LBB4_168
; %bb.165:                              ;   in Loop: Header=BB4_129 Depth=2
	v_bfe_u32 v0, v18, 2, 5
	s_mov_b32 s42, exec_lo
	s_delay_alu instid0(VALU_DEP_1)
	v_cmpx_eq_u32_e32 0, v0
; %bb.166:                              ;   in Loop: Header=BB4_129 Depth=2
	v_clz_i32_u32_e32 v0, v3
	s_delay_alu instid0(VALU_DEP_1) | instskip(NEXT) | instid1(VALU_DEP_1)
	v_min_u32_e32 v0, 32, v0
	v_subrev_nc_u32_e32 v3, 29, v0
	v_sub_nc_u32_e32 v0, 30, v0
	s_delay_alu instid0(VALU_DEP_2) | instskip(NEXT) | instid1(VALU_DEP_1)
	v_lshlrev_b64_e32 v[116:117], v3, v[18:19]
	v_and_b32_e32 v3, 3, v116
; %bb.167:                              ;   in Loop: Header=BB4_129 Depth=2
	s_or_b32 exec_lo, exec_lo, s42
	v_lshlrev_b32_e32 v54, 24, v18
	s_delay_alu instid0(VALU_DEP_1) | instskip(NEXT) | instid1(VALU_DEP_1)
	v_and_b32_e32 v54, 0x80000000, v54
	v_lshl_add_u32 v0, v0, 23, v54
	s_delay_alu instid0(VALU_DEP_1) | instskip(NEXT) | instid1(VALU_DEP_1)
	v_lshl_or_b32 v0, v3, 21, v0
                                        ; implicit-def: $vgpr3
	v_add_nc_u32_e32 v54, 0x38000000, v0
                                        ; implicit-def: $vgpr0
.LBB4_168:                              ;   in Loop: Header=BB4_129 Depth=2
	s_and_not1_saveexec_b32 s15, s15
; %bb.169:                              ;   in Loop: Header=BB4_129 Depth=2
	v_cmp_lt_i16_e32 vcc_lo, -1, v0
	v_cndmask_b32_e32 v0, 0xff800000, v126, vcc_lo
	v_cmp_eq_u32_e32 vcc_lo, 0, v3
	s_delay_alu instid0(VALU_DEP_2)
	v_cndmask_b32_e32 v54, 0x7f800001, v0, vcc_lo
; %bb.170:                              ;   in Loop: Header=BB4_129 Depth=2
	s_or_b32 exec_lo, exec_lo, s15
.LBB4_171:                              ;   in Loop: Header=BB4_129 Depth=2
	s_delay_alu instid0(SALU_CYCLE_1)
	s_or_b32 exec_lo, exec_lo, s14
.LBB4_172:                              ;   in Loop: Header=BB4_129 Depth=2
	s_delay_alu instid0(SALU_CYCLE_1) | instskip(NEXT) | instid1(VALU_DEP_1)
	s_or_b32 exec_lo, exec_lo, s10
	v_max_num_f32_e32 v0, v54, v54
	v_max_num_f32_e32 v3, v30, v30
	s_delay_alu instid0(VALU_DEP_1)
	v_min_num_f32_e32 v30, v3, v0
.LBB4_173:                              ;   in Loop: Header=BB4_129 Depth=2
	s_delay_alu instid0(VALU_DEP_1) | instskip(SKIP_4) | instid1(VALU_DEP_2)
	v_and_b32_e32 v116, 0x7f800000, v30
	v_dual_mov_b32 v117, v55 :: v_dual_lshrrev_b32 v0, 24, v30
	v_and_b32_e32 v54, 0x7fffff, v30
                                        ; implicit-def: $vgpr42
	s_mov_b32 s10, exec_lo
	s_wait_xcnt 0x0
	v_cmpx_ne_u64_e32 0x7f800000, v[116:117]
	s_xor_b32 s14, exec_lo, s10
	s_cbranch_execz .LBB4_187
; %bb.174:                              ;   in Loop: Header=BB4_129 Depth=2
	v_and_b32_e32 v116, 0x7fffffff, v30
	v_mov_b32_e32 v117, v55
	v_and_b32_e32 v0, 0x80, v0
                                        ; implicit-def: $vgpr42
	s_mov_b32 s10, exec_lo
	s_delay_alu instid0(VALU_DEP_2)
	v_cmpx_gt_u64_e32 0x47600001, v[116:117]
	s_xor_b32 s15, exec_lo, s10
	s_cbranch_execz .LBB4_184
; %bb.175:                              ;   in Loop: Header=BB4_129 Depth=2
	v_mov_b32_e32 v42, 0
	s_mov_b32 s42, exec_lo
	v_cmpx_ne_u32_e32 0, v30
	s_cbranch_execz .LBB4_183
; %bb.176:                              ;   in Loop: Header=BB4_129 Depth=2
	v_bfe_u32 v3, v30, 23, 8
	v_or_b32_e32 v83, 0x800000, v54
	s_delay_alu instid0(VALU_DEP_2) | instskip(SKIP_1) | instid1(VALU_DEP_2)
	v_sub_nc_u32_e32 v30, 0x71, v3
	v_cmp_gt_u32_e32 vcc_lo, 0x72, v3
	v_cndmask_b32_e32 v30, 0, v30, vcc_lo
	v_cmp_eq_u32_e32 vcc_lo, 0, v3
	s_delay_alu instid0(VALU_DEP_2) | instskip(SKIP_1) | instid1(VALU_DEP_2)
	v_cndmask_b32_e64 v30, v30, 0x70, vcc_lo
	v_cndmask_b32_e32 v54, v83, v54, vcc_lo
	v_add_nc_u32_e32 v82, 21, v30
	s_delay_alu instid0(VALU_DEP_1) | instskip(SKIP_1) | instid1(VALU_DEP_1)
	v_lshlrev_b64_e64 v[116:117], v82, -1
	v_add_nc_u32_e32 v82, 20, v30
	v_lshlrev_b64_e64 v[118:119], v82, 1
	s_delay_alu instid0(VALU_DEP_3) | instskip(NEXT) | instid1(VALU_DEP_4)
	v_bfi_b32 v41, v117, 0, 0
	v_bfi_b32 v40, v116, 0, v54
	v_lshrrev_b64 v[116:117], v30, v[54:55]
	s_delay_alu instid0(VALU_DEP_2) | instskip(NEXT) | instid1(VALU_DEP_2)
	v_cmp_eq_u64_e64 s10, v[40:41], v[118:119]
	v_mov_b64_e32 v[118:119], v[116:117]
	s_and_saveexec_b32 s43, s10
; %bb.177:                              ;   in Loop: Header=BB4_129 Depth=2
	v_bfe_u32 v54, v116, 21, 1
	s_delay_alu instid0(VALU_DEP_1) | instskip(NEXT) | instid1(VALU_DEP_1)
	v_add_nc_u64_e32 v[118:119], v[116:117], v[54:55]
	v_add_nc_u64_e32 v[118:119], -1, v[118:119]
; %bb.178:                              ;   in Loop: Header=BB4_129 Depth=2
	s_or_b32 exec_lo, exec_lo, s43
	v_add_nc_u32_e32 v3, 0xffffff81, v3
	v_lshrrev_b32_e32 v54, 23, v116
	s_mov_b32 s10, exec_lo
	s_delay_alu instid0(VALU_DEP_2) | instskip(NEXT) | instid1(VALU_DEP_1)
	v_cndmask_b32_e64 v3, v3, 0xffffff82, vcc_lo
	v_add3_u32 v30, v30, v3, v54
	v_and_b32_e32 v3, 0x1fffff, v118
	s_delay_alu instid0(VALU_DEP_1) | instskip(NEXT) | instid1(VALU_DEP_1)
	v_dual_add_nc_u32 v87, 14, v30 :: v_dual_add_nc_u32 v54, v3, v116
                                        ; implicit-def: $vgpr116_vgpr117
                                        ; implicit-def: $vgpr3
	v_cmpx_ne_u32_e32 0, v87
	s_xor_b32 s10, exec_lo, s10
; %bb.179:                              ;   in Loop: Header=BB4_129 Depth=2
	s_delay_alu instid0(VALU_DEP_2) | instskip(SKIP_2) | instid1(VALU_DEP_2)
	v_cmp_lt_u64_e32 vcc_lo, 0xffffff, v[54:55]
	v_add_nc_u32_e32 v3, 15, v30
	v_cndmask_b32_e64 v30, 0, 1, vcc_lo
	v_cndmask_b32_e32 v3, v87, v3, vcc_lo
	s_delay_alu instid0(VALU_DEP_2)
	v_lshrrev_b64 v[116:117], v30, v[54:55]
; %bb.180:                              ;   in Loop: Header=BB4_129 Depth=2
	s_and_not1_saveexec_b32 s10, s10
; %bb.181:                              ;   in Loop: Header=BB4_129 Depth=2
	v_mov_b64_e32 v[116:117], v[54:55]
	v_bfe_u32 v3, v54, 23, 1
; %bb.182:                              ;   in Loop: Header=BB4_129 Depth=2
	s_or_b32 exec_lo, exec_lo, s10
	s_delay_alu instid0(VALU_DEP_2) | instskip(NEXT) | instid1(VALU_DEP_2)
	v_lshrrev_b64 v[116:117], 21, v[116:117]
	v_cmp_gt_i32_e32 vcc_lo, 32, v3
	v_min_i32_e32 v30, 31, v3
	v_cmp_eq_u32_e64 s10, 0, v3
	s_delay_alu instid0(VALU_DEP_2) | instskip(SKIP_1) | instid1(VALU_DEP_2)
	v_dual_cndmask_b32 v117, 0, v117 :: v_dual_lshlrev_b32 v30, 2, v30
	v_cndmask_b32_e32 v116, 3, v116, vcc_lo
	v_and_b32_e32 v30, 0xfc, v30
	s_delay_alu instid0(VALU_DEP_2) | instskip(NEXT) | instid1(VALU_DEP_2)
	v_cmp_eq_u64_e32 vcc_lo, 0, v[116:117]
	v_and_or_b32 v3, v116, 3, v30
	s_and_b32 s10, s10, vcc_lo
	s_delay_alu instid0(VALU_DEP_1) | instid1(SALU_CYCLE_1)
	v_cndmask_b32_e64 v3, v3, 0, s10
	s_delay_alu instid0(VALU_DEP_1)
	v_or_b32_e32 v42, v3, v0
.LBB4_183:                              ;   in Loop: Header=BB4_129 Depth=2
	s_or_b32 exec_lo, exec_lo, s42
                                        ; implicit-def: $vgpr0
.LBB4_184:                              ;   in Loop: Header=BB4_129 Depth=2
	s_and_not1_saveexec_b32 s10, s15
; %bb.185:                              ;   in Loop: Header=BB4_129 Depth=2
	v_or_b32_e32 v42, 0x7b, v0
; %bb.186:                              ;   in Loop: Header=BB4_129 Depth=2
	s_or_b32 exec_lo, exec_lo, s10
                                        ; implicit-def: $vgpr30
                                        ; implicit-def: $vgpr0
.LBB4_187:                              ;   in Loop: Header=BB4_129 Depth=2
	s_and_not1_saveexec_b32 s10, s14
	s_cbranch_execz .LBB4_193
; %bb.188:                              ;   in Loop: Header=BB4_129 Depth=2
	s_mov_b32 s14, exec_lo
                                        ; implicit-def: $vgpr42
	v_cmpx_ne_u64_e32 0, v[54:55]
	s_xor_b32 s14, exec_lo, s14
; %bb.189:                              ;   in Loop: Header=BB4_129 Depth=2
	v_or_b32_e32 v42, 0x7f, v0
                                        ; implicit-def: $vgpr30
; %bb.190:                              ;   in Loop: Header=BB4_129 Depth=2
	s_and_not1_saveexec_b32 s14, s14
; %bb.191:                              ;   in Loop: Header=BB4_129 Depth=2
	v_cmp_lt_i32_e32 vcc_lo, -1, v30
	v_cndmask_b32_e32 v42, 0xfc, v122, vcc_lo
; %bb.192:                              ;   in Loop: Header=BB4_129 Depth=2
	s_or_b32 exec_lo, exec_lo, s14
.LBB4_193:                              ;   in Loop: Header=BB4_129 Depth=2
	s_delay_alu instid0(SALU_CYCLE_1) | instskip(SKIP_4) | instid1(VALU_DEP_2)
	s_or_b32 exec_lo, exec_lo, s10
	v_lshrrev_b16 v54, 8, v22
	v_lshrrev_b16 v116, 8, v18
	s_and_b32 vcc_lo, exec_lo, s13
	s_mov_b32 s14, -1
                                        ; implicit-def: $vgpr3
	v_and_b32_e32 v0, 0xffff, v54
	v_cmp_ne_u16_e64 s10, 0, v54
	s_cbranch_vccz .LBB4_215
; %bb.194:                              ;   in Loop: Header=BB4_129 Depth=2
	v_dual_mov_b32 v30, 0 :: v_dual_mov_b32 v3, 0
	s_and_saveexec_b32 s14, s10
	s_cbranch_execz .LBB4_204
; %bb.195:                              ;   in Loop: Header=BB4_129 Depth=2
	v_bfrev_b32_e32 v3, 1
	s_mov_b32 s15, exec_lo
	v_cmpx_ne_u16_e32 0x80, v54
	s_cbranch_execz .LBB4_203
; %bb.196:                              ;   in Loop: Header=BB4_129 Depth=2
	v_and_b32_e32 v3, 0x7c, v0
	v_and_b32_e32 v87, 3, v0
	s_delay_alu instid0(VALU_DEP_2) | instskip(SKIP_1) | instid1(SALU_CYCLE_1)
	v_cmp_ne_u32_e32 vcc_lo, 0x7c, v3
                                        ; implicit-def: $vgpr3
	s_and_saveexec_b32 s42, vcc_lo
	s_xor_b32 s42, exec_lo, s42
	s_cbranch_execz .LBB4_200
; %bb.197:                              ;   in Loop: Header=BB4_129 Depth=2
	v_bfe_u32 v3, v0, 2, 5
	s_mov_b32 s43, exec_lo
	s_delay_alu instid0(VALU_DEP_1)
	v_cmpx_eq_u32_e32 0, v3
; %bb.198:                              ;   in Loop: Header=BB4_129 Depth=2
	v_clz_i32_u32_e32 v3, v87
	s_delay_alu instid0(VALU_DEP_1) | instskip(NEXT) | instid1(VALU_DEP_1)
	v_min_u32_e32 v3, 32, v3
	v_subrev_nc_u32_e32 v82, 29, v3
	s_delay_alu instid0(VALU_DEP_1) | instskip(NEXT) | instid1(VALU_DEP_1)
	v_lshlrev_b64_e32 v[118:119], v82, v[54:55]
	v_dual_sub_nc_u32 v3, 30, v3 :: v_dual_bitop2_b32 v87, 3, v118 bitop3:0x40
; %bb.199:                              ;   in Loop: Header=BB4_129 Depth=2
	s_or_b32 exec_lo, exec_lo, s43
	v_lshlrev_b32_e32 v82, 16, v22
	s_delay_alu instid0(VALU_DEP_1) | instskip(NEXT) | instid1(VALU_DEP_1)
	v_and_b32_e32 v82, 0x80000000, v82
	v_lshl_add_u32 v3, v3, 23, v82
	s_delay_alu instid0(VALU_DEP_1) | instskip(NEXT) | instid1(VALU_DEP_1)
	v_lshl_or_b32 v3, v87, 21, v3
                                        ; implicit-def: $vgpr87
	v_add_nc_u32_e32 v3, 0x38000000, v3
.LBB4_200:                              ;   in Loop: Header=BB4_129 Depth=2
	s_and_not1_saveexec_b32 s42, s42
; %bb.201:                              ;   in Loop: Header=BB4_129 Depth=2
	v_cmp_lt_i16_e32 vcc_lo, -1, v22
	v_cndmask_b32_e32 v3, 0xff800000, v126, vcc_lo
	v_cmp_eq_u32_e32 vcc_lo, 0, v87
	s_delay_alu instid0(VALU_DEP_2)
	v_cndmask_b32_e32 v3, 0x7f800001, v3, vcc_lo
; %bb.202:                              ;   in Loop: Header=BB4_129 Depth=2
	s_or_b32 exec_lo, exec_lo, s42
.LBB4_203:                              ;   in Loop: Header=BB4_129 Depth=2
	s_delay_alu instid0(SALU_CYCLE_1)
	s_or_b32 exec_lo, exec_lo, s15
.LBB4_204:                              ;   in Loop: Header=BB4_129 Depth=2
	s_delay_alu instid0(SALU_CYCLE_1) | instskip(NEXT) | instid1(SALU_CYCLE_1)
	s_or_b32 exec_lo, exec_lo, s14
	s_mov_b32 s14, exec_lo
	v_cmpx_ne_u16_e32 0, v116
	s_cbranch_execz .LBB4_214
; %bb.205:                              ;   in Loop: Header=BB4_129 Depth=2
	v_bfrev_b32_e32 v30, 1
	s_mov_b32 s15, exec_lo
	v_cmpx_ne_u16_e32 0x80, v116
	s_cbranch_execz .LBB4_213
; %bb.206:                              ;   in Loop: Header=BB4_129 Depth=2
	v_and_b32_e32 v117, 0xffff, v116
	s_delay_alu instid0(VALU_DEP_1) | instskip(SKIP_1) | instid1(VALU_DEP_2)
	v_and_b32_e32 v30, 0x7c, v117
	v_and_b32_e32 v87, 3, v117
	v_cmp_ne_u32_e32 vcc_lo, 0x7c, v30
                                        ; implicit-def: $vgpr30
	s_and_saveexec_b32 s42, vcc_lo
	s_delay_alu instid0(SALU_CYCLE_1)
	s_xor_b32 s42, exec_lo, s42
	s_cbranch_execz .LBB4_210
; %bb.207:                              ;   in Loop: Header=BB4_129 Depth=2
	v_bfe_u32 v30, v117, 2, 5
	s_mov_b32 s43, exec_lo
	s_delay_alu instid0(VALU_DEP_1)
	v_cmpx_eq_u32_e32 0, v30
	s_cbranch_execz .LBB4_209
; %bb.208:                              ;   in Loop: Header=BB4_129 Depth=2
	v_clz_i32_u32_e32 v30, v87
	s_delay_alu instid0(VALU_DEP_1) | instskip(SKIP_1) | instid1(VALU_DEP_2)
	v_min_u32_e32 v30, 32, v30
	v_mov_b32_e32 v117, v55
	v_subrev_nc_u32_e32 v82, 29, v30
	v_sub_nc_u32_e32 v30, 30, v30
	s_delay_alu instid0(VALU_DEP_2) | instskip(NEXT) | instid1(VALU_DEP_1)
	v_lshlrev_b64_e32 v[118:119], v82, v[116:117]
	v_and_b32_e32 v87, 3, v118
.LBB4_209:                              ;   in Loop: Header=BB4_129 Depth=2
	s_or_b32 exec_lo, exec_lo, s43
	v_lshlrev_b32_e32 v82, 16, v18
	s_delay_alu instid0(VALU_DEP_1) | instskip(NEXT) | instid1(VALU_DEP_1)
	v_and_b32_e32 v82, 0x80000000, v82
	v_lshl_add_u32 v30, v30, 23, v82
	s_delay_alu instid0(VALU_DEP_1) | instskip(NEXT) | instid1(VALU_DEP_1)
	v_lshl_or_b32 v30, v87, 21, v30
                                        ; implicit-def: $vgpr87
	v_add_nc_u32_e32 v30, 0x38000000, v30
.LBB4_210:                              ;   in Loop: Header=BB4_129 Depth=2
	s_and_not1_saveexec_b32 s42, s42
; %bb.211:                              ;   in Loop: Header=BB4_129 Depth=2
	v_cmp_lt_i16_e32 vcc_lo, -1, v18
	v_cndmask_b32_e32 v30, 0xff800000, v126, vcc_lo
	v_cmp_eq_u32_e32 vcc_lo, 0, v87
	s_delay_alu instid0(VALU_DEP_2)
	v_cndmask_b32_e32 v30, 0x7f800001, v30, vcc_lo
; %bb.212:                              ;   in Loop: Header=BB4_129 Depth=2
	s_or_b32 exec_lo, exec_lo, s42
.LBB4_213:                              ;   in Loop: Header=BB4_129 Depth=2
	s_delay_alu instid0(SALU_CYCLE_1)
	s_or_b32 exec_lo, exec_lo, s15
.LBB4_214:                              ;   in Loop: Header=BB4_129 Depth=2
	s_delay_alu instid0(SALU_CYCLE_1) | instskip(NEXT) | instid1(VALU_DEP_1)
	s_or_b32 exec_lo, exec_lo, s14
	v_dual_max_num_f32 v30, v30, v30 :: v_dual_max_num_f32 v3, v3, v3
	s_mov_b32 s14, 0
	s_delay_alu instid0(VALU_DEP_1)
	v_max_num_f32_e32 v3, v3, v30
.LBB4_215:                              ;   in Loop: Header=BB4_129 Depth=2
	s_and_b32 vcc_lo, exec_lo, s14
	s_cbranch_vccz .LBB4_237
; %bb.216:                              ;   in Loop: Header=BB4_129 Depth=2
	v_dual_mov_b32 v30, 0 :: v_dual_mov_b32 v3, 0
	s_and_saveexec_b32 s14, s10
	s_cbranch_execz .LBB4_226
; %bb.217:                              ;   in Loop: Header=BB4_129 Depth=2
	v_bfrev_b32_e32 v3, 1
	s_mov_b32 s10, exec_lo
	v_cmpx_ne_u16_e32 0x80, v54
	s_cbranch_execz .LBB4_225
; %bb.218:                              ;   in Loop: Header=BB4_129 Depth=2
	v_and_b32_e32 v3, 0x7c, v0
	v_and_b32_e32 v87, 3, v0
	s_delay_alu instid0(VALU_DEP_2) | instskip(SKIP_1) | instid1(SALU_CYCLE_1)
	v_cmp_ne_u32_e32 vcc_lo, 0x7c, v3
                                        ; implicit-def: $vgpr3
	s_and_saveexec_b32 s15, vcc_lo
	s_xor_b32 s15, exec_lo, s15
	s_cbranch_execz .LBB4_222
; %bb.219:                              ;   in Loop: Header=BB4_129 Depth=2
	v_bfe_u32 v0, v0, 2, 5
	s_mov_b32 s42, exec_lo
	s_delay_alu instid0(VALU_DEP_1)
	v_cmpx_eq_u32_e32 0, v0
; %bb.220:                              ;   in Loop: Header=BB4_129 Depth=2
	v_clz_i32_u32_e32 v0, v87
	s_delay_alu instid0(VALU_DEP_1) | instskip(NEXT) | instid1(VALU_DEP_1)
	v_min_u32_e32 v0, 32, v0
	v_subrev_nc_u32_e32 v3, 29, v0
	s_delay_alu instid0(VALU_DEP_1) | instskip(NEXT) | instid1(VALU_DEP_1)
	v_lshlrev_b64_e32 v[118:119], v3, v[54:55]
	v_dual_sub_nc_u32 v0, 30, v0 :: v_dual_bitop2_b32 v87, 3, v118 bitop3:0x40
; %bb.221:                              ;   in Loop: Header=BB4_129 Depth=2
	s_or_b32 exec_lo, exec_lo, s42
	v_lshlrev_b32_e32 v3, 16, v22
	s_delay_alu instid0(VALU_DEP_1) | instskip(NEXT) | instid1(VALU_DEP_1)
	v_and_b32_e32 v3, 0x80000000, v3
	v_lshl_add_u32 v0, v0, 23, v3
	s_delay_alu instid0(VALU_DEP_1) | instskip(NEXT) | instid1(VALU_DEP_1)
	v_lshl_or_b32 v0, v87, 21, v0
                                        ; implicit-def: $vgpr87
	v_add_nc_u32_e32 v3, 0x38000000, v0
.LBB4_222:                              ;   in Loop: Header=BB4_129 Depth=2
	s_and_not1_saveexec_b32 s15, s15
; %bb.223:                              ;   in Loop: Header=BB4_129 Depth=2
	v_cmp_lt_i16_e32 vcc_lo, -1, v22
	v_cndmask_b32_e32 v0, 0xff800000, v126, vcc_lo
	v_cmp_eq_u32_e32 vcc_lo, 0, v87
	s_delay_alu instid0(VALU_DEP_2)
	v_cndmask_b32_e32 v3, 0x7f800001, v0, vcc_lo
; %bb.224:                              ;   in Loop: Header=BB4_129 Depth=2
	s_or_b32 exec_lo, exec_lo, s15
.LBB4_225:                              ;   in Loop: Header=BB4_129 Depth=2
	s_delay_alu instid0(SALU_CYCLE_1)
	s_or_b32 exec_lo, exec_lo, s10
.LBB4_226:                              ;   in Loop: Header=BB4_129 Depth=2
	s_delay_alu instid0(SALU_CYCLE_1) | instskip(NEXT) | instid1(SALU_CYCLE_1)
	s_or_b32 exec_lo, exec_lo, s14
	s_mov_b32 s10, exec_lo
	v_cmpx_ne_u16_e32 0, v116
	s_cbranch_execz .LBB4_236
; %bb.227:                              ;   in Loop: Header=BB4_129 Depth=2
	v_bfrev_b32_e32 v30, 1
	s_mov_b32 s14, exec_lo
	v_cmpx_ne_u16_e32 0x80, v116
	s_cbranch_execz .LBB4_235
; %bb.228:                              ;   in Loop: Header=BB4_129 Depth=2
	v_and_b32_e32 v54, 0xffff, v116
	s_delay_alu instid0(VALU_DEP_1) | instskip(SKIP_1) | instid1(VALU_DEP_2)
	v_and_b32_e32 v30, 0x7c, v54
	v_and_b32_e32 v0, 3, v54
	v_cmp_ne_u32_e32 vcc_lo, 0x7c, v30
                                        ; implicit-def: $vgpr30
	s_and_saveexec_b32 s15, vcc_lo
	s_delay_alu instid0(SALU_CYCLE_1)
	s_xor_b32 s15, exec_lo, s15
	s_cbranch_execz .LBB4_232
; %bb.229:                              ;   in Loop: Header=BB4_129 Depth=2
	v_bfe_u32 v30, v54, 2, 5
	s_mov_b32 s42, exec_lo
	s_delay_alu instid0(VALU_DEP_1)
	v_cmpx_eq_u32_e32 0, v30
	s_cbranch_execz .LBB4_231
; %bb.230:                              ;   in Loop: Header=BB4_129 Depth=2
	v_clz_i32_u32_e32 v0, v0
	s_delay_alu instid0(VALU_DEP_1) | instskip(SKIP_1) | instid1(VALU_DEP_2)
	v_min_u32_e32 v0, 32, v0
	v_mov_b32_e32 v117, v55
	v_subrev_nc_u32_e32 v30, 29, v0
	s_delay_alu instid0(VALU_DEP_1) | instskip(SKIP_1) | instid1(VALU_DEP_2)
	v_lshlrev_b64_e32 v[116:117], v30, v[116:117]
	v_sub_nc_u32_e32 v30, 30, v0
	v_and_b32_e32 v0, 3, v116
.LBB4_231:                              ;   in Loop: Header=BB4_129 Depth=2
	s_or_b32 exec_lo, exec_lo, s42
	v_lshlrev_b32_e32 v54, 16, v18
	s_delay_alu instid0(VALU_DEP_1) | instskip(NEXT) | instid1(VALU_DEP_1)
	v_and_b32_e32 v54, 0x80000000, v54
	v_lshl_add_u32 v30, v30, 23, v54
	s_delay_alu instid0(VALU_DEP_1) | instskip(NEXT) | instid1(VALU_DEP_1)
	v_lshl_or_b32 v0, v0, 21, v30
	v_add_nc_u32_e32 v30, 0x38000000, v0
                                        ; implicit-def: $vgpr0
.LBB4_232:                              ;   in Loop: Header=BB4_129 Depth=2
	s_and_not1_saveexec_b32 s15, s15
; %bb.233:                              ;   in Loop: Header=BB4_129 Depth=2
	v_cmp_lt_i16_e32 vcc_lo, -1, v18
	v_cndmask_b32_e32 v30, 0xff800000, v126, vcc_lo
	v_cmp_eq_u32_e32 vcc_lo, 0, v0
	s_delay_alu instid0(VALU_DEP_2)
	v_cndmask_b32_e32 v30, 0x7f800001, v30, vcc_lo
; %bb.234:                              ;   in Loop: Header=BB4_129 Depth=2
	s_or_b32 exec_lo, exec_lo, s15
.LBB4_235:                              ;   in Loop: Header=BB4_129 Depth=2
	s_delay_alu instid0(SALU_CYCLE_1)
	s_or_b32 exec_lo, exec_lo, s14
.LBB4_236:                              ;   in Loop: Header=BB4_129 Depth=2
	s_delay_alu instid0(SALU_CYCLE_1) | instskip(NEXT) | instid1(VALU_DEP_1)
	s_or_b32 exec_lo, exec_lo, s10
	v_dual_max_num_f32 v0, v30, v30 :: v_dual_max_num_f32 v3, v3, v3
	s_delay_alu instid0(VALU_DEP_1)
	v_min_num_f32_e32 v3, v3, v0
.LBB4_237:                              ;   in Loop: Header=BB4_129 Depth=2
	s_delay_alu instid0(VALU_DEP_1) | instskip(SKIP_3) | instid1(VALU_DEP_2)
	v_and_b32_e32 v116, 0x7f800000, v3
	v_dual_mov_b32 v117, v55 :: v_dual_lshrrev_b32 v0, 24, v3
	v_and_b32_e32 v54, 0x7fffff, v3
                                        ; implicit-def: $vgpr43
	s_mov_b32 s10, exec_lo
	v_cmpx_ne_u64_e32 0x7f800000, v[116:117]
	s_xor_b32 s14, exec_lo, s10
	s_cbranch_execz .LBB4_251
; %bb.238:                              ;   in Loop: Header=BB4_129 Depth=2
	v_and_b32_e32 v116, 0x7fffffff, v3
	v_mov_b32_e32 v117, v55
	v_and_b32_e32 v0, 0x80, v0
                                        ; implicit-def: $vgpr43
	s_mov_b32 s10, exec_lo
	s_delay_alu instid0(VALU_DEP_2)
	v_cmpx_gt_u64_e32 0x47600001, v[116:117]
	s_xor_b32 s15, exec_lo, s10
	s_cbranch_execz .LBB4_248
; %bb.239:                              ;   in Loop: Header=BB4_129 Depth=2
	v_mov_b32_e32 v43, 0
	s_mov_b32 s42, exec_lo
	v_cmpx_ne_u32_e32 0, v3
	s_cbranch_execz .LBB4_247
; %bb.240:                              ;   in Loop: Header=BB4_129 Depth=2
	v_bfe_u32 v3, v3, 23, 8
	v_or_b32_e32 v83, 0x800000, v54
	s_delay_alu instid0(VALU_DEP_2) | instskip(SKIP_1) | instid1(VALU_DEP_2)
	v_sub_nc_u32_e32 v30, 0x71, v3
	v_cmp_gt_u32_e32 vcc_lo, 0x72, v3
	v_cndmask_b32_e32 v30, 0, v30, vcc_lo
	v_cmp_eq_u32_e32 vcc_lo, 0, v3
	s_delay_alu instid0(VALU_DEP_2) | instskip(SKIP_1) | instid1(VALU_DEP_2)
	v_cndmask_b32_e64 v30, v30, 0x70, vcc_lo
	v_cndmask_b32_e32 v54, v83, v54, vcc_lo
	v_add_nc_u32_e32 v82, 21, v30
	s_delay_alu instid0(VALU_DEP_1) | instskip(SKIP_1) | instid1(VALU_DEP_1)
	v_lshlrev_b64_e64 v[116:117], v82, -1
	v_add_nc_u32_e32 v82, 20, v30
	v_lshlrev_b64_e64 v[118:119], v82, 1
	s_delay_alu instid0(VALU_DEP_3) | instskip(NEXT) | instid1(VALU_DEP_4)
	v_bfi_b32 v41, v117, 0, 0
	v_bfi_b32 v40, v116, 0, v54
	v_lshrrev_b64 v[116:117], v30, v[54:55]
	s_delay_alu instid0(VALU_DEP_2) | instskip(NEXT) | instid1(VALU_DEP_2)
	v_cmp_eq_u64_e64 s10, v[40:41], v[118:119]
	v_mov_b64_e32 v[118:119], v[116:117]
	s_and_saveexec_b32 s43, s10
; %bb.241:                              ;   in Loop: Header=BB4_129 Depth=2
	v_bfe_u32 v54, v116, 21, 1
	s_delay_alu instid0(VALU_DEP_1) | instskip(NEXT) | instid1(VALU_DEP_1)
	v_add_nc_u64_e32 v[118:119], v[116:117], v[54:55]
	v_add_nc_u64_e32 v[118:119], -1, v[118:119]
; %bb.242:                              ;   in Loop: Header=BB4_129 Depth=2
	s_or_b32 exec_lo, exec_lo, s43
	v_add_nc_u32_e32 v3, 0xffffff81, v3
	v_lshrrev_b32_e32 v54, 23, v116
	s_mov_b32 s10, exec_lo
	s_delay_alu instid0(VALU_DEP_2) | instskip(NEXT) | instid1(VALU_DEP_1)
	v_cndmask_b32_e64 v3, v3, 0xffffff82, vcc_lo
	v_add3_u32 v30, v30, v3, v54
	v_and_b32_e32 v3, 0x1fffff, v118
	s_delay_alu instid0(VALU_DEP_1) | instskip(NEXT) | instid1(VALU_DEP_1)
	v_dual_add_nc_u32 v87, 14, v30 :: v_dual_add_nc_u32 v54, v3, v116
                                        ; implicit-def: $vgpr116_vgpr117
                                        ; implicit-def: $vgpr3
	v_cmpx_ne_u32_e32 0, v87
	s_xor_b32 s10, exec_lo, s10
; %bb.243:                              ;   in Loop: Header=BB4_129 Depth=2
	s_delay_alu instid0(VALU_DEP_2) | instskip(SKIP_2) | instid1(VALU_DEP_2)
	v_cmp_lt_u64_e32 vcc_lo, 0xffffff, v[54:55]
	v_add_nc_u32_e32 v3, 15, v30
	v_cndmask_b32_e64 v30, 0, 1, vcc_lo
	v_cndmask_b32_e32 v3, v87, v3, vcc_lo
	s_delay_alu instid0(VALU_DEP_2)
	v_lshrrev_b64 v[116:117], v30, v[54:55]
; %bb.244:                              ;   in Loop: Header=BB4_129 Depth=2
	s_and_not1_saveexec_b32 s10, s10
; %bb.245:                              ;   in Loop: Header=BB4_129 Depth=2
	v_mov_b64_e32 v[116:117], v[54:55]
	v_bfe_u32 v3, v54, 23, 1
; %bb.246:                              ;   in Loop: Header=BB4_129 Depth=2
	s_or_b32 exec_lo, exec_lo, s10
	s_delay_alu instid0(VALU_DEP_2) | instskip(NEXT) | instid1(VALU_DEP_2)
	v_lshrrev_b64 v[116:117], 21, v[116:117]
	v_cmp_gt_i32_e32 vcc_lo, 32, v3
	v_min_i32_e32 v30, 31, v3
	v_cmp_eq_u32_e64 s10, 0, v3
	s_delay_alu instid0(VALU_DEP_2) | instskip(SKIP_1) | instid1(VALU_DEP_2)
	v_dual_cndmask_b32 v117, 0, v117 :: v_dual_lshlrev_b32 v30, 2, v30
	v_cndmask_b32_e32 v116, 3, v116, vcc_lo
	v_and_b32_e32 v30, 0xfc, v30
	s_delay_alu instid0(VALU_DEP_2) | instskip(NEXT) | instid1(VALU_DEP_2)
	v_cmp_eq_u64_e32 vcc_lo, 0, v[116:117]
	v_and_or_b32 v3, v116, 3, v30
	s_and_b32 s10, s10, vcc_lo
	s_delay_alu instid0(VALU_DEP_1) | instid1(SALU_CYCLE_1)
	v_cndmask_b32_e64 v3, v3, 0, s10
	s_delay_alu instid0(VALU_DEP_1)
	v_or_b32_e32 v43, v3, v0
.LBB4_247:                              ;   in Loop: Header=BB4_129 Depth=2
	s_or_b32 exec_lo, exec_lo, s42
                                        ; implicit-def: $vgpr0
.LBB4_248:                              ;   in Loop: Header=BB4_129 Depth=2
	s_and_not1_saveexec_b32 s10, s15
; %bb.249:                              ;   in Loop: Header=BB4_129 Depth=2
	v_or_b32_e32 v43, 0x7b, v0
; %bb.250:                              ;   in Loop: Header=BB4_129 Depth=2
	s_or_b32 exec_lo, exec_lo, s10
                                        ; implicit-def: $vgpr3
                                        ; implicit-def: $vgpr0
.LBB4_251:                              ;   in Loop: Header=BB4_129 Depth=2
	s_and_not1_saveexec_b32 s10, s14
	s_cbranch_execz .LBB4_257
; %bb.252:                              ;   in Loop: Header=BB4_129 Depth=2
	s_mov_b32 s14, exec_lo
                                        ; implicit-def: $vgpr43
	v_cmpx_ne_u64_e32 0, v[54:55]
	s_xor_b32 s14, exec_lo, s14
; %bb.253:                              ;   in Loop: Header=BB4_129 Depth=2
	v_or_b32_e32 v43, 0x7f, v0
                                        ; implicit-def: $vgpr3
; %bb.254:                              ;   in Loop: Header=BB4_129 Depth=2
	s_and_not1_saveexec_b32 s14, s14
; %bb.255:                              ;   in Loop: Header=BB4_129 Depth=2
	v_cmp_lt_i32_e32 vcc_lo, -1, v3
	v_cndmask_b32_e32 v43, 0xfc, v122, vcc_lo
; %bb.256:                              ;   in Loop: Header=BB4_129 Depth=2
	s_or_b32 exec_lo, exec_lo, s14
.LBB4_257:                              ;   in Loop: Header=BB4_129 Depth=2
	s_delay_alu instid0(SALU_CYCLE_1) | instskip(SKIP_4) | instid1(VALU_DEP_2)
	s_or_b32 exec_lo, exec_lo, s10
	v_lshrrev_b32_e32 v54, 16, v22
	v_lshrrev_b32_e32 v30, 16, v18
	s_and_b32 vcc_lo, exec_lo, s13
	s_mov_b32 s14, -1
                                        ; implicit-def: $vgpr3
	v_and_b32_e32 v0, 0xff, v54
	s_delay_alu instid0(VALU_DEP_1)
	v_cmp_ne_u16_e64 s10, 0, v0
	s_cbranch_vccz .LBB4_279
; %bb.258:                              ;   in Loop: Header=BB4_129 Depth=2
	v_dual_mov_b32 v87, 0 :: v_dual_mov_b32 v3, 0
	s_and_saveexec_b32 s14, s10
	s_cbranch_execz .LBB4_268
; %bb.259:                              ;   in Loop: Header=BB4_129 Depth=2
	v_bfrev_b32_e32 v3, 1
	s_mov_b32 s15, exec_lo
	v_cmpx_ne_u16_e32 0x80, v0
	s_cbranch_execz .LBB4_267
; %bb.260:                              ;   in Loop: Header=BB4_129 Depth=2
	v_and_b32_e32 v3, 0x7c0000, v22
	v_bfe_u32 v116, v22, 16, 2
	s_delay_alu instid0(VALU_DEP_2) | instskip(SKIP_1) | instid1(SALU_CYCLE_1)
	v_cmp_ne_u32_e32 vcc_lo, 0x7c0000, v3
                                        ; implicit-def: $vgpr3
	s_and_saveexec_b32 s42, vcc_lo
	s_xor_b32 s42, exec_lo, s42
	s_cbranch_execz .LBB4_264
; %bb.261:                              ;   in Loop: Header=BB4_129 Depth=2
	v_bfe_u32 v3, v22, 18, 5
	s_mov_b32 s43, exec_lo
	s_delay_alu instid0(VALU_DEP_1)
	v_cmpx_eq_u32_e32 0, v3
; %bb.262:                              ;   in Loop: Header=BB4_129 Depth=2
	v_clz_i32_u32_e32 v3, v116
	s_delay_alu instid0(VALU_DEP_1) | instskip(NEXT) | instid1(VALU_DEP_1)
	v_min_u32_e32 v3, 32, v3
	v_subrev_nc_u32_e32 v82, 29, v3
	s_delay_alu instid0(VALU_DEP_1) | instskip(NEXT) | instid1(VALU_DEP_1)
	v_lshlrev_b64_e32 v[116:117], v82, v[54:55]
	v_dual_sub_nc_u32 v3, 30, v3 :: v_dual_bitop2_b32 v116, 3, v116 bitop3:0x40
; %bb.263:                              ;   in Loop: Header=BB4_129 Depth=2
	s_or_b32 exec_lo, exec_lo, s43
	v_lshlrev_b32_e32 v82, 24, v54
	s_delay_alu instid0(VALU_DEP_1) | instskip(NEXT) | instid1(VALU_DEP_1)
	v_and_b32_e32 v82, 0x80000000, v82
	v_lshl_add_u32 v3, v3, 23, v82
	s_delay_alu instid0(VALU_DEP_1) | instskip(NEXT) | instid1(VALU_DEP_1)
	v_lshl_or_b32 v3, v116, 21, v3
                                        ; implicit-def: $vgpr116
	v_add_nc_u32_e32 v3, 0x38000000, v3
.LBB4_264:                              ;   in Loop: Header=BB4_129 Depth=2
	s_and_not1_saveexec_b32 s42, s42
; %bb.265:                              ;   in Loop: Header=BB4_129 Depth=2
	v_bfe_i32 v3, v54, 0, 8
	s_delay_alu instid0(VALU_DEP_1) | instskip(SKIP_2) | instid1(VALU_DEP_2)
	v_cmp_lt_i16_e32 vcc_lo, -1, v3
	v_cndmask_b32_e32 v3, 0xff800000, v126, vcc_lo
	v_cmp_eq_u32_e32 vcc_lo, 0, v116
	v_cndmask_b32_e32 v3, 0x7f800001, v3, vcc_lo
; %bb.266:                              ;   in Loop: Header=BB4_129 Depth=2
	s_or_b32 exec_lo, exec_lo, s42
.LBB4_267:                              ;   in Loop: Header=BB4_129 Depth=2
	s_delay_alu instid0(SALU_CYCLE_1)
	s_or_b32 exec_lo, exec_lo, s15
.LBB4_268:                              ;   in Loop: Header=BB4_129 Depth=2
	s_delay_alu instid0(SALU_CYCLE_1) | instskip(SKIP_2) | instid1(VALU_DEP_1)
	s_or_b32 exec_lo, exec_lo, s14
	v_and_b32_e32 v116, 0xff, v30
	s_mov_b32 s14, exec_lo
	v_cmpx_ne_u16_e32 0, v116
	s_cbranch_execz .LBB4_278
; %bb.269:                              ;   in Loop: Header=BB4_129 Depth=2
	v_bfrev_b32_e32 v87, 1
	s_mov_b32 s15, exec_lo
	v_cmpx_ne_u16_e32 0x80, v116
	s_cbranch_execz .LBB4_277
; %bb.270:                              ;   in Loop: Header=BB4_129 Depth=2
	v_and_b32_e32 v82, 0x7c0000, v18
	v_bfe_u32 v116, v18, 16, 2
	s_mov_b32 s42, exec_lo
                                        ; implicit-def: $vgpr87
	s_delay_alu instid0(VALU_DEP_2)
	v_cmpx_ne_u32_e32 0x7c0000, v82
	s_xor_b32 s42, exec_lo, s42
	s_cbranch_execz .LBB4_274
; %bb.271:                              ;   in Loop: Header=BB4_129 Depth=2
	v_bfe_u32 v87, v18, 18, 5
	s_mov_b32 s43, exec_lo
	s_delay_alu instid0(VALU_DEP_1)
	v_cmpx_eq_u32_e32 0, v87
; %bb.272:                              ;   in Loop: Header=BB4_129 Depth=2
	v_clz_i32_u32_e32 v82, v116
	s_delay_alu instid0(VALU_DEP_1) | instskip(NEXT) | instid1(VALU_DEP_1)
	v_min_u32_e32 v82, 32, v82
	v_subrev_nc_u32_e32 v83, 29, v82
	s_delay_alu instid0(VALU_DEP_1) | instskip(NEXT) | instid1(VALU_DEP_1)
	v_lshlrev_b64_e32 v[116:117], v83, v[30:31]
	v_dual_sub_nc_u32 v87, 30, v82 :: v_dual_bitop2_b32 v116, 3, v116 bitop3:0x40
; %bb.273:                              ;   in Loop: Header=BB4_129 Depth=2
	s_or_b32 exec_lo, exec_lo, s43
	v_lshlrev_b32_e32 v82, 24, v30
	s_delay_alu instid0(VALU_DEP_1) | instskip(NEXT) | instid1(VALU_DEP_1)
	v_and_b32_e32 v82, 0x80000000, v82
	v_lshl_add_u32 v82, v87, 23, v82
	s_delay_alu instid0(VALU_DEP_1) | instskip(NEXT) | instid1(VALU_DEP_1)
	v_lshl_or_b32 v82, v116, 21, v82
                                        ; implicit-def: $vgpr116
	v_add_nc_u32_e32 v87, 0x38000000, v82
.LBB4_274:                              ;   in Loop: Header=BB4_129 Depth=2
	s_and_not1_saveexec_b32 s42, s42
; %bb.275:                              ;   in Loop: Header=BB4_129 Depth=2
	v_bfe_i32 v82, v30, 0, 8
	s_delay_alu instid0(VALU_DEP_1) | instskip(SKIP_2) | instid1(VALU_DEP_2)
	v_cmp_lt_i16_e32 vcc_lo, -1, v82
	v_cndmask_b32_e32 v82, 0xff800000, v126, vcc_lo
	v_cmp_eq_u32_e32 vcc_lo, 0, v116
	v_cndmask_b32_e32 v87, 0x7f800001, v82, vcc_lo
; %bb.276:                              ;   in Loop: Header=BB4_129 Depth=2
	s_or_b32 exec_lo, exec_lo, s42
.LBB4_277:                              ;   in Loop: Header=BB4_129 Depth=2
	s_delay_alu instid0(SALU_CYCLE_1)
	s_or_b32 exec_lo, exec_lo, s15
.LBB4_278:                              ;   in Loop: Header=BB4_129 Depth=2
	s_delay_alu instid0(SALU_CYCLE_1) | instskip(NEXT) | instid1(VALU_DEP_1)
	s_or_b32 exec_lo, exec_lo, s14
	v_max_num_f32_e32 v82, v87, v87
	v_max_num_f32_e32 v3, v3, v3
	s_mov_b32 s14, 0
	s_delay_alu instid0(VALU_DEP_1)
	v_max_num_f32_e32 v3, v3, v82
.LBB4_279:                              ;   in Loop: Header=BB4_129 Depth=2
	s_and_b32 vcc_lo, exec_lo, s14
	s_cbranch_vccz .LBB4_301
; %bb.280:                              ;   in Loop: Header=BB4_129 Depth=2
	v_dual_mov_b32 v87, 0 :: v_dual_mov_b32 v3, 0
	s_and_saveexec_b32 s14, s10
	s_cbranch_execz .LBB4_290
; %bb.281:                              ;   in Loop: Header=BB4_129 Depth=2
	v_bfrev_b32_e32 v3, 1
	s_mov_b32 s10, exec_lo
	v_cmpx_ne_u16_e32 0x80, v0
	s_cbranch_execz .LBB4_289
; %bb.282:                              ;   in Loop: Header=BB4_129 Depth=2
	v_and_b32_e32 v3, 0x7c0000, v22
	v_bfe_u32 v0, v22, 16, 2
	s_delay_alu instid0(VALU_DEP_2) | instskip(SKIP_1) | instid1(SALU_CYCLE_1)
	v_cmp_ne_u32_e32 vcc_lo, 0x7c0000, v3
                                        ; implicit-def: $vgpr3
	s_and_saveexec_b32 s15, vcc_lo
	s_xor_b32 s15, exec_lo, s15
	s_cbranch_execz .LBB4_286
; %bb.283:                              ;   in Loop: Header=BB4_129 Depth=2
	v_bfe_u32 v3, v22, 18, 5
	s_mov_b32 s42, exec_lo
	s_delay_alu instid0(VALU_DEP_1)
	v_cmpx_eq_u32_e32 0, v3
; %bb.284:                              ;   in Loop: Header=BB4_129 Depth=2
	v_clz_i32_u32_e32 v0, v0
	s_delay_alu instid0(VALU_DEP_1) | instskip(NEXT) | instid1(VALU_DEP_1)
	v_min_u32_e32 v0, 32, v0
	v_subrev_nc_u32_e32 v3, 29, v0
	s_delay_alu instid0(VALU_DEP_1) | instskip(SKIP_1) | instid1(VALU_DEP_2)
	v_lshlrev_b64_e32 v[116:117], v3, v[54:55]
	v_sub_nc_u32_e32 v3, 30, v0
	v_and_b32_e32 v0, 3, v116
; %bb.285:                              ;   in Loop: Header=BB4_129 Depth=2
	s_or_b32 exec_lo, exec_lo, s42
	v_lshlrev_b32_e32 v54, 24, v54
	s_delay_alu instid0(VALU_DEP_1) | instskip(NEXT) | instid1(VALU_DEP_1)
	v_and_b32_e32 v54, 0x80000000, v54
	v_lshl_add_u32 v3, v3, 23, v54
                                        ; implicit-def: $vgpr54
	s_delay_alu instid0(VALU_DEP_1) | instskip(NEXT) | instid1(VALU_DEP_1)
	v_lshl_or_b32 v0, v0, 21, v3
	v_add_nc_u32_e32 v3, 0x38000000, v0
                                        ; implicit-def: $vgpr0
.LBB4_286:                              ;   in Loop: Header=BB4_129 Depth=2
	s_and_not1_saveexec_b32 s15, s15
; %bb.287:                              ;   in Loop: Header=BB4_129 Depth=2
	v_bfe_i32 v3, v54, 0, 8
	s_delay_alu instid0(VALU_DEP_1) | instskip(SKIP_2) | instid1(VALU_DEP_2)
	v_cmp_lt_i16_e32 vcc_lo, -1, v3
	v_cndmask_b32_e32 v3, 0xff800000, v126, vcc_lo
	v_cmp_eq_u32_e32 vcc_lo, 0, v0
	v_cndmask_b32_e32 v3, 0x7f800001, v3, vcc_lo
; %bb.288:                              ;   in Loop: Header=BB4_129 Depth=2
	s_or_b32 exec_lo, exec_lo, s15
.LBB4_289:                              ;   in Loop: Header=BB4_129 Depth=2
	s_delay_alu instid0(SALU_CYCLE_1)
	s_or_b32 exec_lo, exec_lo, s10
.LBB4_290:                              ;   in Loop: Header=BB4_129 Depth=2
	s_delay_alu instid0(SALU_CYCLE_1) | instskip(SKIP_2) | instid1(VALU_DEP_1)
	s_or_b32 exec_lo, exec_lo, s14
	v_and_b32_e32 v0, 0xff, v30
	s_mov_b32 s10, exec_lo
	v_cmpx_ne_u16_e32 0, v0
	s_cbranch_execz .LBB4_300
; %bb.291:                              ;   in Loop: Header=BB4_129 Depth=2
	v_bfrev_b32_e32 v87, 1
	s_mov_b32 s14, exec_lo
	v_cmpx_ne_u16_e32 0x80, v0
	s_cbranch_execz .LBB4_299
; %bb.292:                              ;   in Loop: Header=BB4_129 Depth=2
	v_and_b32_e32 v54, 0x7c0000, v18
	v_bfe_u32 v0, v18, 16, 2
	s_mov_b32 s15, exec_lo
                                        ; implicit-def: $vgpr87
	s_delay_alu instid0(VALU_DEP_2)
	v_cmpx_ne_u32_e32 0x7c0000, v54
	s_xor_b32 s15, exec_lo, s15
	s_cbranch_execz .LBB4_296
; %bb.293:                              ;   in Loop: Header=BB4_129 Depth=2
	v_bfe_u32 v54, v18, 18, 5
	s_mov_b32 s42, exec_lo
	s_delay_alu instid0(VALU_DEP_1)
	v_cmpx_eq_u32_e32 0, v54
; %bb.294:                              ;   in Loop: Header=BB4_129 Depth=2
	v_clz_i32_u32_e32 v0, v0
	s_delay_alu instid0(VALU_DEP_1) | instskip(NEXT) | instid1(VALU_DEP_1)
	v_min_u32_e32 v0, 32, v0
	v_subrev_nc_u32_e32 v54, 29, v0
	s_delay_alu instid0(VALU_DEP_1) | instskip(SKIP_1) | instid1(VALU_DEP_2)
	v_lshlrev_b64_e32 v[116:117], v54, v[30:31]
	v_sub_nc_u32_e32 v54, 30, v0
	v_and_b32_e32 v0, 3, v116
; %bb.295:                              ;   in Loop: Header=BB4_129 Depth=2
	s_or_b32 exec_lo, exec_lo, s42
	v_lshlrev_b32_e32 v30, 24, v30
	s_delay_alu instid0(VALU_DEP_1) | instskip(NEXT) | instid1(VALU_DEP_1)
	v_and_b32_e32 v30, 0x80000000, v30
	v_lshl_add_u32 v30, v54, 23, v30
	s_delay_alu instid0(VALU_DEP_1) | instskip(NEXT) | instid1(VALU_DEP_1)
	v_lshl_or_b32 v0, v0, 21, v30
                                        ; implicit-def: $vgpr30
	v_add_nc_u32_e32 v87, 0x38000000, v0
                                        ; implicit-def: $vgpr0
.LBB4_296:                              ;   in Loop: Header=BB4_129 Depth=2
	s_and_not1_saveexec_b32 s15, s15
; %bb.297:                              ;   in Loop: Header=BB4_129 Depth=2
	v_bfe_i32 v30, v30, 0, 8
	s_delay_alu instid0(VALU_DEP_1) | instskip(SKIP_2) | instid1(VALU_DEP_2)
	v_cmp_lt_i16_e32 vcc_lo, -1, v30
	v_cndmask_b32_e32 v30, 0xff800000, v126, vcc_lo
	v_cmp_eq_u32_e32 vcc_lo, 0, v0
	v_cndmask_b32_e32 v87, 0x7f800001, v30, vcc_lo
; %bb.298:                              ;   in Loop: Header=BB4_129 Depth=2
	s_or_b32 exec_lo, exec_lo, s15
.LBB4_299:                              ;   in Loop: Header=BB4_129 Depth=2
	s_delay_alu instid0(SALU_CYCLE_1)
	s_or_b32 exec_lo, exec_lo, s14
.LBB4_300:                              ;   in Loop: Header=BB4_129 Depth=2
	s_delay_alu instid0(SALU_CYCLE_1) | instskip(NEXT) | instid1(VALU_DEP_1)
	s_or_b32 exec_lo, exec_lo, s10
	v_max_num_f32_e32 v0, v87, v87
	v_max_num_f32_e32 v3, v3, v3
	s_delay_alu instid0(VALU_DEP_1)
	v_min_num_f32_e32 v3, v3, v0
.LBB4_301:                              ;   in Loop: Header=BB4_129 Depth=2
	s_delay_alu instid0(VALU_DEP_1) | instskip(SKIP_3) | instid1(VALU_DEP_2)
	v_and_b32_e32 v116, 0x7f800000, v3
	v_dual_mov_b32 v117, v55 :: v_dual_lshrrev_b32 v0, 24, v3
	v_and_b32_e32 v54, 0x7fffff, v3
                                        ; implicit-def: $vgpr44
	s_mov_b32 s10, exec_lo
	v_cmpx_ne_u64_e32 0x7f800000, v[116:117]
	s_xor_b32 s14, exec_lo, s10
	s_cbranch_execz .LBB4_315
; %bb.302:                              ;   in Loop: Header=BB4_129 Depth=2
	v_and_b32_e32 v116, 0x7fffffff, v3
	v_mov_b32_e32 v117, v55
	v_and_b32_e32 v0, 0x80, v0
                                        ; implicit-def: $vgpr44
	s_mov_b32 s10, exec_lo
	s_delay_alu instid0(VALU_DEP_2)
	v_cmpx_gt_u64_e32 0x47600001, v[116:117]
	s_xor_b32 s15, exec_lo, s10
	s_cbranch_execz .LBB4_312
; %bb.303:                              ;   in Loop: Header=BB4_129 Depth=2
	v_mov_b32_e32 v44, 0
	s_mov_b32 s42, exec_lo
	v_cmpx_ne_u32_e32 0, v3
	s_cbranch_execz .LBB4_311
; %bb.304:                              ;   in Loop: Header=BB4_129 Depth=2
	v_bfe_u32 v3, v3, 23, 8
	v_or_b32_e32 v83, 0x800000, v54
	s_delay_alu instid0(VALU_DEP_2) | instskip(SKIP_1) | instid1(VALU_DEP_2)
	v_sub_nc_u32_e32 v30, 0x71, v3
	v_cmp_gt_u32_e32 vcc_lo, 0x72, v3
	v_cndmask_b32_e32 v30, 0, v30, vcc_lo
	v_cmp_eq_u32_e32 vcc_lo, 0, v3
	s_delay_alu instid0(VALU_DEP_2) | instskip(SKIP_1) | instid1(VALU_DEP_2)
	v_cndmask_b32_e64 v30, v30, 0x70, vcc_lo
	v_cndmask_b32_e32 v54, v83, v54, vcc_lo
	v_add_nc_u32_e32 v82, 21, v30
	s_delay_alu instid0(VALU_DEP_1) | instskip(SKIP_1) | instid1(VALU_DEP_1)
	v_lshlrev_b64_e64 v[116:117], v82, -1
	v_add_nc_u32_e32 v82, 20, v30
	v_lshlrev_b64_e64 v[118:119], v82, 1
	s_delay_alu instid0(VALU_DEP_3) | instskip(NEXT) | instid1(VALU_DEP_4)
	v_bfi_b32 v41, v117, 0, 0
	v_bfi_b32 v40, v116, 0, v54
	v_lshrrev_b64 v[116:117], v30, v[54:55]
	s_delay_alu instid0(VALU_DEP_2) | instskip(NEXT) | instid1(VALU_DEP_2)
	v_cmp_eq_u64_e64 s10, v[40:41], v[118:119]
	v_mov_b64_e32 v[118:119], v[116:117]
	s_and_saveexec_b32 s43, s10
; %bb.305:                              ;   in Loop: Header=BB4_129 Depth=2
	v_bfe_u32 v54, v116, 21, 1
	s_delay_alu instid0(VALU_DEP_1) | instskip(NEXT) | instid1(VALU_DEP_1)
	v_add_nc_u64_e32 v[118:119], v[116:117], v[54:55]
	v_add_nc_u64_e32 v[118:119], -1, v[118:119]
; %bb.306:                              ;   in Loop: Header=BB4_129 Depth=2
	s_or_b32 exec_lo, exec_lo, s43
	v_add_nc_u32_e32 v3, 0xffffff81, v3
	v_lshrrev_b32_e32 v54, 23, v116
	s_mov_b32 s10, exec_lo
	s_delay_alu instid0(VALU_DEP_2) | instskip(NEXT) | instid1(VALU_DEP_1)
	v_cndmask_b32_e64 v3, v3, 0xffffff82, vcc_lo
	v_add3_u32 v30, v30, v3, v54
	v_and_b32_e32 v3, 0x1fffff, v118
	s_delay_alu instid0(VALU_DEP_1) | instskip(NEXT) | instid1(VALU_DEP_1)
	v_dual_add_nc_u32 v87, 14, v30 :: v_dual_add_nc_u32 v54, v3, v116
                                        ; implicit-def: $vgpr116_vgpr117
                                        ; implicit-def: $vgpr3
	v_cmpx_ne_u32_e32 0, v87
	s_xor_b32 s10, exec_lo, s10
; %bb.307:                              ;   in Loop: Header=BB4_129 Depth=2
	s_delay_alu instid0(VALU_DEP_2) | instskip(SKIP_2) | instid1(VALU_DEP_2)
	v_cmp_lt_u64_e32 vcc_lo, 0xffffff, v[54:55]
	v_add_nc_u32_e32 v3, 15, v30
	v_cndmask_b32_e64 v30, 0, 1, vcc_lo
	v_cndmask_b32_e32 v3, v87, v3, vcc_lo
	s_delay_alu instid0(VALU_DEP_2)
	v_lshrrev_b64 v[116:117], v30, v[54:55]
; %bb.308:                              ;   in Loop: Header=BB4_129 Depth=2
	s_and_not1_saveexec_b32 s10, s10
; %bb.309:                              ;   in Loop: Header=BB4_129 Depth=2
	v_mov_b64_e32 v[116:117], v[54:55]
	v_bfe_u32 v3, v54, 23, 1
; %bb.310:                              ;   in Loop: Header=BB4_129 Depth=2
	s_or_b32 exec_lo, exec_lo, s10
	s_delay_alu instid0(VALU_DEP_2) | instskip(NEXT) | instid1(VALU_DEP_2)
	v_lshrrev_b64 v[116:117], 21, v[116:117]
	v_cmp_gt_i32_e32 vcc_lo, 32, v3
	v_min_i32_e32 v30, 31, v3
	v_cmp_eq_u32_e64 s10, 0, v3
	s_delay_alu instid0(VALU_DEP_2) | instskip(SKIP_1) | instid1(VALU_DEP_2)
	v_dual_cndmask_b32 v117, 0, v117 :: v_dual_lshlrev_b32 v30, 2, v30
	v_cndmask_b32_e32 v116, 3, v116, vcc_lo
	v_and_b32_e32 v30, 0xfc, v30
	s_delay_alu instid0(VALU_DEP_2) | instskip(NEXT) | instid1(VALU_DEP_2)
	v_cmp_eq_u64_e32 vcc_lo, 0, v[116:117]
	v_and_or_b32 v3, v116, 3, v30
	s_and_b32 s10, s10, vcc_lo
	s_delay_alu instid0(VALU_DEP_1) | instid1(SALU_CYCLE_1)
	v_cndmask_b32_e64 v3, v3, 0, s10
	s_delay_alu instid0(VALU_DEP_1)
	v_or_b32_e32 v44, v3, v0
.LBB4_311:                              ;   in Loop: Header=BB4_129 Depth=2
	s_or_b32 exec_lo, exec_lo, s42
                                        ; implicit-def: $vgpr0
.LBB4_312:                              ;   in Loop: Header=BB4_129 Depth=2
	s_and_not1_saveexec_b32 s10, s15
; %bb.313:                              ;   in Loop: Header=BB4_129 Depth=2
	v_or_b32_e32 v44, 0x7b, v0
; %bb.314:                              ;   in Loop: Header=BB4_129 Depth=2
	s_or_b32 exec_lo, exec_lo, s10
                                        ; implicit-def: $vgpr3
                                        ; implicit-def: $vgpr0
.LBB4_315:                              ;   in Loop: Header=BB4_129 Depth=2
	s_and_not1_saveexec_b32 s10, s14
	s_cbranch_execz .LBB4_321
; %bb.316:                              ;   in Loop: Header=BB4_129 Depth=2
	s_mov_b32 s14, exec_lo
                                        ; implicit-def: $vgpr44
	v_cmpx_ne_u64_e32 0, v[54:55]
	s_xor_b32 s14, exec_lo, s14
; %bb.317:                              ;   in Loop: Header=BB4_129 Depth=2
	v_or_b32_e32 v44, 0x7f, v0
                                        ; implicit-def: $vgpr3
; %bb.318:                              ;   in Loop: Header=BB4_129 Depth=2
	s_and_not1_saveexec_b32 s14, s14
; %bb.319:                              ;   in Loop: Header=BB4_129 Depth=2
	v_cmp_lt_i32_e32 vcc_lo, -1, v3
	v_cndmask_b32_e32 v44, 0xfc, v122, vcc_lo
; %bb.320:                              ;   in Loop: Header=BB4_129 Depth=2
	s_or_b32 exec_lo, exec_lo, s14
.LBB4_321:                              ;   in Loop: Header=BB4_129 Depth=2
	s_delay_alu instid0(SALU_CYCLE_1)
	s_or_b32 exec_lo, exec_lo, s10
	v_lshrrev_b32_e32 v54, 24, v22
	v_lshrrev_b32_e32 v30, 24, v18
	v_cmp_lt_u32_e64 s10, 0xffffff, v22
	s_and_b32 vcc_lo, exec_lo, s13
	s_mov_b32 s14, -1
                                        ; implicit-def: $vgpr3
	s_cbranch_vccz .LBB4_343
; %bb.322:                              ;   in Loop: Header=BB4_129 Depth=2
	v_dual_mov_b32 v3, 0 :: v_dual_mov_b32 v0, 0
	s_and_saveexec_b32 s14, s10
	s_cbranch_execz .LBB4_332
; %bb.323:                              ;   in Loop: Header=BB4_129 Depth=2
	v_bfrev_b32_e32 v0, 1
	s_mov_b32 s15, exec_lo
	v_cmpx_ne_u32_e32 0x80, v54
	s_cbranch_execz .LBB4_331
; %bb.324:                              ;   in Loop: Header=BB4_129 Depth=2
	v_and_b32_e32 v0, 0x7c000000, v22
	v_bfe_u32 v87, v22, 24, 2
	s_delay_alu instid0(VALU_DEP_2) | instskip(SKIP_1) | instid1(SALU_CYCLE_1)
	v_cmp_ne_u32_e32 vcc_lo, 0x7c000000, v0
                                        ; implicit-def: $vgpr0
	s_and_saveexec_b32 s42, vcc_lo
	s_xor_b32 s42, exec_lo, s42
	s_cbranch_execz .LBB4_328
; %bb.325:                              ;   in Loop: Header=BB4_129 Depth=2
	v_bfe_u32 v0, v22, 26, 5
	s_mov_b32 s43, exec_lo
	s_delay_alu instid0(VALU_DEP_1)
	v_cmpx_eq_u32_e32 0, v0
; %bb.326:                              ;   in Loop: Header=BB4_129 Depth=2
	v_clz_i32_u32_e32 v0, v87
	s_delay_alu instid0(VALU_DEP_1) | instskip(NEXT) | instid1(VALU_DEP_1)
	v_min_u32_e32 v0, 32, v0
	v_subrev_nc_u32_e32 v82, 29, v0
	v_sub_nc_u32_e32 v0, 30, v0
	s_delay_alu instid0(VALU_DEP_2) | instskip(NEXT) | instid1(VALU_DEP_1)
	v_lshlrev_b64_e32 v[116:117], v82, v[54:55]
	v_and_b32_e32 v87, 3, v116
; %bb.327:                              ;   in Loop: Header=BB4_129 Depth=2
	s_or_b32 exec_lo, exec_lo, s43
	v_and_b32_e32 v82, 0x80000000, v22
	s_delay_alu instid0(VALU_DEP_1) | instskip(NEXT) | instid1(VALU_DEP_1)
	v_lshl_add_u32 v0, v0, 23, v82
	v_lshl_or_b32 v0, v87, 21, v0
                                        ; implicit-def: $vgpr87
	s_delay_alu instid0(VALU_DEP_1)
	v_add_nc_u32_e32 v0, 0x38000000, v0
.LBB4_328:                              ;   in Loop: Header=BB4_129 Depth=2
	s_and_not1_saveexec_b32 s42, s42
; %bb.329:                              ;   in Loop: Header=BB4_129 Depth=2
	v_cmp_lt_i32_e32 vcc_lo, -1, v22
	v_cndmask_b32_e32 v0, 0xff800000, v126, vcc_lo
	v_cmp_eq_u32_e32 vcc_lo, 0, v87
	s_delay_alu instid0(VALU_DEP_2)
	v_cndmask_b32_e32 v0, 0x7f800001, v0, vcc_lo
; %bb.330:                              ;   in Loop: Header=BB4_129 Depth=2
	s_or_b32 exec_lo, exec_lo, s42
.LBB4_331:                              ;   in Loop: Header=BB4_129 Depth=2
	s_delay_alu instid0(SALU_CYCLE_1)
	s_or_b32 exec_lo, exec_lo, s15
.LBB4_332:                              ;   in Loop: Header=BB4_129 Depth=2
	s_delay_alu instid0(SALU_CYCLE_1) | instskip(NEXT) | instid1(SALU_CYCLE_1)
	s_or_b32 exec_lo, exec_lo, s14
	s_mov_b32 s14, exec_lo
	v_cmpx_lt_u32_e32 0xffffff, v18
	s_cbranch_execz .LBB4_342
; %bb.333:                              ;   in Loop: Header=BB4_129 Depth=2
	v_bfrev_b32_e32 v3, 1
	s_mov_b32 s15, exec_lo
	v_cmpx_ne_u32_e32 0x80, v30
	s_cbranch_execz .LBB4_341
; %bb.334:                              ;   in Loop: Header=BB4_129 Depth=2
	v_and_b32_e32 v3, 0x7c000000, v18
	v_bfe_u32 v87, v18, 24, 2
	s_delay_alu instid0(VALU_DEP_2) | instskip(SKIP_1) | instid1(SALU_CYCLE_1)
	v_cmp_ne_u32_e32 vcc_lo, 0x7c000000, v3
                                        ; implicit-def: $vgpr3
	s_and_saveexec_b32 s42, vcc_lo
	s_xor_b32 s42, exec_lo, s42
	s_cbranch_execz .LBB4_338
; %bb.335:                              ;   in Loop: Header=BB4_129 Depth=2
	v_bfe_u32 v3, v18, 26, 5
	s_mov_b32 s43, exec_lo
	s_delay_alu instid0(VALU_DEP_1)
	v_cmpx_eq_u32_e32 0, v3
; %bb.336:                              ;   in Loop: Header=BB4_129 Depth=2
	v_clz_i32_u32_e32 v3, v87
	s_delay_alu instid0(VALU_DEP_1) | instskip(NEXT) | instid1(VALU_DEP_1)
	v_min_u32_e32 v3, 32, v3
	v_subrev_nc_u32_e32 v82, 29, v3
	s_delay_alu instid0(VALU_DEP_1) | instskip(NEXT) | instid1(VALU_DEP_1)
	v_lshlrev_b64_e32 v[116:117], v82, v[30:31]
	v_dual_sub_nc_u32 v3, 30, v3 :: v_dual_bitop2_b32 v87, 3, v116 bitop3:0x40
; %bb.337:                              ;   in Loop: Header=BB4_129 Depth=2
	s_or_b32 exec_lo, exec_lo, s43
	v_and_b32_e32 v82, 0x80000000, v18
	s_delay_alu instid0(VALU_DEP_1) | instskip(NEXT) | instid1(VALU_DEP_1)
	v_lshl_add_u32 v3, v3, 23, v82
	v_lshl_or_b32 v3, v87, 21, v3
                                        ; implicit-def: $vgpr87
	s_delay_alu instid0(VALU_DEP_1)
	v_add_nc_u32_e32 v3, 0x38000000, v3
.LBB4_338:                              ;   in Loop: Header=BB4_129 Depth=2
	s_and_not1_saveexec_b32 s42, s42
; %bb.339:                              ;   in Loop: Header=BB4_129 Depth=2
	v_cmp_lt_i32_e32 vcc_lo, -1, v18
	v_cndmask_b32_e32 v3, 0xff800000, v126, vcc_lo
	v_cmp_eq_u32_e32 vcc_lo, 0, v87
	s_delay_alu instid0(VALU_DEP_2)
	v_cndmask_b32_e32 v3, 0x7f800001, v3, vcc_lo
; %bb.340:                              ;   in Loop: Header=BB4_129 Depth=2
	s_or_b32 exec_lo, exec_lo, s42
.LBB4_341:                              ;   in Loop: Header=BB4_129 Depth=2
	s_delay_alu instid0(SALU_CYCLE_1)
	s_or_b32 exec_lo, exec_lo, s15
.LBB4_342:                              ;   in Loop: Header=BB4_129 Depth=2
	s_delay_alu instid0(SALU_CYCLE_1) | instskip(NEXT) | instid1(VALU_DEP_1)
	s_or_b32 exec_lo, exec_lo, s14
	v_dual_max_num_f32 v3, v3, v3 :: v_dual_max_num_f32 v0, v0, v0
	s_mov_b32 s14, 0
	s_delay_alu instid0(VALU_DEP_1)
	v_max_num_f32_e32 v3, v0, v3
.LBB4_343:                              ;   in Loop: Header=BB4_129 Depth=2
	s_and_b32 vcc_lo, exec_lo, s14
	s_cbranch_vccz .LBB4_365
; %bb.344:                              ;   in Loop: Header=BB4_129 Depth=2
	v_dual_mov_b32 v3, 0 :: v_dual_mov_b32 v0, 0
	s_and_saveexec_b32 s14, s10
	s_cbranch_execz .LBB4_354
; %bb.345:                              ;   in Loop: Header=BB4_129 Depth=2
	v_bfrev_b32_e32 v0, 1
	s_mov_b32 s10, exec_lo
	v_cmpx_ne_u32_e32 0x80, v54
	s_cbranch_execz .LBB4_353
; %bb.346:                              ;   in Loop: Header=BB4_129 Depth=2
	v_and_b32_e32 v0, 0x7c000000, v22
	v_bfe_u32 v87, v22, 24, 2
	s_delay_alu instid0(VALU_DEP_2) | instskip(SKIP_1) | instid1(SALU_CYCLE_1)
	v_cmp_ne_u32_e32 vcc_lo, 0x7c000000, v0
                                        ; implicit-def: $vgpr0
	s_and_saveexec_b32 s15, vcc_lo
	s_xor_b32 s15, exec_lo, s15
	s_cbranch_execz .LBB4_350
; %bb.347:                              ;   in Loop: Header=BB4_129 Depth=2
	v_bfe_u32 v0, v22, 26, 5
	s_mov_b32 s42, exec_lo
	s_delay_alu instid0(VALU_DEP_1)
	v_cmpx_eq_u32_e32 0, v0
; %bb.348:                              ;   in Loop: Header=BB4_129 Depth=2
	v_clz_i32_u32_e32 v0, v87
	s_delay_alu instid0(VALU_DEP_1) | instskip(NEXT) | instid1(VALU_DEP_1)
	v_min_u32_e32 v0, 32, v0
	v_subrev_nc_u32_e32 v82, 29, v0
	v_sub_nc_u32_e32 v0, 30, v0
	s_delay_alu instid0(VALU_DEP_2) | instskip(NEXT) | instid1(VALU_DEP_1)
	v_lshlrev_b64_e32 v[116:117], v82, v[54:55]
	v_and_b32_e32 v87, 3, v116
; %bb.349:                              ;   in Loop: Header=BB4_129 Depth=2
	s_or_b32 exec_lo, exec_lo, s42
	v_and_b32_e32 v54, 0x80000000, v22
	s_delay_alu instid0(VALU_DEP_1) | instskip(NEXT) | instid1(VALU_DEP_1)
	v_lshl_add_u32 v0, v0, 23, v54
	v_lshl_or_b32 v0, v87, 21, v0
                                        ; implicit-def: $vgpr87
	s_delay_alu instid0(VALU_DEP_1)
	v_add_nc_u32_e32 v0, 0x38000000, v0
.LBB4_350:                              ;   in Loop: Header=BB4_129 Depth=2
	s_and_not1_saveexec_b32 s15, s15
; %bb.351:                              ;   in Loop: Header=BB4_129 Depth=2
	v_cmp_lt_i32_e32 vcc_lo, -1, v22
	v_cndmask_b32_e32 v0, 0xff800000, v126, vcc_lo
	v_cmp_eq_u32_e32 vcc_lo, 0, v87
	s_delay_alu instid0(VALU_DEP_2)
	v_cndmask_b32_e32 v0, 0x7f800001, v0, vcc_lo
; %bb.352:                              ;   in Loop: Header=BB4_129 Depth=2
	s_or_b32 exec_lo, exec_lo, s15
.LBB4_353:                              ;   in Loop: Header=BB4_129 Depth=2
	s_delay_alu instid0(SALU_CYCLE_1)
	s_or_b32 exec_lo, exec_lo, s10
.LBB4_354:                              ;   in Loop: Header=BB4_129 Depth=2
	s_delay_alu instid0(SALU_CYCLE_1) | instskip(NEXT) | instid1(SALU_CYCLE_1)
	s_or_b32 exec_lo, exec_lo, s14
	s_mov_b32 s10, exec_lo
	v_cmpx_lt_u32_e32 0xffffff, v18
	s_cbranch_execz .LBB4_364
; %bb.355:                              ;   in Loop: Header=BB4_129 Depth=2
	v_bfrev_b32_e32 v3, 1
	s_mov_b32 s14, exec_lo
	v_cmpx_ne_u32_e32 0x80, v30
	s_cbranch_execz .LBB4_363
; %bb.356:                              ;   in Loop: Header=BB4_129 Depth=2
	v_and_b32_e32 v3, 0x7c000000, v18
	v_bfe_u32 v54, v18, 24, 2
	s_delay_alu instid0(VALU_DEP_2) | instskip(SKIP_1) | instid1(SALU_CYCLE_1)
	v_cmp_ne_u32_e32 vcc_lo, 0x7c000000, v3
                                        ; implicit-def: $vgpr3
	s_and_saveexec_b32 s15, vcc_lo
	s_xor_b32 s15, exec_lo, s15
	s_cbranch_execz .LBB4_360
; %bb.357:                              ;   in Loop: Header=BB4_129 Depth=2
	v_bfe_u32 v3, v18, 26, 5
	s_mov_b32 s42, exec_lo
	s_delay_alu instid0(VALU_DEP_1)
	v_cmpx_eq_u32_e32 0, v3
; %bb.358:                              ;   in Loop: Header=BB4_129 Depth=2
	v_clz_i32_u32_e32 v3, v54
	s_delay_alu instid0(VALU_DEP_1) | instskip(NEXT) | instid1(VALU_DEP_1)
	v_min_u32_e32 v3, 32, v3
	v_subrev_nc_u32_e32 v54, 29, v3
	s_delay_alu instid0(VALU_DEP_1) | instskip(NEXT) | instid1(VALU_DEP_1)
	v_lshlrev_b64_e32 v[116:117], v54, v[30:31]
	v_dual_sub_nc_u32 v3, 30, v3 :: v_dual_bitop2_b32 v54, 3, v116 bitop3:0x40
; %bb.359:                              ;   in Loop: Header=BB4_129 Depth=2
	s_or_b32 exec_lo, exec_lo, s42
	v_and_b32_e32 v30, 0x80000000, v18
	s_delay_alu instid0(VALU_DEP_1) | instskip(NEXT) | instid1(VALU_DEP_1)
	v_lshl_add_u32 v3, v3, 23, v30
	v_lshl_or_b32 v3, v54, 21, v3
                                        ; implicit-def: $vgpr54
	s_delay_alu instid0(VALU_DEP_1)
	v_add_nc_u32_e32 v3, 0x38000000, v3
.LBB4_360:                              ;   in Loop: Header=BB4_129 Depth=2
	s_and_not1_saveexec_b32 s15, s15
; %bb.361:                              ;   in Loop: Header=BB4_129 Depth=2
	v_cmp_lt_i32_e32 vcc_lo, -1, v18
	v_cndmask_b32_e32 v3, 0xff800000, v126, vcc_lo
	v_cmp_eq_u32_e32 vcc_lo, 0, v54
	s_delay_alu instid0(VALU_DEP_2)
	v_cndmask_b32_e32 v3, 0x7f800001, v3, vcc_lo
; %bb.362:                              ;   in Loop: Header=BB4_129 Depth=2
	s_or_b32 exec_lo, exec_lo, s15
.LBB4_363:                              ;   in Loop: Header=BB4_129 Depth=2
	s_delay_alu instid0(SALU_CYCLE_1)
	s_or_b32 exec_lo, exec_lo, s14
.LBB4_364:                              ;   in Loop: Header=BB4_129 Depth=2
	s_delay_alu instid0(SALU_CYCLE_1) | instskip(NEXT) | instid1(VALU_DEP_1)
	s_or_b32 exec_lo, exec_lo, s10
	v_dual_max_num_f32 v3, v3, v3 :: v_dual_max_num_f32 v0, v0, v0
	s_delay_alu instid0(VALU_DEP_1)
	v_min_num_f32_e32 v3, v0, v3
.LBB4_365:                              ;   in Loop: Header=BB4_129 Depth=2
	s_delay_alu instid0(VALU_DEP_1) | instskip(SKIP_3) | instid1(VALU_DEP_2)
	v_and_b32_e32 v116, 0x7f800000, v3
	v_dual_mov_b32 v117, v55 :: v_dual_lshrrev_b32 v0, 24, v3
	v_and_b32_e32 v54, 0x7fffff, v3
                                        ; implicit-def: $vgpr45
	s_mov_b32 s10, exec_lo
	v_cmpx_ne_u64_e32 0x7f800000, v[116:117]
	s_xor_b32 s14, exec_lo, s10
	s_cbranch_execz .LBB4_379
; %bb.366:                              ;   in Loop: Header=BB4_129 Depth=2
	v_and_b32_e32 v116, 0x7fffffff, v3
	v_mov_b32_e32 v117, v55
	v_and_b32_e32 v0, 0x80, v0
                                        ; implicit-def: $vgpr45
	s_mov_b32 s10, exec_lo
	s_delay_alu instid0(VALU_DEP_2)
	v_cmpx_gt_u64_e32 0x47600001, v[116:117]
	s_xor_b32 s15, exec_lo, s10
	s_cbranch_execz .LBB4_376
; %bb.367:                              ;   in Loop: Header=BB4_129 Depth=2
	v_mov_b32_e32 v45, 0
	s_mov_b32 s42, exec_lo
	v_cmpx_ne_u32_e32 0, v3
	s_cbranch_execz .LBB4_375
; %bb.368:                              ;   in Loop: Header=BB4_129 Depth=2
	v_bfe_u32 v3, v3, 23, 8
	v_or_b32_e32 v83, 0x800000, v54
	s_delay_alu instid0(VALU_DEP_2) | instskip(SKIP_1) | instid1(VALU_DEP_2)
	v_sub_nc_u32_e32 v30, 0x71, v3
	v_cmp_gt_u32_e32 vcc_lo, 0x72, v3
	v_cndmask_b32_e32 v30, 0, v30, vcc_lo
	v_cmp_eq_u32_e32 vcc_lo, 0, v3
	s_delay_alu instid0(VALU_DEP_2) | instskip(SKIP_1) | instid1(VALU_DEP_2)
	v_cndmask_b32_e64 v30, v30, 0x70, vcc_lo
	v_cndmask_b32_e32 v54, v83, v54, vcc_lo
	v_add_nc_u32_e32 v82, 21, v30
	s_delay_alu instid0(VALU_DEP_1) | instskip(SKIP_1) | instid1(VALU_DEP_1)
	v_lshlrev_b64_e64 v[116:117], v82, -1
	v_add_nc_u32_e32 v82, 20, v30
	v_lshlrev_b64_e64 v[118:119], v82, 1
	s_delay_alu instid0(VALU_DEP_3) | instskip(NEXT) | instid1(VALU_DEP_4)
	v_bfi_b32 v41, v117, 0, 0
	v_bfi_b32 v40, v116, 0, v54
	v_lshrrev_b64 v[116:117], v30, v[54:55]
	s_delay_alu instid0(VALU_DEP_2) | instskip(NEXT) | instid1(VALU_DEP_2)
	v_cmp_eq_u64_e64 s10, v[40:41], v[118:119]
	v_mov_b64_e32 v[118:119], v[116:117]
	s_and_saveexec_b32 s43, s10
; %bb.369:                              ;   in Loop: Header=BB4_129 Depth=2
	v_bfe_u32 v54, v116, 21, 1
	s_delay_alu instid0(VALU_DEP_1) | instskip(NEXT) | instid1(VALU_DEP_1)
	v_add_nc_u64_e32 v[118:119], v[116:117], v[54:55]
	v_add_nc_u64_e32 v[118:119], -1, v[118:119]
; %bb.370:                              ;   in Loop: Header=BB4_129 Depth=2
	s_or_b32 exec_lo, exec_lo, s43
	v_add_nc_u32_e32 v3, 0xffffff81, v3
	v_lshrrev_b32_e32 v54, 23, v116
	s_mov_b32 s10, exec_lo
	s_delay_alu instid0(VALU_DEP_2) | instskip(NEXT) | instid1(VALU_DEP_1)
	v_cndmask_b32_e64 v3, v3, 0xffffff82, vcc_lo
	v_add3_u32 v30, v30, v3, v54
	v_and_b32_e32 v3, 0x1fffff, v118
	s_delay_alu instid0(VALU_DEP_1) | instskip(NEXT) | instid1(VALU_DEP_1)
	v_dual_add_nc_u32 v87, 14, v30 :: v_dual_add_nc_u32 v54, v3, v116
                                        ; implicit-def: $vgpr116_vgpr117
                                        ; implicit-def: $vgpr3
	v_cmpx_ne_u32_e32 0, v87
	s_xor_b32 s10, exec_lo, s10
; %bb.371:                              ;   in Loop: Header=BB4_129 Depth=2
	s_delay_alu instid0(VALU_DEP_2) | instskip(SKIP_2) | instid1(VALU_DEP_2)
	v_cmp_lt_u64_e32 vcc_lo, 0xffffff, v[54:55]
	v_add_nc_u32_e32 v3, 15, v30
	v_cndmask_b32_e64 v30, 0, 1, vcc_lo
	v_cndmask_b32_e32 v3, v87, v3, vcc_lo
	s_delay_alu instid0(VALU_DEP_2)
	v_lshrrev_b64 v[116:117], v30, v[54:55]
; %bb.372:                              ;   in Loop: Header=BB4_129 Depth=2
	s_and_not1_saveexec_b32 s10, s10
; %bb.373:                              ;   in Loop: Header=BB4_129 Depth=2
	v_mov_b64_e32 v[116:117], v[54:55]
	v_bfe_u32 v3, v54, 23, 1
; %bb.374:                              ;   in Loop: Header=BB4_129 Depth=2
	s_or_b32 exec_lo, exec_lo, s10
	s_delay_alu instid0(VALU_DEP_2) | instskip(NEXT) | instid1(VALU_DEP_2)
	v_lshrrev_b64 v[116:117], 21, v[116:117]
	v_cmp_gt_i32_e32 vcc_lo, 32, v3
	v_min_i32_e32 v30, 31, v3
	v_cmp_eq_u32_e64 s10, 0, v3
	s_delay_alu instid0(VALU_DEP_2) | instskip(SKIP_1) | instid1(VALU_DEP_2)
	v_dual_cndmask_b32 v117, 0, v117 :: v_dual_lshlrev_b32 v30, 2, v30
	v_cndmask_b32_e32 v116, 3, v116, vcc_lo
	v_and_b32_e32 v30, 0xfc, v30
	s_delay_alu instid0(VALU_DEP_2) | instskip(NEXT) | instid1(VALU_DEP_2)
	v_cmp_eq_u64_e32 vcc_lo, 0, v[116:117]
	v_and_or_b32 v3, v116, 3, v30
	s_and_b32 s10, s10, vcc_lo
	s_delay_alu instid0(VALU_DEP_1) | instid1(SALU_CYCLE_1)
	v_cndmask_b32_e64 v3, v3, 0, s10
	s_delay_alu instid0(VALU_DEP_1)
	v_or_b32_e32 v45, v3, v0
.LBB4_375:                              ;   in Loop: Header=BB4_129 Depth=2
	s_or_b32 exec_lo, exec_lo, s42
                                        ; implicit-def: $vgpr0
.LBB4_376:                              ;   in Loop: Header=BB4_129 Depth=2
	s_and_not1_saveexec_b32 s10, s15
; %bb.377:                              ;   in Loop: Header=BB4_129 Depth=2
	v_or_b32_e32 v45, 0x7b, v0
; %bb.378:                              ;   in Loop: Header=BB4_129 Depth=2
	s_or_b32 exec_lo, exec_lo, s10
                                        ; implicit-def: $vgpr3
                                        ; implicit-def: $vgpr0
.LBB4_379:                              ;   in Loop: Header=BB4_129 Depth=2
	s_and_not1_saveexec_b32 s10, s14
	s_cbranch_execz .LBB4_385
; %bb.380:                              ;   in Loop: Header=BB4_129 Depth=2
	s_mov_b32 s14, exec_lo
                                        ; implicit-def: $vgpr45
	v_cmpx_ne_u64_e32 0, v[54:55]
	s_xor_b32 s14, exec_lo, s14
; %bb.381:                              ;   in Loop: Header=BB4_129 Depth=2
	v_or_b32_e32 v45, 0x7f, v0
                                        ; implicit-def: $vgpr3
; %bb.382:                              ;   in Loop: Header=BB4_129 Depth=2
	s_and_not1_saveexec_b32 s14, s14
; %bb.383:                              ;   in Loop: Header=BB4_129 Depth=2
	v_cmp_lt_i32_e32 vcc_lo, -1, v3
	v_cndmask_b32_e32 v45, 0xfc, v122, vcc_lo
; %bb.384:                              ;   in Loop: Header=BB4_129 Depth=2
	s_or_b32 exec_lo, exec_lo, s14
.LBB4_385:                              ;   in Loop: Header=BB4_129 Depth=2
	s_delay_alu instid0(SALU_CYCLE_1) | instskip(SKIP_4) | instid1(VALU_DEP_3)
	s_or_b32 exec_lo, exec_lo, s10
	v_and_b32_e32 v0, 0xff, v23
	v_dual_mov_b32 v54, v23 :: v_dual_mov_b32 v116, v19
	v_mov_b32_e32 v117, v55
	s_and_b32 vcc_lo, exec_lo, s13
	v_cmp_ne_u16_e64 s10, 0, v0
	s_mov_b32 s14, -1
                                        ; implicit-def: $vgpr3
	s_cbranch_vccz .LBB4_407
; %bb.386:                              ;   in Loop: Header=BB4_129 Depth=2
	v_dual_mov_b32 v30, 0 :: v_dual_mov_b32 v3, 0
	s_and_saveexec_b32 s14, s10
	s_cbranch_execz .LBB4_396
; %bb.387:                              ;   in Loop: Header=BB4_129 Depth=2
	v_bfrev_b32_e32 v3, 1
	s_mov_b32 s15, exec_lo
	v_cmpx_ne_u16_e32 0x80, v0
	s_cbranch_execz .LBB4_395
; %bb.388:                              ;   in Loop: Header=BB4_129 Depth=2
	v_and_b32_e32 v3, 0x7c, v23
	v_and_b32_e32 v87, 3, v23
	s_delay_alu instid0(VALU_DEP_2) | instskip(SKIP_1) | instid1(SALU_CYCLE_1)
	v_cmp_ne_u32_e32 vcc_lo, 0x7c, v3
                                        ; implicit-def: $vgpr3
	s_and_saveexec_b32 s42, vcc_lo
	s_xor_b32 s42, exec_lo, s42
	s_cbranch_execz .LBB4_392
; %bb.389:                              ;   in Loop: Header=BB4_129 Depth=2
	v_bfe_u32 v3, v23, 2, 5
	s_mov_b32 s43, exec_lo
	s_delay_alu instid0(VALU_DEP_1)
	v_cmpx_eq_u32_e32 0, v3
; %bb.390:                              ;   in Loop: Header=BB4_129 Depth=2
	v_clz_i32_u32_e32 v3, v87
	s_delay_alu instid0(VALU_DEP_1) | instskip(NEXT) | instid1(VALU_DEP_1)
	v_min_u32_e32 v3, 32, v3
	v_subrev_nc_u32_e32 v82, 29, v3
	s_delay_alu instid0(VALU_DEP_1) | instskip(NEXT) | instid1(VALU_DEP_1)
	v_lshlrev_b64_e32 v[118:119], v82, v[54:55]
	v_dual_sub_nc_u32 v3, 30, v3 :: v_dual_bitop2_b32 v87, 3, v118 bitop3:0x40
; %bb.391:                              ;   in Loop: Header=BB4_129 Depth=2
	s_or_b32 exec_lo, exec_lo, s43
	v_lshlrev_b32_e32 v82, 24, v23
	s_delay_alu instid0(VALU_DEP_1) | instskip(NEXT) | instid1(VALU_DEP_1)
	v_and_b32_e32 v82, 0x80000000, v82
	v_lshl_add_u32 v3, v3, 23, v82
	s_delay_alu instid0(VALU_DEP_1) | instskip(NEXT) | instid1(VALU_DEP_1)
	v_lshl_or_b32 v3, v87, 21, v3
                                        ; implicit-def: $vgpr87
	v_add_nc_u32_e32 v3, 0x38000000, v3
.LBB4_392:                              ;   in Loop: Header=BB4_129 Depth=2
	s_and_not1_saveexec_b32 s42, s42
; %bb.393:                              ;   in Loop: Header=BB4_129 Depth=2
	v_bfe_i32 v3, v23, 0, 8
	s_delay_alu instid0(VALU_DEP_1) | instskip(SKIP_2) | instid1(VALU_DEP_2)
	v_cmp_lt_i16_e32 vcc_lo, -1, v3
	v_cndmask_b32_e32 v3, 0xff800000, v126, vcc_lo
	v_cmp_eq_u32_e32 vcc_lo, 0, v87
	v_cndmask_b32_e32 v3, 0x7f800001, v3, vcc_lo
; %bb.394:                              ;   in Loop: Header=BB4_129 Depth=2
	s_or_b32 exec_lo, exec_lo, s42
.LBB4_395:                              ;   in Loop: Header=BB4_129 Depth=2
	s_delay_alu instid0(SALU_CYCLE_1)
	s_or_b32 exec_lo, exec_lo, s15
.LBB4_396:                              ;   in Loop: Header=BB4_129 Depth=2
	s_delay_alu instid0(SALU_CYCLE_1) | instskip(SKIP_2) | instid1(VALU_DEP_1)
	s_or_b32 exec_lo, exec_lo, s14
	v_and_b32_e32 v87, 0xff, v19
	s_mov_b32 s14, exec_lo
	v_cmpx_ne_u16_e32 0, v87
	s_cbranch_execz .LBB4_406
; %bb.397:                              ;   in Loop: Header=BB4_129 Depth=2
	v_bfrev_b32_e32 v30, 1
	s_mov_b32 s15, exec_lo
	v_cmpx_ne_u16_e32 0x80, v87
	s_cbranch_execz .LBB4_405
; %bb.398:                              ;   in Loop: Header=BB4_129 Depth=2
	v_and_b32_e32 v30, 0x7c, v19
	v_and_b32_e32 v87, 3, v19
	s_delay_alu instid0(VALU_DEP_2) | instskip(SKIP_1) | instid1(SALU_CYCLE_1)
	v_cmp_ne_u32_e32 vcc_lo, 0x7c, v30
                                        ; implicit-def: $vgpr30
	s_and_saveexec_b32 s42, vcc_lo
	s_xor_b32 s42, exec_lo, s42
	s_cbranch_execz .LBB4_402
; %bb.399:                              ;   in Loop: Header=BB4_129 Depth=2
	v_bfe_u32 v30, v19, 2, 5
	s_mov_b32 s43, exec_lo
	s_delay_alu instid0(VALU_DEP_1)
	v_cmpx_eq_u32_e32 0, v30
; %bb.400:                              ;   in Loop: Header=BB4_129 Depth=2
	v_clz_i32_u32_e32 v30, v87
	s_delay_alu instid0(VALU_DEP_1) | instskip(NEXT) | instid1(VALU_DEP_1)
	v_min_u32_e32 v30, 32, v30
	v_subrev_nc_u32_e32 v82, 29, v30
	v_sub_nc_u32_e32 v30, 30, v30
	s_delay_alu instid0(VALU_DEP_2) | instskip(NEXT) | instid1(VALU_DEP_1)
	v_lshlrev_b64_e32 v[118:119], v82, v[116:117]
	v_and_b32_e32 v87, 3, v118
; %bb.401:                              ;   in Loop: Header=BB4_129 Depth=2
	s_or_b32 exec_lo, exec_lo, s43
	v_lshlrev_b32_e32 v82, 24, v19
	s_delay_alu instid0(VALU_DEP_1) | instskip(NEXT) | instid1(VALU_DEP_1)
	v_and_b32_e32 v82, 0x80000000, v82
	v_lshl_add_u32 v30, v30, 23, v82
	s_delay_alu instid0(VALU_DEP_1) | instskip(NEXT) | instid1(VALU_DEP_1)
	v_lshl_or_b32 v30, v87, 21, v30
                                        ; implicit-def: $vgpr87
	v_add_nc_u32_e32 v30, 0x38000000, v30
.LBB4_402:                              ;   in Loop: Header=BB4_129 Depth=2
	s_and_not1_saveexec_b32 s42, s42
; %bb.403:                              ;   in Loop: Header=BB4_129 Depth=2
	v_bfe_i32 v30, v19, 0, 8
	s_delay_alu instid0(VALU_DEP_1) | instskip(SKIP_2) | instid1(VALU_DEP_2)
	v_cmp_lt_i16_e32 vcc_lo, -1, v30
	v_cndmask_b32_e32 v30, 0xff800000, v126, vcc_lo
	v_cmp_eq_u32_e32 vcc_lo, 0, v87
	v_cndmask_b32_e32 v30, 0x7f800001, v30, vcc_lo
; %bb.404:                              ;   in Loop: Header=BB4_129 Depth=2
	s_or_b32 exec_lo, exec_lo, s42
.LBB4_405:                              ;   in Loop: Header=BB4_129 Depth=2
	s_delay_alu instid0(SALU_CYCLE_1)
	s_or_b32 exec_lo, exec_lo, s15
.LBB4_406:                              ;   in Loop: Header=BB4_129 Depth=2
	s_delay_alu instid0(SALU_CYCLE_1) | instskip(NEXT) | instid1(VALU_DEP_1)
	s_or_b32 exec_lo, exec_lo, s14
	v_dual_max_num_f32 v30, v30, v30 :: v_dual_max_num_f32 v3, v3, v3
	s_mov_b32 s14, 0
	s_delay_alu instid0(VALU_DEP_1)
	v_max_num_f32_e32 v3, v3, v30
.LBB4_407:                              ;   in Loop: Header=BB4_129 Depth=2
	s_and_b32 vcc_lo, exec_lo, s14
	s_cbranch_vccz .LBB4_429
; %bb.408:                              ;   in Loop: Header=BB4_129 Depth=2
	v_dual_mov_b32 v30, 0 :: v_dual_mov_b32 v3, 0
	s_and_saveexec_b32 s14, s10
	s_cbranch_execz .LBB4_418
; %bb.409:                              ;   in Loop: Header=BB4_129 Depth=2
	v_bfrev_b32_e32 v3, 1
	s_mov_b32 s10, exec_lo
	v_cmpx_ne_u16_e32 0x80, v0
	s_cbranch_execz .LBB4_417
; %bb.410:                              ;   in Loop: Header=BB4_129 Depth=2
	v_and_b32_e32 v3, 0x7c, v23
	v_and_b32_e32 v0, 3, v23
	s_delay_alu instid0(VALU_DEP_2) | instskip(SKIP_1) | instid1(SALU_CYCLE_1)
	v_cmp_ne_u32_e32 vcc_lo, 0x7c, v3
                                        ; implicit-def: $vgpr3
	s_and_saveexec_b32 s15, vcc_lo
	s_xor_b32 s15, exec_lo, s15
	s_cbranch_execz .LBB4_414
; %bb.411:                              ;   in Loop: Header=BB4_129 Depth=2
	v_bfe_u32 v3, v23, 2, 5
	s_mov_b32 s42, exec_lo
	s_delay_alu instid0(VALU_DEP_1)
	v_cmpx_eq_u32_e32 0, v3
; %bb.412:                              ;   in Loop: Header=BB4_129 Depth=2
	v_clz_i32_u32_e32 v0, v0
	s_delay_alu instid0(VALU_DEP_1) | instskip(NEXT) | instid1(VALU_DEP_1)
	v_min_u32_e32 v0, 32, v0
	v_subrev_nc_u32_e32 v3, 29, v0
	s_delay_alu instid0(VALU_DEP_1) | instskip(NEXT) | instid1(VALU_DEP_1)
	v_lshlrev_b64_e32 v[118:119], v3, v[54:55]
	v_dual_sub_nc_u32 v3, 30, v0 :: v_dual_bitop2_b32 v0, 3, v118 bitop3:0x40
; %bb.413:                              ;   in Loop: Header=BB4_129 Depth=2
	s_or_b32 exec_lo, exec_lo, s42
	v_lshlrev_b32_e32 v82, 24, v23
	s_delay_alu instid0(VALU_DEP_1) | instskip(NEXT) | instid1(VALU_DEP_1)
	v_and_b32_e32 v82, 0x80000000, v82
	v_lshl_add_u32 v3, v3, 23, v82
	s_delay_alu instid0(VALU_DEP_1) | instskip(NEXT) | instid1(VALU_DEP_1)
	v_lshl_or_b32 v0, v0, 21, v3
	v_add_nc_u32_e32 v3, 0x38000000, v0
                                        ; implicit-def: $vgpr0
.LBB4_414:                              ;   in Loop: Header=BB4_129 Depth=2
	s_and_not1_saveexec_b32 s15, s15
; %bb.415:                              ;   in Loop: Header=BB4_129 Depth=2
	v_bfe_i32 v3, v23, 0, 8
	s_delay_alu instid0(VALU_DEP_1) | instskip(SKIP_2) | instid1(VALU_DEP_2)
	v_cmp_lt_i16_e32 vcc_lo, -1, v3
	v_cndmask_b32_e32 v3, 0xff800000, v126, vcc_lo
	v_cmp_eq_u32_e32 vcc_lo, 0, v0
	v_cndmask_b32_e32 v3, 0x7f800001, v3, vcc_lo
; %bb.416:                              ;   in Loop: Header=BB4_129 Depth=2
	s_or_b32 exec_lo, exec_lo, s15
.LBB4_417:                              ;   in Loop: Header=BB4_129 Depth=2
	s_delay_alu instid0(SALU_CYCLE_1)
	s_or_b32 exec_lo, exec_lo, s10
.LBB4_418:                              ;   in Loop: Header=BB4_129 Depth=2
	s_delay_alu instid0(SALU_CYCLE_1) | instskip(SKIP_2) | instid1(VALU_DEP_1)
	s_or_b32 exec_lo, exec_lo, s14
	v_and_b32_e32 v0, 0xff, v19
	s_mov_b32 s10, exec_lo
	v_cmpx_ne_u16_e32 0, v0
	s_cbranch_execz .LBB4_428
; %bb.419:                              ;   in Loop: Header=BB4_129 Depth=2
	v_bfrev_b32_e32 v30, 1
	s_mov_b32 s14, exec_lo
	v_cmpx_ne_u16_e32 0x80, v0
	s_cbranch_execz .LBB4_427
; %bb.420:                              ;   in Loop: Header=BB4_129 Depth=2
	v_and_b32_e32 v30, 0x7c, v19
	v_and_b32_e32 v0, 3, v19
	s_delay_alu instid0(VALU_DEP_2) | instskip(SKIP_1) | instid1(SALU_CYCLE_1)
	v_cmp_ne_u32_e32 vcc_lo, 0x7c, v30
                                        ; implicit-def: $vgpr30
	s_and_saveexec_b32 s15, vcc_lo
	s_xor_b32 s15, exec_lo, s15
	s_cbranch_execz .LBB4_424
; %bb.421:                              ;   in Loop: Header=BB4_129 Depth=2
	v_bfe_u32 v30, v19, 2, 5
	s_mov_b32 s42, exec_lo
	s_delay_alu instid0(VALU_DEP_1)
	v_cmpx_eq_u32_e32 0, v30
; %bb.422:                              ;   in Loop: Header=BB4_129 Depth=2
	v_clz_i32_u32_e32 v0, v0
	s_delay_alu instid0(VALU_DEP_1) | instskip(NEXT) | instid1(VALU_DEP_1)
	v_min_u32_e32 v0, 32, v0
	v_subrev_nc_u32_e32 v30, 29, v0
	s_delay_alu instid0(VALU_DEP_1) | instskip(NEXT) | instid1(VALU_DEP_1)
	v_lshlrev_b64_e32 v[118:119], v30, v[116:117]
	v_dual_sub_nc_u32 v30, 30, v0 :: v_dual_bitop2_b32 v0, 3, v118 bitop3:0x40
; %bb.423:                              ;   in Loop: Header=BB4_129 Depth=2
	s_or_b32 exec_lo, exec_lo, s42
	v_lshlrev_b32_e32 v82, 24, v19
	s_delay_alu instid0(VALU_DEP_1) | instskip(NEXT) | instid1(VALU_DEP_1)
	v_and_b32_e32 v82, 0x80000000, v82
	v_lshl_add_u32 v30, v30, 23, v82
	s_delay_alu instid0(VALU_DEP_1) | instskip(NEXT) | instid1(VALU_DEP_1)
	v_lshl_or_b32 v0, v0, 21, v30
	v_add_nc_u32_e32 v30, 0x38000000, v0
                                        ; implicit-def: $vgpr0
.LBB4_424:                              ;   in Loop: Header=BB4_129 Depth=2
	s_and_not1_saveexec_b32 s15, s15
; %bb.425:                              ;   in Loop: Header=BB4_129 Depth=2
	v_bfe_i32 v30, v19, 0, 8
	s_delay_alu instid0(VALU_DEP_1) | instskip(SKIP_2) | instid1(VALU_DEP_2)
	v_cmp_lt_i16_e32 vcc_lo, -1, v30
	v_cndmask_b32_e32 v30, 0xff800000, v126, vcc_lo
	v_cmp_eq_u32_e32 vcc_lo, 0, v0
	v_cndmask_b32_e32 v30, 0x7f800001, v30, vcc_lo
; %bb.426:                              ;   in Loop: Header=BB4_129 Depth=2
	s_or_b32 exec_lo, exec_lo, s15
.LBB4_427:                              ;   in Loop: Header=BB4_129 Depth=2
	s_delay_alu instid0(SALU_CYCLE_1)
	s_or_b32 exec_lo, exec_lo, s14
.LBB4_428:                              ;   in Loop: Header=BB4_129 Depth=2
	s_delay_alu instid0(SALU_CYCLE_1) | instskip(NEXT) | instid1(VALU_DEP_1)
	s_or_b32 exec_lo, exec_lo, s10
	v_dual_max_num_f32 v0, v30, v30 :: v_dual_max_num_f32 v3, v3, v3
	s_delay_alu instid0(VALU_DEP_1)
	v_min_num_f32_e32 v3, v3, v0
.LBB4_429:                              ;   in Loop: Header=BB4_129 Depth=2
	s_delay_alu instid0(VALU_DEP_1) | instskip(SKIP_4) | instid1(VALU_DEP_3)
	v_and_b32_e32 v40, 0x7f800000, v3
	v_dual_mov_b32 v41, v55 :: v_dual_mov_b32 v119, v55
	v_and_b32_e32 v118, 0x7fffff, v3
	v_lshrrev_b32_e32 v0, 24, v3
                                        ; implicit-def: $vgpr46
	s_mov_b32 s10, exec_lo
	v_cmpx_ne_u64_e32 0x7f800000, v[40:41]
	s_xor_b32 s14, exec_lo, s10
	s_cbranch_execz .LBB4_443
; %bb.430:                              ;   in Loop: Header=BB4_129 Depth=2
	v_and_b32_e32 v40, 0x7fffffff, v3
	v_mov_b32_e32 v41, v55
	v_and_b32_e32 v0, 0x80, v0
                                        ; implicit-def: $vgpr46
	s_mov_b32 s10, exec_lo
	s_delay_alu instid0(VALU_DEP_2)
	v_cmpx_gt_u64_e32 0x47600001, v[40:41]
	s_xor_b32 s15, exec_lo, s10
	s_cbranch_execz .LBB4_440
; %bb.431:                              ;   in Loop: Header=BB4_129 Depth=2
	v_mov_b32_e32 v46, 0
	s_mov_b32 s42, exec_lo
	v_cmpx_ne_u32_e32 0, v3
	s_cbranch_execz .LBB4_439
; %bb.432:                              ;   in Loop: Header=BB4_129 Depth=2
	v_bfe_u32 v3, v3, 23, 8
	v_or_b32_e32 v83, 0x800000, v118
	s_delay_alu instid0(VALU_DEP_2) | instskip(SKIP_1) | instid1(VALU_DEP_2)
	v_sub_nc_u32_e32 v30, 0x71, v3
	v_cmp_gt_u32_e32 vcc_lo, 0x72, v3
	v_cndmask_b32_e32 v30, 0, v30, vcc_lo
	v_cmp_eq_u32_e32 vcc_lo, 0, v3
	s_delay_alu instid0(VALU_DEP_2) | instskip(SKIP_1) | instid1(VALU_DEP_2)
	v_cndmask_b32_e64 v30, v30, 0x70, vcc_lo
	v_cndmask_b32_e32 v118, v83, v118, vcc_lo
	v_add_nc_u32_e32 v82, 21, v30
	s_delay_alu instid0(VALU_DEP_1) | instskip(SKIP_1) | instid1(VALU_DEP_1)
	v_lshlrev_b64_e64 v[40:41], v82, -1
	v_add_nc_u32_e32 v82, 20, v30
	v_lshlrev_b64_e64 v[46:47], v82, 1
	s_delay_alu instid0(VALU_DEP_3) | instskip(SKIP_2) | instid1(VALU_DEP_1)
	v_bfi_b32 v40, v40, 0, v118
	v_lshrrev_b64 v[118:119], v30, v[118:119]
	v_bfi_b32 v41, v41, 0, 0
	v_cmp_eq_u64_e64 s10, v[40:41], v[46:47]
	s_delay_alu instid0(VALU_DEP_3)
	v_mov_b64_e32 v[40:41], v[118:119]
	s_and_saveexec_b32 s43, s10
; %bb.433:                              ;   in Loop: Header=BB4_129 Depth=2
	v_bfe_u32 v40, v118, 21, 1
	v_mov_b32_e32 v41, v55
	s_delay_alu instid0(VALU_DEP_1) | instskip(NEXT) | instid1(VALU_DEP_1)
	v_add_nc_u64_e32 v[40:41], v[118:119], v[40:41]
	v_add_nc_u64_e32 v[40:41], -1, v[40:41]
; %bb.434:                              ;   in Loop: Header=BB4_129 Depth=2
	s_or_b32 exec_lo, exec_lo, s43
	v_add_nc_u32_e32 v3, 0xffffff81, v3
	v_lshrrev_b32_e32 v82, 23, v118
	s_mov_b32 s10, exec_lo
	v_mov_b32_e32 v119, v55
	s_delay_alu instid0(VALU_DEP_3) | instskip(NEXT) | instid1(VALU_DEP_1)
	v_cndmask_b32_e64 v3, v3, 0xffffff82, vcc_lo
	v_add3_u32 v30, v30, v3, v82
	v_and_b32_e32 v3, 0x1fffff, v40
	s_delay_alu instid0(VALU_DEP_2) | instskip(NEXT) | instid1(VALU_DEP_2)
	v_add_nc_u32_e32 v87, 14, v30
	v_add_nc_u32_e32 v118, v3, v118
                                        ; implicit-def: $vgpr3
	s_delay_alu instid0(VALU_DEP_2)
	v_cmpx_ne_u32_e32 0, v87
	s_xor_b32 s10, exec_lo, s10
; %bb.435:                              ;   in Loop: Header=BB4_129 Depth=2
	s_delay_alu instid0(VALU_DEP_2) | instskip(SKIP_2) | instid1(VALU_DEP_2)
	v_cmp_lt_u64_e32 vcc_lo, 0xffffff, v[118:119]
	v_add_nc_u32_e32 v3, 15, v30
	v_cndmask_b32_e64 v30, 0, 1, vcc_lo
	v_cndmask_b32_e32 v3, v87, v3, vcc_lo
	s_delay_alu instid0(VALU_DEP_2)
	v_lshrrev_b64 v[118:119], v30, v[118:119]
; %bb.436:                              ;   in Loop: Header=BB4_129 Depth=2
	s_and_not1_saveexec_b32 s10, s10
; %bb.437:                              ;   in Loop: Header=BB4_129 Depth=2
	s_delay_alu instid0(VALU_DEP_1)
	v_bfe_u32 v3, v118, 23, 1
; %bb.438:                              ;   in Loop: Header=BB4_129 Depth=2
	s_or_b32 exec_lo, exec_lo, s10
	s_delay_alu instid0(VALU_DEP_2) | instskip(NEXT) | instid1(VALU_DEP_2)
	v_lshrrev_b64 v[118:119], 21, v[118:119]
	v_cmp_gt_i32_e32 vcc_lo, 32, v3
	v_min_i32_e32 v30, 31, v3
	v_cmp_eq_u32_e64 s10, 0, v3
	s_delay_alu instid0(VALU_DEP_4) | instskip(NEXT) | instid1(VALU_DEP_3)
	v_cndmask_b32_e32 v118, 3, v118, vcc_lo
	v_dual_cndmask_b32 v119, 0, v119 :: v_dual_lshlrev_b32 v30, 2, v30
	s_delay_alu instid0(VALU_DEP_1) | instskip(NEXT) | instid1(VALU_DEP_2)
	v_and_b32_e32 v30, 0xfc, v30
	v_cmp_eq_u64_e32 vcc_lo, 0, v[118:119]
	s_delay_alu instid0(VALU_DEP_2)
	v_and_or_b32 v3, v118, 3, v30
	s_and_b32 s10, s10, vcc_lo
	s_delay_alu instid0(VALU_DEP_1) | instid1(SALU_CYCLE_1)
	v_cndmask_b32_e64 v3, v3, 0, s10
	s_delay_alu instid0(VALU_DEP_1)
	v_or_b32_e32 v46, v3, v0
.LBB4_439:                              ;   in Loop: Header=BB4_129 Depth=2
	s_or_b32 exec_lo, exec_lo, s42
                                        ; implicit-def: $vgpr0
.LBB4_440:                              ;   in Loop: Header=BB4_129 Depth=2
	s_and_not1_saveexec_b32 s10, s15
; %bb.441:                              ;   in Loop: Header=BB4_129 Depth=2
	v_or_b32_e32 v46, 0x7b, v0
; %bb.442:                              ;   in Loop: Header=BB4_129 Depth=2
	s_or_b32 exec_lo, exec_lo, s10
                                        ; implicit-def: $vgpr3
                                        ; implicit-def: $vgpr118_vgpr119
                                        ; implicit-def: $vgpr0
.LBB4_443:                              ;   in Loop: Header=BB4_129 Depth=2
	s_and_not1_saveexec_b32 s10, s14
	s_cbranch_execz .LBB4_449
; %bb.444:                              ;   in Loop: Header=BB4_129 Depth=2
	s_mov_b32 s14, exec_lo
                                        ; implicit-def: $vgpr46
	v_cmpx_ne_u64_e32 0, v[118:119]
	s_xor_b32 s14, exec_lo, s14
; %bb.445:                              ;   in Loop: Header=BB4_129 Depth=2
	v_or_b32_e32 v46, 0x7f, v0
                                        ; implicit-def: $vgpr3
; %bb.446:                              ;   in Loop: Header=BB4_129 Depth=2
	s_and_not1_saveexec_b32 s14, s14
; %bb.447:                              ;   in Loop: Header=BB4_129 Depth=2
	v_cmp_lt_i32_e32 vcc_lo, -1, v3
	v_cndmask_b32_e32 v46, 0xfc, v122, vcc_lo
; %bb.448:                              ;   in Loop: Header=BB4_129 Depth=2
	s_or_b32 exec_lo, exec_lo, s14
.LBB4_449:                              ;   in Loop: Header=BB4_129 Depth=2
	s_delay_alu instid0(SALU_CYCLE_1) | instskip(SKIP_4) | instid1(VALU_DEP_2)
	s_or_b32 exec_lo, exec_lo, s10
	v_lshrrev_b16 v40, 8, v54
	v_lshrrev_b16 v118, 8, v116
	s_and_b32 vcc_lo, exec_lo, s13
	s_mov_b32 s14, -1
                                        ; implicit-def: $vgpr3
	v_and_b32_e32 v0, 0xffff, v40
	v_cmp_ne_u16_e64 s10, 0, v40
	s_cbranch_vccz .LBB4_471
; %bb.450:                              ;   in Loop: Header=BB4_129 Depth=2
	v_dual_mov_b32 v30, 0 :: v_dual_mov_b32 v3, 0
	s_and_saveexec_b32 s14, s10
	s_cbranch_execz .LBB4_460
; %bb.451:                              ;   in Loop: Header=BB4_129 Depth=2
	v_bfrev_b32_e32 v3, 1
	s_mov_b32 s15, exec_lo
	v_cmpx_ne_u16_e32 0x80, v40
	s_cbranch_execz .LBB4_459
; %bb.452:                              ;   in Loop: Header=BB4_129 Depth=2
	v_and_b32_e32 v3, 0x7c, v0
	v_and_b32_e32 v87, 3, v0
	s_delay_alu instid0(VALU_DEP_2) | instskip(SKIP_1) | instid1(SALU_CYCLE_1)
	v_cmp_ne_u32_e32 vcc_lo, 0x7c, v3
                                        ; implicit-def: $vgpr3
	s_and_saveexec_b32 s42, vcc_lo
	s_xor_b32 s42, exec_lo, s42
	s_cbranch_execz .LBB4_456
; %bb.453:                              ;   in Loop: Header=BB4_129 Depth=2
	v_bfe_u32 v3, v0, 2, 5
	s_mov_b32 s43, exec_lo
	s_delay_alu instid0(VALU_DEP_1)
	v_cmpx_eq_u32_e32 0, v3
	s_cbranch_execz .LBB4_455
; %bb.454:                              ;   in Loop: Header=BB4_129 Depth=2
	v_clz_i32_u32_e32 v3, v87
	s_delay_alu instid0(VALU_DEP_1) | instskip(SKIP_1) | instid1(VALU_DEP_2)
	v_min_u32_e32 v3, 32, v3
	v_mov_b32_e32 v41, v55
	v_subrev_nc_u32_e32 v82, 29, v3
	v_sub_nc_u32_e32 v3, 30, v3
	s_delay_alu instid0(VALU_DEP_2) | instskip(NEXT) | instid1(VALU_DEP_1)
	v_lshlrev_b64_e32 v[56:57], v82, v[40:41]
	v_and_b32_e32 v87, 3, v56
.LBB4_455:                              ;   in Loop: Header=BB4_129 Depth=2
	s_or_b32 exec_lo, exec_lo, s43
	v_lshlrev_b32_e32 v82, 16, v54
	s_delay_alu instid0(VALU_DEP_1) | instskip(NEXT) | instid1(VALU_DEP_1)
	v_and_b32_e32 v82, 0x80000000, v82
	v_lshl_add_u32 v3, v3, 23, v82
	s_delay_alu instid0(VALU_DEP_1) | instskip(NEXT) | instid1(VALU_DEP_1)
	v_lshl_or_b32 v3, v87, 21, v3
                                        ; implicit-def: $vgpr87
	v_add_nc_u32_e32 v3, 0x38000000, v3
.LBB4_456:                              ;   in Loop: Header=BB4_129 Depth=2
	s_and_not1_saveexec_b32 s42, s42
; %bb.457:                              ;   in Loop: Header=BB4_129 Depth=2
	v_cmp_lt_i16_e32 vcc_lo, -1, v54
	v_cndmask_b32_e32 v3, 0xff800000, v126, vcc_lo
	v_cmp_eq_u32_e32 vcc_lo, 0, v87
	s_delay_alu instid0(VALU_DEP_2)
	v_cndmask_b32_e32 v3, 0x7f800001, v3, vcc_lo
; %bb.458:                              ;   in Loop: Header=BB4_129 Depth=2
	s_or_b32 exec_lo, exec_lo, s42
.LBB4_459:                              ;   in Loop: Header=BB4_129 Depth=2
	s_delay_alu instid0(SALU_CYCLE_1)
	s_or_b32 exec_lo, exec_lo, s15
.LBB4_460:                              ;   in Loop: Header=BB4_129 Depth=2
	s_delay_alu instid0(SALU_CYCLE_1) | instskip(NEXT) | instid1(SALU_CYCLE_1)
	s_or_b32 exec_lo, exec_lo, s14
	s_mov_b32 s14, exec_lo
	v_cmpx_ne_u16_e32 0, v118
	s_cbranch_execz .LBB4_470
; %bb.461:                              ;   in Loop: Header=BB4_129 Depth=2
	v_bfrev_b32_e32 v30, 1
	s_mov_b32 s15, exec_lo
	v_cmpx_ne_u16_e32 0x80, v118
	s_cbranch_execz .LBB4_469
; %bb.462:                              ;   in Loop: Header=BB4_129 Depth=2
	v_and_b32_e32 v117, 0xffff, v118
	s_delay_alu instid0(VALU_DEP_1) | instskip(SKIP_1) | instid1(VALU_DEP_2)
	v_and_b32_e32 v30, 0x7c, v117
	v_and_b32_e32 v87, 3, v117
	v_cmp_ne_u32_e32 vcc_lo, 0x7c, v30
                                        ; implicit-def: $vgpr30
	s_and_saveexec_b32 s42, vcc_lo
	s_delay_alu instid0(SALU_CYCLE_1)
	s_xor_b32 s42, exec_lo, s42
	s_cbranch_execz .LBB4_466
; %bb.463:                              ;   in Loop: Header=BB4_129 Depth=2
	v_bfe_u32 v30, v117, 2, 5
	s_mov_b32 s43, exec_lo
	s_delay_alu instid0(VALU_DEP_1)
	v_cmpx_eq_u32_e32 0, v30
	s_cbranch_execz .LBB4_465
; %bb.464:                              ;   in Loop: Header=BB4_129 Depth=2
	v_clz_i32_u32_e32 v30, v87
	s_delay_alu instid0(VALU_DEP_1) | instskip(SKIP_1) | instid1(VALU_DEP_2)
	v_min_u32_e32 v30, 32, v30
	v_mov_b32_e32 v119, v55
	v_subrev_nc_u32_e32 v82, 29, v30
	v_sub_nc_u32_e32 v30, 30, v30
	s_delay_alu instid0(VALU_DEP_2) | instskip(NEXT) | instid1(VALU_DEP_1)
	v_lshlrev_b64_e32 v[56:57], v82, v[118:119]
	v_and_b32_e32 v87, 3, v56
.LBB4_465:                              ;   in Loop: Header=BB4_129 Depth=2
	s_or_b32 exec_lo, exec_lo, s43
	v_lshlrev_b32_e32 v82, 16, v116
	s_delay_alu instid0(VALU_DEP_1) | instskip(NEXT) | instid1(VALU_DEP_1)
	v_and_b32_e32 v82, 0x80000000, v82
	v_lshl_add_u32 v30, v30, 23, v82
	s_delay_alu instid0(VALU_DEP_1) | instskip(NEXT) | instid1(VALU_DEP_1)
	v_lshl_or_b32 v30, v87, 21, v30
                                        ; implicit-def: $vgpr87
	v_add_nc_u32_e32 v30, 0x38000000, v30
.LBB4_466:                              ;   in Loop: Header=BB4_129 Depth=2
	s_and_not1_saveexec_b32 s42, s42
; %bb.467:                              ;   in Loop: Header=BB4_129 Depth=2
	v_cmp_lt_i16_e32 vcc_lo, -1, v116
	v_cndmask_b32_e32 v30, 0xff800000, v126, vcc_lo
	v_cmp_eq_u32_e32 vcc_lo, 0, v87
	s_delay_alu instid0(VALU_DEP_2)
	v_cndmask_b32_e32 v30, 0x7f800001, v30, vcc_lo
; %bb.468:                              ;   in Loop: Header=BB4_129 Depth=2
	s_or_b32 exec_lo, exec_lo, s42
.LBB4_469:                              ;   in Loop: Header=BB4_129 Depth=2
	s_delay_alu instid0(SALU_CYCLE_1)
	s_or_b32 exec_lo, exec_lo, s15
.LBB4_470:                              ;   in Loop: Header=BB4_129 Depth=2
	s_delay_alu instid0(SALU_CYCLE_1) | instskip(NEXT) | instid1(VALU_DEP_1)
	s_or_b32 exec_lo, exec_lo, s14
	v_dual_max_num_f32 v30, v30, v30 :: v_dual_max_num_f32 v3, v3, v3
	s_mov_b32 s14, 0
	s_delay_alu instid0(VALU_DEP_1)
	v_max_num_f32_e32 v3, v3, v30
.LBB4_471:                              ;   in Loop: Header=BB4_129 Depth=2
	s_and_b32 vcc_lo, exec_lo, s14
	s_cbranch_vccz .LBB4_493
; %bb.472:                              ;   in Loop: Header=BB4_129 Depth=2
	v_dual_mov_b32 v30, 0 :: v_dual_mov_b32 v3, 0
	s_and_saveexec_b32 s14, s10
	s_cbranch_execz .LBB4_482
; %bb.473:                              ;   in Loop: Header=BB4_129 Depth=2
	v_bfrev_b32_e32 v3, 1
	s_mov_b32 s10, exec_lo
	v_cmpx_ne_u16_e32 0x80, v40
	s_cbranch_execz .LBB4_481
; %bb.474:                              ;   in Loop: Header=BB4_129 Depth=2
	v_and_b32_e32 v3, 0x7c, v0
	v_and_b32_e32 v87, 3, v0
	s_delay_alu instid0(VALU_DEP_2) | instskip(SKIP_1) | instid1(SALU_CYCLE_1)
	v_cmp_ne_u32_e32 vcc_lo, 0x7c, v3
                                        ; implicit-def: $vgpr3
	s_and_saveexec_b32 s15, vcc_lo
	s_xor_b32 s15, exec_lo, s15
	s_cbranch_execz .LBB4_478
; %bb.475:                              ;   in Loop: Header=BB4_129 Depth=2
	v_bfe_u32 v0, v0, 2, 5
	s_mov_b32 s42, exec_lo
	s_delay_alu instid0(VALU_DEP_1)
	v_cmpx_eq_u32_e32 0, v0
	s_cbranch_execz .LBB4_477
; %bb.476:                              ;   in Loop: Header=BB4_129 Depth=2
	v_clz_i32_u32_e32 v0, v87
	s_delay_alu instid0(VALU_DEP_1) | instskip(SKIP_1) | instid1(VALU_DEP_2)
	v_min_u32_e32 v0, 32, v0
	v_mov_b32_e32 v41, v55
	v_subrev_nc_u32_e32 v3, 29, v0
	v_sub_nc_u32_e32 v0, 30, v0
	s_delay_alu instid0(VALU_DEP_2) | instskip(NEXT) | instid1(VALU_DEP_1)
	v_lshlrev_b64_e32 v[40:41], v3, v[40:41]
	v_and_b32_e32 v87, 3, v40
.LBB4_477:                              ;   in Loop: Header=BB4_129 Depth=2
	s_or_b32 exec_lo, exec_lo, s42
	v_lshlrev_b32_e32 v3, 16, v54
	s_delay_alu instid0(VALU_DEP_1) | instskip(NEXT) | instid1(VALU_DEP_1)
	v_and_b32_e32 v3, 0x80000000, v3
	v_lshl_add_u32 v0, v0, 23, v3
	s_delay_alu instid0(VALU_DEP_1) | instskip(NEXT) | instid1(VALU_DEP_1)
	v_lshl_or_b32 v0, v87, 21, v0
                                        ; implicit-def: $vgpr87
	v_add_nc_u32_e32 v3, 0x38000000, v0
.LBB4_478:                              ;   in Loop: Header=BB4_129 Depth=2
	s_and_not1_saveexec_b32 s15, s15
; %bb.479:                              ;   in Loop: Header=BB4_129 Depth=2
	v_cmp_lt_i16_e32 vcc_lo, -1, v54
	v_cndmask_b32_e32 v0, 0xff800000, v126, vcc_lo
	v_cmp_eq_u32_e32 vcc_lo, 0, v87
	s_delay_alu instid0(VALU_DEP_2)
	v_cndmask_b32_e32 v3, 0x7f800001, v0, vcc_lo
; %bb.480:                              ;   in Loop: Header=BB4_129 Depth=2
	s_or_b32 exec_lo, exec_lo, s15
.LBB4_481:                              ;   in Loop: Header=BB4_129 Depth=2
	s_delay_alu instid0(SALU_CYCLE_1)
	s_or_b32 exec_lo, exec_lo, s10
.LBB4_482:                              ;   in Loop: Header=BB4_129 Depth=2
	s_delay_alu instid0(SALU_CYCLE_1) | instskip(NEXT) | instid1(SALU_CYCLE_1)
	s_or_b32 exec_lo, exec_lo, s14
	s_mov_b32 s10, exec_lo
	v_cmpx_ne_u16_e32 0, v118
	s_cbranch_execz .LBB4_492
; %bb.483:                              ;   in Loop: Header=BB4_129 Depth=2
	v_bfrev_b32_e32 v30, 1
	s_mov_b32 s14, exec_lo
	v_cmpx_ne_u16_e32 0x80, v118
	s_cbranch_execz .LBB4_491
; %bb.484:                              ;   in Loop: Header=BB4_129 Depth=2
	v_and_b32_e32 v54, 0xffff, v118
	s_delay_alu instid0(VALU_DEP_1) | instskip(SKIP_1) | instid1(VALU_DEP_2)
	v_and_b32_e32 v30, 0x7c, v54
	v_and_b32_e32 v0, 3, v54
	v_cmp_ne_u32_e32 vcc_lo, 0x7c, v30
                                        ; implicit-def: $vgpr30
	s_and_saveexec_b32 s15, vcc_lo
	s_delay_alu instid0(SALU_CYCLE_1)
	s_xor_b32 s15, exec_lo, s15
	s_cbranch_execz .LBB4_488
; %bb.485:                              ;   in Loop: Header=BB4_129 Depth=2
	v_bfe_u32 v30, v54, 2, 5
	s_mov_b32 s42, exec_lo
	s_delay_alu instid0(VALU_DEP_1)
	v_cmpx_eq_u32_e32 0, v30
; %bb.486:                              ;   in Loop: Header=BB4_129 Depth=2
	v_clz_i32_u32_e32 v0, v0
	s_delay_alu instid0(VALU_DEP_1) | instskip(SKIP_1) | instid1(VALU_DEP_2)
	v_min_u32_e32 v0, 32, v0
	v_mov_b32_e32 v119, v55
	v_subrev_nc_u32_e32 v30, 29, v0
	s_delay_alu instid0(VALU_DEP_1) | instskip(NEXT) | instid1(VALU_DEP_1)
	v_lshlrev_b64_e32 v[118:119], v30, v[118:119]
	v_dual_sub_nc_u32 v30, 30, v0 :: v_dual_bitop2_b32 v0, 3, v118 bitop3:0x40
; %bb.487:                              ;   in Loop: Header=BB4_129 Depth=2
	s_or_b32 exec_lo, exec_lo, s42
	v_lshlrev_b32_e32 v54, 16, v116
                                        ; implicit-def: $vgpr116_vgpr117
	s_delay_alu instid0(VALU_DEP_1) | instskip(NEXT) | instid1(VALU_DEP_1)
	v_and_b32_e32 v54, 0x80000000, v54
	v_lshl_add_u32 v30, v30, 23, v54
	s_delay_alu instid0(VALU_DEP_1) | instskip(NEXT) | instid1(VALU_DEP_1)
	v_lshl_or_b32 v0, v0, 21, v30
	v_add_nc_u32_e32 v30, 0x38000000, v0
                                        ; implicit-def: $vgpr0
.LBB4_488:                              ;   in Loop: Header=BB4_129 Depth=2
	s_and_not1_saveexec_b32 s15, s15
; %bb.489:                              ;   in Loop: Header=BB4_129 Depth=2
	v_cmp_lt_i16_e32 vcc_lo, -1, v116
	v_cndmask_b32_e32 v30, 0xff800000, v126, vcc_lo
	v_cmp_eq_u32_e32 vcc_lo, 0, v0
	s_delay_alu instid0(VALU_DEP_2)
	v_cndmask_b32_e32 v30, 0x7f800001, v30, vcc_lo
; %bb.490:                              ;   in Loop: Header=BB4_129 Depth=2
	s_or_b32 exec_lo, exec_lo, s15
.LBB4_491:                              ;   in Loop: Header=BB4_129 Depth=2
	s_delay_alu instid0(SALU_CYCLE_1)
	s_or_b32 exec_lo, exec_lo, s14
.LBB4_492:                              ;   in Loop: Header=BB4_129 Depth=2
	s_delay_alu instid0(SALU_CYCLE_1) | instskip(NEXT) | instid1(VALU_DEP_1)
	s_or_b32 exec_lo, exec_lo, s10
	v_dual_max_num_f32 v0, v30, v30 :: v_dual_max_num_f32 v3, v3, v3
	s_delay_alu instid0(VALU_DEP_1)
	v_min_num_f32_e32 v3, v3, v0
.LBB4_493:                              ;   in Loop: Header=BB4_129 Depth=2
	s_delay_alu instid0(VALU_DEP_1) | instskip(SKIP_3) | instid1(VALU_DEP_2)
	v_and_b32_e32 v116, 0x7f800000, v3
	v_dual_mov_b32 v117, v55 :: v_dual_lshrrev_b32 v0, 24, v3
	v_and_b32_e32 v54, 0x7fffff, v3
                                        ; implicit-def: $vgpr40
	s_mov_b32 s10, exec_lo
	v_cmpx_ne_u64_e32 0x7f800000, v[116:117]
	s_xor_b32 s14, exec_lo, s10
	s_cbranch_execz .LBB4_507
; %bb.494:                              ;   in Loop: Header=BB4_129 Depth=2
	v_and_b32_e32 v116, 0x7fffffff, v3
	v_mov_b32_e32 v117, v55
	v_and_b32_e32 v0, 0x80, v0
                                        ; implicit-def: $vgpr40
	s_mov_b32 s10, exec_lo
	s_delay_alu instid0(VALU_DEP_2)
	v_cmpx_gt_u64_e32 0x47600001, v[116:117]
	s_xor_b32 s15, exec_lo, s10
	s_cbranch_execz .LBB4_504
; %bb.495:                              ;   in Loop: Header=BB4_129 Depth=2
	v_mov_b32_e32 v40, 0
	s_mov_b32 s42, exec_lo
	v_cmpx_ne_u32_e32 0, v3
	s_cbranch_execz .LBB4_503
; %bb.496:                              ;   in Loop: Header=BB4_129 Depth=2
	v_bfe_u32 v3, v3, 23, 8
	v_or_b32_e32 v83, 0x800000, v54
	s_delay_alu instid0(VALU_DEP_2) | instskip(SKIP_1) | instid1(VALU_DEP_2)
	v_sub_nc_u32_e32 v30, 0x71, v3
	v_cmp_gt_u32_e32 vcc_lo, 0x72, v3
	v_cndmask_b32_e32 v30, 0, v30, vcc_lo
	v_cmp_eq_u32_e32 vcc_lo, 0, v3
	s_delay_alu instid0(VALU_DEP_2) | instskip(SKIP_1) | instid1(VALU_DEP_2)
	v_cndmask_b32_e64 v30, v30, 0x70, vcc_lo
	v_cndmask_b32_e32 v54, v83, v54, vcc_lo
	v_add_nc_u32_e32 v82, 21, v30
	s_delay_alu instid0(VALU_DEP_1) | instskip(SKIP_1) | instid1(VALU_DEP_1)
	v_lshlrev_b64_e64 v[116:117], v82, -1
	v_add_nc_u32_e32 v82, 20, v30
	v_lshlrev_b64_e64 v[118:119], v82, 1
	s_delay_alu instid0(VALU_DEP_3) | instskip(NEXT) | instid1(VALU_DEP_4)
	v_bfi_b32 v41, v117, 0, 0
	v_bfi_b32 v40, v116, 0, v54
	v_lshrrev_b64 v[116:117], v30, v[54:55]
	s_delay_alu instid0(VALU_DEP_2) | instskip(NEXT) | instid1(VALU_DEP_2)
	v_cmp_eq_u64_e64 s10, v[40:41], v[118:119]
	v_mov_b64_e32 v[118:119], v[116:117]
	s_and_saveexec_b32 s43, s10
; %bb.497:                              ;   in Loop: Header=BB4_129 Depth=2
	v_bfe_u32 v54, v116, 21, 1
	s_delay_alu instid0(VALU_DEP_1) | instskip(NEXT) | instid1(VALU_DEP_1)
	v_add_nc_u64_e32 v[118:119], v[116:117], v[54:55]
	v_add_nc_u64_e32 v[118:119], -1, v[118:119]
; %bb.498:                              ;   in Loop: Header=BB4_129 Depth=2
	s_or_b32 exec_lo, exec_lo, s43
	v_add_nc_u32_e32 v3, 0xffffff81, v3
	v_lshrrev_b32_e32 v54, 23, v116
	s_mov_b32 s10, exec_lo
	s_delay_alu instid0(VALU_DEP_2) | instskip(NEXT) | instid1(VALU_DEP_1)
	v_cndmask_b32_e64 v3, v3, 0xffffff82, vcc_lo
	v_add3_u32 v30, v30, v3, v54
	v_and_b32_e32 v3, 0x1fffff, v118
	s_delay_alu instid0(VALU_DEP_1) | instskip(NEXT) | instid1(VALU_DEP_1)
	v_dual_add_nc_u32 v87, 14, v30 :: v_dual_add_nc_u32 v54, v3, v116
                                        ; implicit-def: $vgpr116_vgpr117
                                        ; implicit-def: $vgpr3
	v_cmpx_ne_u32_e32 0, v87
	s_xor_b32 s10, exec_lo, s10
; %bb.499:                              ;   in Loop: Header=BB4_129 Depth=2
	s_delay_alu instid0(VALU_DEP_2) | instskip(SKIP_2) | instid1(VALU_DEP_2)
	v_cmp_lt_u64_e32 vcc_lo, 0xffffff, v[54:55]
	v_add_nc_u32_e32 v3, 15, v30
	v_cndmask_b32_e64 v30, 0, 1, vcc_lo
	v_cndmask_b32_e32 v3, v87, v3, vcc_lo
	s_delay_alu instid0(VALU_DEP_2)
	v_lshrrev_b64 v[116:117], v30, v[54:55]
; %bb.500:                              ;   in Loop: Header=BB4_129 Depth=2
	s_and_not1_saveexec_b32 s10, s10
; %bb.501:                              ;   in Loop: Header=BB4_129 Depth=2
	v_mov_b64_e32 v[116:117], v[54:55]
	v_bfe_u32 v3, v54, 23, 1
; %bb.502:                              ;   in Loop: Header=BB4_129 Depth=2
	s_or_b32 exec_lo, exec_lo, s10
	s_delay_alu instid0(VALU_DEP_2) | instskip(NEXT) | instid1(VALU_DEP_2)
	v_lshrrev_b64 v[116:117], 21, v[116:117]
	v_cmp_gt_i32_e32 vcc_lo, 32, v3
	v_min_i32_e32 v30, 31, v3
	v_cmp_eq_u32_e64 s10, 0, v3
	s_delay_alu instid0(VALU_DEP_2) | instskip(SKIP_1) | instid1(VALU_DEP_2)
	v_dual_cndmask_b32 v117, 0, v117 :: v_dual_lshlrev_b32 v30, 2, v30
	v_cndmask_b32_e32 v116, 3, v116, vcc_lo
	v_and_b32_e32 v30, 0xfc, v30
	s_delay_alu instid0(VALU_DEP_2) | instskip(NEXT) | instid1(VALU_DEP_2)
	v_cmp_eq_u64_e32 vcc_lo, 0, v[116:117]
	v_and_or_b32 v3, v116, 3, v30
	s_and_b32 s10, s10, vcc_lo
	s_delay_alu instid0(VALU_DEP_1) | instid1(SALU_CYCLE_1)
	v_cndmask_b32_e64 v3, v3, 0, s10
	s_delay_alu instid0(VALU_DEP_1)
	v_or_b32_e32 v40, v3, v0
.LBB4_503:                              ;   in Loop: Header=BB4_129 Depth=2
	s_or_b32 exec_lo, exec_lo, s42
                                        ; implicit-def: $vgpr0
.LBB4_504:                              ;   in Loop: Header=BB4_129 Depth=2
	s_and_not1_saveexec_b32 s10, s15
; %bb.505:                              ;   in Loop: Header=BB4_129 Depth=2
	v_or_b32_e32 v40, 0x7b, v0
; %bb.506:                              ;   in Loop: Header=BB4_129 Depth=2
	s_or_b32 exec_lo, exec_lo, s10
                                        ; implicit-def: $vgpr3
                                        ; implicit-def: $vgpr0
.LBB4_507:                              ;   in Loop: Header=BB4_129 Depth=2
	s_and_not1_saveexec_b32 s10, s14
	s_cbranch_execz .LBB4_513
; %bb.508:                              ;   in Loop: Header=BB4_129 Depth=2
	s_mov_b32 s14, exec_lo
                                        ; implicit-def: $vgpr40
	v_cmpx_ne_u64_e32 0, v[54:55]
	s_xor_b32 s14, exec_lo, s14
; %bb.509:                              ;   in Loop: Header=BB4_129 Depth=2
	v_or_b32_e32 v40, 0x7f, v0
                                        ; implicit-def: $vgpr3
; %bb.510:                              ;   in Loop: Header=BB4_129 Depth=2
	s_and_not1_saveexec_b32 s14, s14
; %bb.511:                              ;   in Loop: Header=BB4_129 Depth=2
	v_cmp_lt_i32_e32 vcc_lo, -1, v3
	v_cndmask_b32_e32 v40, 0xfc, v122, vcc_lo
; %bb.512:                              ;   in Loop: Header=BB4_129 Depth=2
	s_or_b32 exec_lo, exec_lo, s14
.LBB4_513:                              ;   in Loop: Header=BB4_129 Depth=2
	s_delay_alu instid0(SALU_CYCLE_1) | instskip(SKIP_4) | instid1(VALU_DEP_2)
	s_or_b32 exec_lo, exec_lo, s10
	v_lshrrev_b32_e32 v54, 16, v23
	v_lshrrev_b32_e32 v30, 16, v19
	s_and_b32 vcc_lo, exec_lo, s13
	s_mov_b32 s14, -1
                                        ; implicit-def: $vgpr3
	v_and_b32_e32 v0, 0xff, v54
	s_delay_alu instid0(VALU_DEP_1)
	v_cmp_ne_u16_e64 s10, 0, v0
	s_cbranch_vccz .LBB4_535
; %bb.514:                              ;   in Loop: Header=BB4_129 Depth=2
	v_dual_mov_b32 v87, 0 :: v_dual_mov_b32 v3, 0
	s_and_saveexec_b32 s14, s10
	s_cbranch_execz .LBB4_524
; %bb.515:                              ;   in Loop: Header=BB4_129 Depth=2
	v_bfrev_b32_e32 v3, 1
	s_mov_b32 s15, exec_lo
	v_cmpx_ne_u16_e32 0x80, v0
	s_cbranch_execz .LBB4_523
; %bb.516:                              ;   in Loop: Header=BB4_129 Depth=2
	v_and_b32_e32 v3, 0x7c0000, v23
	v_bfe_u32 v116, v23, 16, 2
	s_delay_alu instid0(VALU_DEP_2) | instskip(SKIP_1) | instid1(SALU_CYCLE_1)
	v_cmp_ne_u32_e32 vcc_lo, 0x7c0000, v3
                                        ; implicit-def: $vgpr3
	s_and_saveexec_b32 s42, vcc_lo
	s_xor_b32 s42, exec_lo, s42
	s_cbranch_execz .LBB4_520
; %bb.517:                              ;   in Loop: Header=BB4_129 Depth=2
	v_bfe_u32 v3, v23, 18, 5
	s_mov_b32 s43, exec_lo
	s_delay_alu instid0(VALU_DEP_1)
	v_cmpx_eq_u32_e32 0, v3
; %bb.518:                              ;   in Loop: Header=BB4_129 Depth=2
	v_clz_i32_u32_e32 v3, v116
	s_delay_alu instid0(VALU_DEP_1) | instskip(NEXT) | instid1(VALU_DEP_1)
	v_min_u32_e32 v3, 32, v3
	v_subrev_nc_u32_e32 v82, 29, v3
	s_delay_alu instid0(VALU_DEP_1) | instskip(NEXT) | instid1(VALU_DEP_1)
	v_lshlrev_b64_e32 v[116:117], v82, v[54:55]
	v_dual_sub_nc_u32 v3, 30, v3 :: v_dual_bitop2_b32 v116, 3, v116 bitop3:0x40
; %bb.519:                              ;   in Loop: Header=BB4_129 Depth=2
	s_or_b32 exec_lo, exec_lo, s43
	v_lshlrev_b32_e32 v82, 24, v54
	s_delay_alu instid0(VALU_DEP_1) | instskip(NEXT) | instid1(VALU_DEP_1)
	v_and_b32_e32 v82, 0x80000000, v82
	v_lshl_add_u32 v3, v3, 23, v82
	s_delay_alu instid0(VALU_DEP_1) | instskip(NEXT) | instid1(VALU_DEP_1)
	v_lshl_or_b32 v3, v116, 21, v3
                                        ; implicit-def: $vgpr116
	v_add_nc_u32_e32 v3, 0x38000000, v3
.LBB4_520:                              ;   in Loop: Header=BB4_129 Depth=2
	s_and_not1_saveexec_b32 s42, s42
; %bb.521:                              ;   in Loop: Header=BB4_129 Depth=2
	v_bfe_i32 v3, v54, 0, 8
	s_delay_alu instid0(VALU_DEP_1) | instskip(SKIP_2) | instid1(VALU_DEP_2)
	v_cmp_lt_i16_e32 vcc_lo, -1, v3
	v_cndmask_b32_e32 v3, 0xff800000, v126, vcc_lo
	v_cmp_eq_u32_e32 vcc_lo, 0, v116
	v_cndmask_b32_e32 v3, 0x7f800001, v3, vcc_lo
; %bb.522:                              ;   in Loop: Header=BB4_129 Depth=2
	s_or_b32 exec_lo, exec_lo, s42
.LBB4_523:                              ;   in Loop: Header=BB4_129 Depth=2
	s_delay_alu instid0(SALU_CYCLE_1)
	s_or_b32 exec_lo, exec_lo, s15
.LBB4_524:                              ;   in Loop: Header=BB4_129 Depth=2
	s_delay_alu instid0(SALU_CYCLE_1) | instskip(SKIP_2) | instid1(VALU_DEP_1)
	s_or_b32 exec_lo, exec_lo, s14
	v_and_b32_e32 v116, 0xff, v30
	s_mov_b32 s14, exec_lo
	v_cmpx_ne_u16_e32 0, v116
	s_cbranch_execz .LBB4_534
; %bb.525:                              ;   in Loop: Header=BB4_129 Depth=2
	v_bfrev_b32_e32 v87, 1
	s_mov_b32 s15, exec_lo
	v_cmpx_ne_u16_e32 0x80, v116
	s_cbranch_execz .LBB4_533
; %bb.526:                              ;   in Loop: Header=BB4_129 Depth=2
	v_and_b32_e32 v82, 0x7c0000, v19
	v_bfe_u32 v116, v19, 16, 2
	s_mov_b32 s42, exec_lo
                                        ; implicit-def: $vgpr87
	s_delay_alu instid0(VALU_DEP_2)
	v_cmpx_ne_u32_e32 0x7c0000, v82
	s_xor_b32 s42, exec_lo, s42
	s_cbranch_execz .LBB4_530
; %bb.527:                              ;   in Loop: Header=BB4_129 Depth=2
	v_bfe_u32 v87, v19, 18, 5
	s_mov_b32 s43, exec_lo
	s_delay_alu instid0(VALU_DEP_1)
	v_cmpx_eq_u32_e32 0, v87
; %bb.528:                              ;   in Loop: Header=BB4_129 Depth=2
	v_clz_i32_u32_e32 v82, v116
	s_delay_alu instid0(VALU_DEP_1) | instskip(NEXT) | instid1(VALU_DEP_1)
	v_min_u32_e32 v82, 32, v82
	v_subrev_nc_u32_e32 v83, 29, v82
	s_delay_alu instid0(VALU_DEP_1) | instskip(NEXT) | instid1(VALU_DEP_1)
	v_lshlrev_b64_e32 v[116:117], v83, v[30:31]
	v_dual_sub_nc_u32 v87, 30, v82 :: v_dual_bitop2_b32 v116, 3, v116 bitop3:0x40
; %bb.529:                              ;   in Loop: Header=BB4_129 Depth=2
	s_or_b32 exec_lo, exec_lo, s43
	v_lshlrev_b32_e32 v82, 24, v30
	s_delay_alu instid0(VALU_DEP_1) | instskip(NEXT) | instid1(VALU_DEP_1)
	v_and_b32_e32 v82, 0x80000000, v82
	v_lshl_add_u32 v82, v87, 23, v82
	s_delay_alu instid0(VALU_DEP_1) | instskip(NEXT) | instid1(VALU_DEP_1)
	v_lshl_or_b32 v82, v116, 21, v82
                                        ; implicit-def: $vgpr116
	v_add_nc_u32_e32 v87, 0x38000000, v82
.LBB4_530:                              ;   in Loop: Header=BB4_129 Depth=2
	s_and_not1_saveexec_b32 s42, s42
; %bb.531:                              ;   in Loop: Header=BB4_129 Depth=2
	v_bfe_i32 v82, v30, 0, 8
	s_delay_alu instid0(VALU_DEP_1) | instskip(SKIP_2) | instid1(VALU_DEP_2)
	v_cmp_lt_i16_e32 vcc_lo, -1, v82
	v_cndmask_b32_e32 v82, 0xff800000, v126, vcc_lo
	v_cmp_eq_u32_e32 vcc_lo, 0, v116
	v_cndmask_b32_e32 v87, 0x7f800001, v82, vcc_lo
; %bb.532:                              ;   in Loop: Header=BB4_129 Depth=2
	s_or_b32 exec_lo, exec_lo, s42
.LBB4_533:                              ;   in Loop: Header=BB4_129 Depth=2
	s_delay_alu instid0(SALU_CYCLE_1)
	s_or_b32 exec_lo, exec_lo, s15
.LBB4_534:                              ;   in Loop: Header=BB4_129 Depth=2
	s_delay_alu instid0(SALU_CYCLE_1) | instskip(NEXT) | instid1(VALU_DEP_1)
	s_or_b32 exec_lo, exec_lo, s14
	v_max_num_f32_e32 v82, v87, v87
	v_max_num_f32_e32 v3, v3, v3
	s_mov_b32 s14, 0
	s_delay_alu instid0(VALU_DEP_1)
	v_max_num_f32_e32 v3, v3, v82
.LBB4_535:                              ;   in Loop: Header=BB4_129 Depth=2
	s_and_b32 vcc_lo, exec_lo, s14
	s_cbranch_vccz .LBB4_557
; %bb.536:                              ;   in Loop: Header=BB4_129 Depth=2
	v_dual_mov_b32 v87, 0 :: v_dual_mov_b32 v3, 0
	s_and_saveexec_b32 s14, s10
	s_cbranch_execz .LBB4_546
; %bb.537:                              ;   in Loop: Header=BB4_129 Depth=2
	v_bfrev_b32_e32 v3, 1
	s_mov_b32 s10, exec_lo
	v_cmpx_ne_u16_e32 0x80, v0
	s_cbranch_execz .LBB4_545
; %bb.538:                              ;   in Loop: Header=BB4_129 Depth=2
	v_and_b32_e32 v3, 0x7c0000, v23
	v_bfe_u32 v0, v23, 16, 2
	s_delay_alu instid0(VALU_DEP_2) | instskip(SKIP_1) | instid1(SALU_CYCLE_1)
	v_cmp_ne_u32_e32 vcc_lo, 0x7c0000, v3
                                        ; implicit-def: $vgpr3
	s_and_saveexec_b32 s15, vcc_lo
	s_xor_b32 s15, exec_lo, s15
	s_cbranch_execz .LBB4_542
; %bb.539:                              ;   in Loop: Header=BB4_129 Depth=2
	v_bfe_u32 v3, v23, 18, 5
	s_mov_b32 s42, exec_lo
	s_delay_alu instid0(VALU_DEP_1)
	v_cmpx_eq_u32_e32 0, v3
; %bb.540:                              ;   in Loop: Header=BB4_129 Depth=2
	v_clz_i32_u32_e32 v0, v0
	s_delay_alu instid0(VALU_DEP_1) | instskip(NEXT) | instid1(VALU_DEP_1)
	v_min_u32_e32 v0, 32, v0
	v_subrev_nc_u32_e32 v3, 29, v0
	s_delay_alu instid0(VALU_DEP_1) | instskip(SKIP_1) | instid1(VALU_DEP_2)
	v_lshlrev_b64_e32 v[116:117], v3, v[54:55]
	v_sub_nc_u32_e32 v3, 30, v0
	v_and_b32_e32 v0, 3, v116
; %bb.541:                              ;   in Loop: Header=BB4_129 Depth=2
	s_or_b32 exec_lo, exec_lo, s42
	v_lshlrev_b32_e32 v54, 24, v54
	s_delay_alu instid0(VALU_DEP_1) | instskip(NEXT) | instid1(VALU_DEP_1)
	v_and_b32_e32 v54, 0x80000000, v54
	v_lshl_add_u32 v3, v3, 23, v54
                                        ; implicit-def: $vgpr54
	s_delay_alu instid0(VALU_DEP_1) | instskip(NEXT) | instid1(VALU_DEP_1)
	v_lshl_or_b32 v0, v0, 21, v3
	v_add_nc_u32_e32 v3, 0x38000000, v0
                                        ; implicit-def: $vgpr0
.LBB4_542:                              ;   in Loop: Header=BB4_129 Depth=2
	s_and_not1_saveexec_b32 s15, s15
; %bb.543:                              ;   in Loop: Header=BB4_129 Depth=2
	v_bfe_i32 v3, v54, 0, 8
	s_delay_alu instid0(VALU_DEP_1) | instskip(SKIP_2) | instid1(VALU_DEP_2)
	v_cmp_lt_i16_e32 vcc_lo, -1, v3
	v_cndmask_b32_e32 v3, 0xff800000, v126, vcc_lo
	v_cmp_eq_u32_e32 vcc_lo, 0, v0
	v_cndmask_b32_e32 v3, 0x7f800001, v3, vcc_lo
; %bb.544:                              ;   in Loop: Header=BB4_129 Depth=2
	s_or_b32 exec_lo, exec_lo, s15
.LBB4_545:                              ;   in Loop: Header=BB4_129 Depth=2
	s_delay_alu instid0(SALU_CYCLE_1)
	s_or_b32 exec_lo, exec_lo, s10
.LBB4_546:                              ;   in Loop: Header=BB4_129 Depth=2
	s_delay_alu instid0(SALU_CYCLE_1) | instskip(SKIP_2) | instid1(VALU_DEP_1)
	s_or_b32 exec_lo, exec_lo, s14
	v_and_b32_e32 v0, 0xff, v30
	s_mov_b32 s10, exec_lo
	v_cmpx_ne_u16_e32 0, v0
	s_cbranch_execz .LBB4_556
; %bb.547:                              ;   in Loop: Header=BB4_129 Depth=2
	v_bfrev_b32_e32 v87, 1
	s_mov_b32 s14, exec_lo
	v_cmpx_ne_u16_e32 0x80, v0
	s_cbranch_execz .LBB4_555
; %bb.548:                              ;   in Loop: Header=BB4_129 Depth=2
	v_and_b32_e32 v54, 0x7c0000, v19
	v_bfe_u32 v0, v19, 16, 2
	s_mov_b32 s15, exec_lo
                                        ; implicit-def: $vgpr87
	s_delay_alu instid0(VALU_DEP_2)
	v_cmpx_ne_u32_e32 0x7c0000, v54
	s_xor_b32 s15, exec_lo, s15
	s_cbranch_execz .LBB4_552
; %bb.549:                              ;   in Loop: Header=BB4_129 Depth=2
	v_bfe_u32 v54, v19, 18, 5
	s_mov_b32 s42, exec_lo
	s_delay_alu instid0(VALU_DEP_1)
	v_cmpx_eq_u32_e32 0, v54
; %bb.550:                              ;   in Loop: Header=BB4_129 Depth=2
	v_clz_i32_u32_e32 v0, v0
	s_delay_alu instid0(VALU_DEP_1) | instskip(NEXT) | instid1(VALU_DEP_1)
	v_min_u32_e32 v0, 32, v0
	v_subrev_nc_u32_e32 v54, 29, v0
	s_delay_alu instid0(VALU_DEP_1) | instskip(SKIP_1) | instid1(VALU_DEP_2)
	v_lshlrev_b64_e32 v[116:117], v54, v[30:31]
	v_sub_nc_u32_e32 v54, 30, v0
	v_and_b32_e32 v0, 3, v116
; %bb.551:                              ;   in Loop: Header=BB4_129 Depth=2
	s_or_b32 exec_lo, exec_lo, s42
	v_lshlrev_b32_e32 v30, 24, v30
	s_delay_alu instid0(VALU_DEP_1) | instskip(NEXT) | instid1(VALU_DEP_1)
	v_and_b32_e32 v30, 0x80000000, v30
	v_lshl_add_u32 v30, v54, 23, v30
	s_delay_alu instid0(VALU_DEP_1) | instskip(NEXT) | instid1(VALU_DEP_1)
	v_lshl_or_b32 v0, v0, 21, v30
                                        ; implicit-def: $vgpr30
	v_add_nc_u32_e32 v87, 0x38000000, v0
                                        ; implicit-def: $vgpr0
.LBB4_552:                              ;   in Loop: Header=BB4_129 Depth=2
	s_and_not1_saveexec_b32 s15, s15
; %bb.553:                              ;   in Loop: Header=BB4_129 Depth=2
	v_bfe_i32 v30, v30, 0, 8
	s_delay_alu instid0(VALU_DEP_1) | instskip(SKIP_2) | instid1(VALU_DEP_2)
	v_cmp_lt_i16_e32 vcc_lo, -1, v30
	v_cndmask_b32_e32 v30, 0xff800000, v126, vcc_lo
	v_cmp_eq_u32_e32 vcc_lo, 0, v0
	v_cndmask_b32_e32 v87, 0x7f800001, v30, vcc_lo
; %bb.554:                              ;   in Loop: Header=BB4_129 Depth=2
	s_or_b32 exec_lo, exec_lo, s15
.LBB4_555:                              ;   in Loop: Header=BB4_129 Depth=2
	s_delay_alu instid0(SALU_CYCLE_1)
	s_or_b32 exec_lo, exec_lo, s14
.LBB4_556:                              ;   in Loop: Header=BB4_129 Depth=2
	s_delay_alu instid0(SALU_CYCLE_1) | instskip(NEXT) | instid1(VALU_DEP_1)
	s_or_b32 exec_lo, exec_lo, s10
	v_max_num_f32_e32 v0, v87, v87
	v_max_num_f32_e32 v3, v3, v3
	s_delay_alu instid0(VALU_DEP_1)
	v_min_num_f32_e32 v3, v3, v0
.LBB4_557:                              ;   in Loop: Header=BB4_129 Depth=2
	s_delay_alu instid0(VALU_DEP_1) | instskip(SKIP_3) | instid1(VALU_DEP_2)
	v_and_b32_e32 v116, 0x7f800000, v3
	v_dual_mov_b32 v117, v55 :: v_dual_lshrrev_b32 v0, 24, v3
	v_and_b32_e32 v54, 0x7fffff, v3
                                        ; implicit-def: $vgpr118
	s_mov_b32 s10, exec_lo
	v_cmpx_ne_u64_e32 0x7f800000, v[116:117]
	s_xor_b32 s14, exec_lo, s10
	s_cbranch_execz .LBB4_571
; %bb.558:                              ;   in Loop: Header=BB4_129 Depth=2
	v_and_b32_e32 v116, 0x7fffffff, v3
	v_mov_b32_e32 v117, v55
	v_and_b32_e32 v0, 0x80, v0
                                        ; implicit-def: $vgpr118
	s_mov_b32 s10, exec_lo
	s_delay_alu instid0(VALU_DEP_2)
	v_cmpx_gt_u64_e32 0x47600001, v[116:117]
	s_xor_b32 s15, exec_lo, s10
	s_cbranch_execz .LBB4_568
; %bb.559:                              ;   in Loop: Header=BB4_129 Depth=2
	v_mov_b32_e32 v118, 0
	s_mov_b32 s42, exec_lo
	v_cmpx_ne_u32_e32 0, v3
	s_cbranch_execz .LBB4_567
; %bb.560:                              ;   in Loop: Header=BB4_129 Depth=2
	v_bfe_u32 v3, v3, 23, 8
	v_or_b32_e32 v83, 0x800000, v54
	s_delay_alu instid0(VALU_DEP_2) | instskip(SKIP_1) | instid1(VALU_DEP_2)
	v_sub_nc_u32_e32 v30, 0x71, v3
	v_cmp_gt_u32_e32 vcc_lo, 0x72, v3
	v_cndmask_b32_e32 v30, 0, v30, vcc_lo
	v_cmp_eq_u32_e32 vcc_lo, 0, v3
	s_delay_alu instid0(VALU_DEP_2) | instskip(SKIP_1) | instid1(VALU_DEP_2)
	v_cndmask_b32_e64 v30, v30, 0x70, vcc_lo
	v_cndmask_b32_e32 v54, v83, v54, vcc_lo
	v_add_nc_u32_e32 v82, 21, v30
	s_delay_alu instid0(VALU_DEP_1) | instskip(SKIP_1) | instid1(VALU_DEP_1)
	v_lshlrev_b64_e64 v[116:117], v82, -1
	v_add_nc_u32_e32 v82, 20, v30
	v_lshlrev_b64_e64 v[118:119], v82, 1
	s_delay_alu instid0(VALU_DEP_3) | instskip(NEXT) | instid1(VALU_DEP_4)
	v_bfi_b32 v57, v117, 0, 0
	v_bfi_b32 v56, v116, 0, v54
	v_lshrrev_b64 v[116:117], v30, v[54:55]
	s_delay_alu instid0(VALU_DEP_2) | instskip(NEXT) | instid1(VALU_DEP_2)
	v_cmp_eq_u64_e64 s10, v[56:57], v[118:119]
	v_mov_b64_e32 v[118:119], v[116:117]
	s_and_saveexec_b32 s43, s10
; %bb.561:                              ;   in Loop: Header=BB4_129 Depth=2
	v_bfe_u32 v54, v116, 21, 1
	s_delay_alu instid0(VALU_DEP_1) | instskip(NEXT) | instid1(VALU_DEP_1)
	v_add_nc_u64_e32 v[118:119], v[116:117], v[54:55]
	v_add_nc_u64_e32 v[118:119], -1, v[118:119]
; %bb.562:                              ;   in Loop: Header=BB4_129 Depth=2
	s_or_b32 exec_lo, exec_lo, s43
	v_add_nc_u32_e32 v3, 0xffffff81, v3
	v_lshrrev_b32_e32 v54, 23, v116
	s_mov_b32 s10, exec_lo
	s_delay_alu instid0(VALU_DEP_2) | instskip(NEXT) | instid1(VALU_DEP_1)
	v_cndmask_b32_e64 v3, v3, 0xffffff82, vcc_lo
	v_add3_u32 v30, v30, v3, v54
	v_and_b32_e32 v3, 0x1fffff, v118
	s_delay_alu instid0(VALU_DEP_1) | instskip(NEXT) | instid1(VALU_DEP_1)
	v_dual_add_nc_u32 v87, 14, v30 :: v_dual_add_nc_u32 v54, v3, v116
                                        ; implicit-def: $vgpr116_vgpr117
                                        ; implicit-def: $vgpr3
	v_cmpx_ne_u32_e32 0, v87
	s_xor_b32 s10, exec_lo, s10
; %bb.563:                              ;   in Loop: Header=BB4_129 Depth=2
	s_delay_alu instid0(VALU_DEP_2) | instskip(SKIP_2) | instid1(VALU_DEP_2)
	v_cmp_lt_u64_e32 vcc_lo, 0xffffff, v[54:55]
	v_add_nc_u32_e32 v3, 15, v30
	v_cndmask_b32_e64 v30, 0, 1, vcc_lo
	v_cndmask_b32_e32 v3, v87, v3, vcc_lo
	s_delay_alu instid0(VALU_DEP_2)
	v_lshrrev_b64 v[116:117], v30, v[54:55]
; %bb.564:                              ;   in Loop: Header=BB4_129 Depth=2
	s_and_not1_saveexec_b32 s10, s10
; %bb.565:                              ;   in Loop: Header=BB4_129 Depth=2
	v_mov_b64_e32 v[116:117], v[54:55]
	v_bfe_u32 v3, v54, 23, 1
; %bb.566:                              ;   in Loop: Header=BB4_129 Depth=2
	s_or_b32 exec_lo, exec_lo, s10
	s_delay_alu instid0(VALU_DEP_2) | instskip(NEXT) | instid1(VALU_DEP_2)
	v_lshrrev_b64 v[116:117], 21, v[116:117]
	v_cmp_gt_i32_e32 vcc_lo, 32, v3
	v_min_i32_e32 v30, 31, v3
	v_cmp_eq_u32_e64 s10, 0, v3
	s_delay_alu instid0(VALU_DEP_2) | instskip(SKIP_1) | instid1(VALU_DEP_2)
	v_dual_cndmask_b32 v117, 0, v117 :: v_dual_lshlrev_b32 v30, 2, v30
	v_cndmask_b32_e32 v116, 3, v116, vcc_lo
	v_and_b32_e32 v30, 0xfc, v30
	s_delay_alu instid0(VALU_DEP_2) | instskip(NEXT) | instid1(VALU_DEP_2)
	v_cmp_eq_u64_e32 vcc_lo, 0, v[116:117]
	v_and_or_b32 v3, v116, 3, v30
	s_and_b32 s10, s10, vcc_lo
	s_delay_alu instid0(VALU_DEP_1) | instid1(SALU_CYCLE_1)
	v_cndmask_b32_e64 v3, v3, 0, s10
	s_delay_alu instid0(VALU_DEP_1)
	v_or_b32_e32 v118, v3, v0
.LBB4_567:                              ;   in Loop: Header=BB4_129 Depth=2
	s_or_b32 exec_lo, exec_lo, s42
                                        ; implicit-def: $vgpr0
.LBB4_568:                              ;   in Loop: Header=BB4_129 Depth=2
	s_and_not1_saveexec_b32 s10, s15
; %bb.569:                              ;   in Loop: Header=BB4_129 Depth=2
	v_or_b32_e32 v118, 0x7b, v0
; %bb.570:                              ;   in Loop: Header=BB4_129 Depth=2
	s_or_b32 exec_lo, exec_lo, s10
                                        ; implicit-def: $vgpr3
                                        ; implicit-def: $vgpr0
.LBB4_571:                              ;   in Loop: Header=BB4_129 Depth=2
	s_and_not1_saveexec_b32 s10, s14
	s_cbranch_execz .LBB4_577
; %bb.572:                              ;   in Loop: Header=BB4_129 Depth=2
	s_mov_b32 s14, exec_lo
                                        ; implicit-def: $vgpr118
	v_cmpx_ne_u64_e32 0, v[54:55]
	s_xor_b32 s14, exec_lo, s14
; %bb.573:                              ;   in Loop: Header=BB4_129 Depth=2
	v_or_b32_e32 v118, 0x7f, v0
                                        ; implicit-def: $vgpr3
; %bb.574:                              ;   in Loop: Header=BB4_129 Depth=2
	s_and_not1_saveexec_b32 s14, s14
; %bb.575:                              ;   in Loop: Header=BB4_129 Depth=2
	v_cmp_lt_i32_e32 vcc_lo, -1, v3
	v_cndmask_b32_e32 v118, 0xfc, v122, vcc_lo
; %bb.576:                              ;   in Loop: Header=BB4_129 Depth=2
	s_or_b32 exec_lo, exec_lo, s14
.LBB4_577:                              ;   in Loop: Header=BB4_129 Depth=2
	s_delay_alu instid0(SALU_CYCLE_1)
	s_or_b32 exec_lo, exec_lo, s10
	v_cmp_lt_u64_e64 s10, s[16:17], v[22:23]
	v_lshrrev_b32_e32 v54, 24, v23
	v_lshrrev_b32_e32 v30, 24, v19
	s_and_b32 vcc_lo, exec_lo, s13
	s_mov_b32 s14, -1
                                        ; implicit-def: $vgpr3
	s_cbranch_vccz .LBB4_599
; %bb.578:                              ;   in Loop: Header=BB4_129 Depth=2
	v_dual_mov_b32 v3, 0 :: v_dual_mov_b32 v0, 0
	s_and_saveexec_b32 s14, s10
	s_cbranch_execz .LBB4_588
; %bb.579:                              ;   in Loop: Header=BB4_129 Depth=2
	v_bfrev_b32_e32 v0, 1
	s_mov_b32 s15, exec_lo
	v_cmpx_ne_u32_e32 0x80, v54
	s_cbranch_execz .LBB4_587
; %bb.580:                              ;   in Loop: Header=BB4_129 Depth=2
	v_and_b32_e32 v0, 0x7c000000, v23
	v_bfe_u32 v87, v23, 24, 2
	s_delay_alu instid0(VALU_DEP_2) | instskip(SKIP_1) | instid1(SALU_CYCLE_1)
	v_cmp_ne_u32_e32 vcc_lo, 0x7c000000, v0
                                        ; implicit-def: $vgpr0
	s_and_saveexec_b32 s42, vcc_lo
	s_xor_b32 s42, exec_lo, s42
	s_cbranch_execz .LBB4_584
; %bb.581:                              ;   in Loop: Header=BB4_129 Depth=2
	v_bfe_u32 v0, v23, 26, 5
	s_mov_b32 s43, exec_lo
	s_delay_alu instid0(VALU_DEP_1)
	v_cmpx_eq_u32_e32 0, v0
; %bb.582:                              ;   in Loop: Header=BB4_129 Depth=2
	v_clz_i32_u32_e32 v0, v87
	s_delay_alu instid0(VALU_DEP_1) | instskip(NEXT) | instid1(VALU_DEP_1)
	v_min_u32_e32 v0, 32, v0
	v_subrev_nc_u32_e32 v82, 29, v0
	v_sub_nc_u32_e32 v0, 30, v0
	s_delay_alu instid0(VALU_DEP_2) | instskip(NEXT) | instid1(VALU_DEP_1)
	v_lshlrev_b64_e32 v[116:117], v82, v[54:55]
	v_and_b32_e32 v87, 3, v116
; %bb.583:                              ;   in Loop: Header=BB4_129 Depth=2
	s_or_b32 exec_lo, exec_lo, s43
	v_and_b32_e32 v82, 0x80000000, v23
	s_delay_alu instid0(VALU_DEP_1) | instskip(NEXT) | instid1(VALU_DEP_1)
	v_lshl_add_u32 v0, v0, 23, v82
	v_lshl_or_b32 v0, v87, 21, v0
                                        ; implicit-def: $vgpr87
	s_delay_alu instid0(VALU_DEP_1)
	v_add_nc_u32_e32 v0, 0x38000000, v0
.LBB4_584:                              ;   in Loop: Header=BB4_129 Depth=2
	s_and_not1_saveexec_b32 s42, s42
; %bb.585:                              ;   in Loop: Header=BB4_129 Depth=2
	v_cmp_lt_i64_e32 vcc_lo, -1, v[22:23]
	v_cndmask_b32_e32 v0, 0xff800000, v126, vcc_lo
	v_cmp_eq_u32_e32 vcc_lo, 0, v87
	s_delay_alu instid0(VALU_DEP_2)
	v_cndmask_b32_e32 v0, 0x7f800001, v0, vcc_lo
; %bb.586:                              ;   in Loop: Header=BB4_129 Depth=2
	s_or_b32 exec_lo, exec_lo, s42
.LBB4_587:                              ;   in Loop: Header=BB4_129 Depth=2
	s_delay_alu instid0(SALU_CYCLE_1)
	s_or_b32 exec_lo, exec_lo, s15
.LBB4_588:                              ;   in Loop: Header=BB4_129 Depth=2
	s_delay_alu instid0(SALU_CYCLE_1) | instskip(NEXT) | instid1(SALU_CYCLE_1)
	s_or_b32 exec_lo, exec_lo, s14
	s_mov_b32 s14, exec_lo
	v_cmpx_lt_u64_e64 s[16:17], v[18:19]
	s_cbranch_execz .LBB4_598
; %bb.589:                              ;   in Loop: Header=BB4_129 Depth=2
	v_bfrev_b32_e32 v3, 1
	s_mov_b32 s15, exec_lo
	v_cmpx_ne_u32_e32 0x80, v30
	s_cbranch_execz .LBB4_597
; %bb.590:                              ;   in Loop: Header=BB4_129 Depth=2
	v_and_b32_e32 v3, 0x7c000000, v19
	v_bfe_u32 v87, v19, 24, 2
	s_delay_alu instid0(VALU_DEP_2) | instskip(SKIP_1) | instid1(SALU_CYCLE_1)
	v_cmp_ne_u32_e32 vcc_lo, 0x7c000000, v3
                                        ; implicit-def: $vgpr3
	s_and_saveexec_b32 s42, vcc_lo
	s_xor_b32 s42, exec_lo, s42
	s_cbranch_execz .LBB4_594
; %bb.591:                              ;   in Loop: Header=BB4_129 Depth=2
	v_bfe_u32 v3, v19, 26, 5
	s_mov_b32 s43, exec_lo
	s_delay_alu instid0(VALU_DEP_1)
	v_cmpx_eq_u32_e32 0, v3
; %bb.592:                              ;   in Loop: Header=BB4_129 Depth=2
	v_clz_i32_u32_e32 v3, v87
	s_delay_alu instid0(VALU_DEP_1) | instskip(NEXT) | instid1(VALU_DEP_1)
	v_min_u32_e32 v3, 32, v3
	v_subrev_nc_u32_e32 v82, 29, v3
	s_delay_alu instid0(VALU_DEP_1) | instskip(NEXT) | instid1(VALU_DEP_1)
	v_lshlrev_b64_e32 v[116:117], v82, v[30:31]
	v_dual_sub_nc_u32 v3, 30, v3 :: v_dual_bitop2_b32 v87, 3, v116 bitop3:0x40
; %bb.593:                              ;   in Loop: Header=BB4_129 Depth=2
	s_or_b32 exec_lo, exec_lo, s43
	v_and_b32_e32 v82, 0x80000000, v19
	s_delay_alu instid0(VALU_DEP_1) | instskip(NEXT) | instid1(VALU_DEP_1)
	v_lshl_add_u32 v3, v3, 23, v82
	v_lshl_or_b32 v3, v87, 21, v3
                                        ; implicit-def: $vgpr87
	s_delay_alu instid0(VALU_DEP_1)
	v_add_nc_u32_e32 v3, 0x38000000, v3
.LBB4_594:                              ;   in Loop: Header=BB4_129 Depth=2
	s_and_not1_saveexec_b32 s42, s42
; %bb.595:                              ;   in Loop: Header=BB4_129 Depth=2
	v_cmp_lt_i64_e32 vcc_lo, -1, v[18:19]
	v_cndmask_b32_e32 v3, 0xff800000, v126, vcc_lo
	v_cmp_eq_u32_e32 vcc_lo, 0, v87
	s_delay_alu instid0(VALU_DEP_2)
	v_cndmask_b32_e32 v3, 0x7f800001, v3, vcc_lo
; %bb.596:                              ;   in Loop: Header=BB4_129 Depth=2
	s_or_b32 exec_lo, exec_lo, s42
.LBB4_597:                              ;   in Loop: Header=BB4_129 Depth=2
	s_delay_alu instid0(SALU_CYCLE_1)
	s_or_b32 exec_lo, exec_lo, s15
.LBB4_598:                              ;   in Loop: Header=BB4_129 Depth=2
	s_delay_alu instid0(SALU_CYCLE_1) | instskip(NEXT) | instid1(VALU_DEP_1)
	s_or_b32 exec_lo, exec_lo, s14
	v_dual_max_num_f32 v3, v3, v3 :: v_dual_max_num_f32 v0, v0, v0
	s_mov_b32 s14, 0
	s_delay_alu instid0(VALU_DEP_1)
	v_max_num_f32_e32 v3, v0, v3
.LBB4_599:                              ;   in Loop: Header=BB4_129 Depth=2
	s_and_b32 vcc_lo, exec_lo, s14
	s_cbranch_vccz .LBB4_621
; %bb.600:                              ;   in Loop: Header=BB4_129 Depth=2
	v_dual_mov_b32 v3, 0 :: v_dual_mov_b32 v0, 0
	s_and_saveexec_b32 s14, s10
	s_cbranch_execz .LBB4_610
; %bb.601:                              ;   in Loop: Header=BB4_129 Depth=2
	v_bfrev_b32_e32 v0, 1
	s_mov_b32 s10, exec_lo
	v_cmpx_ne_u32_e32 0x80, v54
	s_cbranch_execz .LBB4_609
; %bb.602:                              ;   in Loop: Header=BB4_129 Depth=2
	v_and_b32_e32 v0, 0x7c000000, v23
	v_bfe_u32 v87, v23, 24, 2
	s_delay_alu instid0(VALU_DEP_2) | instskip(SKIP_1) | instid1(SALU_CYCLE_1)
	v_cmp_ne_u32_e32 vcc_lo, 0x7c000000, v0
                                        ; implicit-def: $vgpr0
	s_and_saveexec_b32 s15, vcc_lo
	s_xor_b32 s15, exec_lo, s15
	s_cbranch_execz .LBB4_606
; %bb.603:                              ;   in Loop: Header=BB4_129 Depth=2
	v_bfe_u32 v0, v23, 26, 5
	s_mov_b32 s42, exec_lo
	s_delay_alu instid0(VALU_DEP_1)
	v_cmpx_eq_u32_e32 0, v0
; %bb.604:                              ;   in Loop: Header=BB4_129 Depth=2
	v_clz_i32_u32_e32 v0, v87
	s_delay_alu instid0(VALU_DEP_1) | instskip(NEXT) | instid1(VALU_DEP_1)
	v_min_u32_e32 v0, 32, v0
	v_subrev_nc_u32_e32 v82, 29, v0
	v_sub_nc_u32_e32 v0, 30, v0
	s_delay_alu instid0(VALU_DEP_2) | instskip(NEXT) | instid1(VALU_DEP_1)
	v_lshlrev_b64_e32 v[116:117], v82, v[54:55]
	v_and_b32_e32 v87, 3, v116
; %bb.605:                              ;   in Loop: Header=BB4_129 Depth=2
	s_or_b32 exec_lo, exec_lo, s42
	v_and_b32_e32 v54, 0x80000000, v23
	s_delay_alu instid0(VALU_DEP_1) | instskip(NEXT) | instid1(VALU_DEP_1)
	v_lshl_add_u32 v0, v0, 23, v54
	v_lshl_or_b32 v0, v87, 21, v0
                                        ; implicit-def: $vgpr87
	s_delay_alu instid0(VALU_DEP_1)
	v_add_nc_u32_e32 v0, 0x38000000, v0
.LBB4_606:                              ;   in Loop: Header=BB4_129 Depth=2
	s_and_not1_saveexec_b32 s15, s15
; %bb.607:                              ;   in Loop: Header=BB4_129 Depth=2
	v_cmp_lt_i64_e32 vcc_lo, -1, v[22:23]
	v_cndmask_b32_e32 v0, 0xff800000, v126, vcc_lo
	v_cmp_eq_u32_e32 vcc_lo, 0, v87
	s_delay_alu instid0(VALU_DEP_2)
	v_cndmask_b32_e32 v0, 0x7f800001, v0, vcc_lo
; %bb.608:                              ;   in Loop: Header=BB4_129 Depth=2
	s_or_b32 exec_lo, exec_lo, s15
.LBB4_609:                              ;   in Loop: Header=BB4_129 Depth=2
	s_delay_alu instid0(SALU_CYCLE_1)
	s_or_b32 exec_lo, exec_lo, s10
.LBB4_610:                              ;   in Loop: Header=BB4_129 Depth=2
	s_delay_alu instid0(SALU_CYCLE_1) | instskip(NEXT) | instid1(SALU_CYCLE_1)
	s_or_b32 exec_lo, exec_lo, s14
	s_mov_b32 s10, exec_lo
	v_cmpx_lt_u64_e64 s[16:17], v[18:19]
	s_cbranch_execz .LBB4_620
; %bb.611:                              ;   in Loop: Header=BB4_129 Depth=2
	v_bfrev_b32_e32 v3, 1
	s_mov_b32 s14, exec_lo
	v_cmpx_ne_u32_e32 0x80, v30
	s_cbranch_execz .LBB4_619
; %bb.612:                              ;   in Loop: Header=BB4_129 Depth=2
	v_and_b32_e32 v3, 0x7c000000, v19
	v_bfe_u32 v22, v19, 24, 2
	s_delay_alu instid0(VALU_DEP_2) | instskip(SKIP_1) | instid1(SALU_CYCLE_1)
	v_cmp_ne_u32_e32 vcc_lo, 0x7c000000, v3
                                        ; implicit-def: $vgpr3
	s_and_saveexec_b32 s15, vcc_lo
	s_xor_b32 s15, exec_lo, s15
	s_cbranch_execz .LBB4_616
; %bb.613:                              ;   in Loop: Header=BB4_129 Depth=2
	v_bfe_u32 v3, v19, 26, 5
	s_mov_b32 s42, exec_lo
	s_delay_alu instid0(VALU_DEP_1)
	v_cmpx_eq_u32_e32 0, v3
; %bb.614:                              ;   in Loop: Header=BB4_129 Depth=2
	v_clz_i32_u32_e32 v3, v22
	s_delay_alu instid0(VALU_DEP_1) | instskip(NEXT) | instid1(VALU_DEP_1)
	v_min_u32_e32 v3, 32, v3
	v_subrev_nc_u32_e32 v22, 29, v3
	s_delay_alu instid0(VALU_DEP_1) | instskip(NEXT) | instid1(VALU_DEP_1)
	v_lshlrev_b64_e32 v[22:23], v22, v[30:31]
	v_dual_sub_nc_u32 v3, 30, v3 :: v_dual_bitop2_b32 v22, 3, v22 bitop3:0x40
; %bb.615:                              ;   in Loop: Header=BB4_129 Depth=2
	s_or_b32 exec_lo, exec_lo, s42
	v_and_b32_e32 v23, 0x80000000, v19
	s_delay_alu instid0(VALU_DEP_1) | instskip(NEXT) | instid1(VALU_DEP_1)
	v_lshl_add_u32 v3, v3, 23, v23
	v_lshl_or_b32 v3, v22, 21, v3
                                        ; implicit-def: $vgpr22
	s_delay_alu instid0(VALU_DEP_1)
	v_add_nc_u32_e32 v3, 0x38000000, v3
.LBB4_616:                              ;   in Loop: Header=BB4_129 Depth=2
	s_and_not1_saveexec_b32 s15, s15
; %bb.617:                              ;   in Loop: Header=BB4_129 Depth=2
	v_cmp_lt_i64_e32 vcc_lo, -1, v[18:19]
	v_cndmask_b32_e32 v3, 0xff800000, v126, vcc_lo
	v_cmp_eq_u32_e32 vcc_lo, 0, v22
	s_delay_alu instid0(VALU_DEP_2)
	v_cndmask_b32_e32 v3, 0x7f800001, v3, vcc_lo
; %bb.618:                              ;   in Loop: Header=BB4_129 Depth=2
	s_or_b32 exec_lo, exec_lo, s15
.LBB4_619:                              ;   in Loop: Header=BB4_129 Depth=2
	s_delay_alu instid0(SALU_CYCLE_1)
	s_or_b32 exec_lo, exec_lo, s14
.LBB4_620:                              ;   in Loop: Header=BB4_129 Depth=2
	s_delay_alu instid0(SALU_CYCLE_1) | instskip(NEXT) | instid1(VALU_DEP_1)
	s_or_b32 exec_lo, exec_lo, s10
	v_dual_max_num_f32 v3, v3, v3 :: v_dual_max_num_f32 v0, v0, v0
	s_delay_alu instid0(VALU_DEP_1)
	v_min_num_f32_e32 v3, v0, v3
.LBB4_621:                              ;   in Loop: Header=BB4_129 Depth=2
	s_delay_alu instid0(VALU_DEP_1) | instskip(SKIP_3) | instid1(VALU_DEP_2)
	v_and_b32_e32 v18, 0x7f800000, v3
	v_dual_mov_b32 v19, v55 :: v_dual_lshrrev_b32 v0, 24, v3
	v_and_b32_e32 v54, 0x7fffff, v3
                                        ; implicit-def: $vgpr30
	s_mov_b32 s10, exec_lo
	v_cmpx_ne_u64_e32 0x7f800000, v[18:19]
	s_xor_b32 s14, exec_lo, s10
	s_cbranch_execz .LBB4_635
; %bb.622:                              ;   in Loop: Header=BB4_129 Depth=2
	v_and_b32_e32 v18, 0x7fffffff, v3
	v_mov_b32_e32 v19, v55
	v_and_b32_e32 v0, 0x80, v0
                                        ; implicit-def: $vgpr30
	s_mov_b32 s10, exec_lo
	s_delay_alu instid0(VALU_DEP_2)
	v_cmpx_gt_u64_e32 0x47600001, v[18:19]
	s_xor_b32 s15, exec_lo, s10
	s_cbranch_execz .LBB4_632
; %bb.623:                              ;   in Loop: Header=BB4_129 Depth=2
	v_mov_b32_e32 v30, 0
	s_mov_b32 s42, exec_lo
	v_cmpx_ne_u32_e32 0, v3
	s_cbranch_execz .LBB4_631
; %bb.624:                              ;   in Loop: Header=BB4_129 Depth=2
	v_bfe_u32 v3, v3, 23, 8
	v_or_b32_e32 v22, 0x800000, v54
	s_delay_alu instid0(VALU_DEP_2) | instskip(SKIP_1) | instid1(VALU_DEP_2)
	v_sub_nc_u32_e32 v18, 0x71, v3
	v_cmp_gt_u32_e32 vcc_lo, 0x72, v3
	v_cndmask_b32_e32 v18, 0, v18, vcc_lo
	v_cmp_eq_u32_e32 vcc_lo, 0, v3
	s_delay_alu instid0(VALU_DEP_2) | instskip(SKIP_1) | instid1(VALU_DEP_2)
	v_cndmask_b32_e64 v30, v18, 0x70, vcc_lo
	v_cndmask_b32_e32 v54, v22, v54, vcc_lo
	v_dual_add_nc_u32 v18, 21, v30 :: v_dual_add_nc_u32 v23, 20, v30
	s_delay_alu instid0(VALU_DEP_1) | instskip(NEXT) | instid1(VALU_DEP_2)
	v_lshlrev_b64_e64 v[18:19], v18, -1
	v_lshlrev_b64_e64 v[22:23], v23, 1
	s_delay_alu instid0(VALU_DEP_2) | instskip(NEXT) | instid1(VALU_DEP_3)
	v_bfi_b32 v117, v19, 0, 0
	v_bfi_b32 v116, v18, 0, v54
	v_lshrrev_b64 v[18:19], v30, v[54:55]
	s_delay_alu instid0(VALU_DEP_2) | instskip(NEXT) | instid1(VALU_DEP_2)
	v_cmp_eq_u64_e64 s10, v[116:117], v[22:23]
	v_mov_b64_e32 v[22:23], v[18:19]
	s_and_saveexec_b32 s43, s10
; %bb.625:                              ;   in Loop: Header=BB4_129 Depth=2
	v_bfe_u32 v54, v18, 21, 1
	s_delay_alu instid0(VALU_DEP_1) | instskip(NEXT) | instid1(VALU_DEP_1)
	v_add_nc_u64_e32 v[22:23], v[18:19], v[54:55]
	v_add_nc_u64_e32 v[22:23], -1, v[22:23]
; %bb.626:                              ;   in Loop: Header=BB4_129 Depth=2
	s_or_b32 exec_lo, exec_lo, s43
	v_add_nc_u32_e32 v3, 0xffffff81, v3
	v_lshrrev_b32_e32 v19, 23, v18
	s_mov_b32 s10, exec_lo
	s_delay_alu instid0(VALU_DEP_2) | instskip(NEXT) | instid1(VALU_DEP_1)
	v_cndmask_b32_e64 v3, v3, 0xffffff82, vcc_lo
	v_add3_u32 v23, v30, v3, v19
	v_and_b32_e32 v3, 0x1fffff, v22
	s_delay_alu instid0(VALU_DEP_1) | instskip(NEXT) | instid1(VALU_DEP_1)
	v_dual_add_nc_u32 v22, 14, v23 :: v_dual_add_nc_u32 v54, v3, v18
                                        ; implicit-def: $vgpr18_vgpr19
                                        ; implicit-def: $vgpr3
	v_cmpx_ne_u32_e32 0, v22
	s_xor_b32 s10, exec_lo, s10
; %bb.627:                              ;   in Loop: Header=BB4_129 Depth=2
	s_delay_alu instid0(VALU_DEP_2) | instskip(SKIP_2) | instid1(VALU_DEP_2)
	v_cmp_lt_u64_e32 vcc_lo, 0xffffff, v[54:55]
	v_add_nc_u32_e32 v3, 15, v23
	v_cndmask_b32_e64 v18, 0, 1, vcc_lo
	v_cndmask_b32_e32 v3, v22, v3, vcc_lo
	s_delay_alu instid0(VALU_DEP_2)
	v_lshrrev_b64 v[18:19], v18, v[54:55]
; %bb.628:                              ;   in Loop: Header=BB4_129 Depth=2
	s_and_not1_saveexec_b32 s10, s10
; %bb.629:                              ;   in Loop: Header=BB4_129 Depth=2
	v_mov_b64_e32 v[18:19], v[54:55]
	v_bfe_u32 v3, v54, 23, 1
; %bb.630:                              ;   in Loop: Header=BB4_129 Depth=2
	s_or_b32 exec_lo, exec_lo, s10
	s_delay_alu instid0(VALU_DEP_2) | instskip(NEXT) | instid1(VALU_DEP_2)
	v_lshrrev_b64 v[18:19], 21, v[18:19]
	v_cmp_gt_i32_e32 vcc_lo, 32, v3
	v_min_i32_e32 v22, 31, v3
	v_cmp_eq_u32_e64 s10, 0, v3
	s_delay_alu instid0(VALU_DEP_4) | instskip(NEXT) | instid1(VALU_DEP_3)
	v_cndmask_b32_e32 v18, 3, v18, vcc_lo
	v_dual_cndmask_b32 v19, 0, v19 :: v_dual_lshlrev_b32 v22, 2, v22
	s_delay_alu instid0(VALU_DEP_1) | instskip(NEXT) | instid1(VALU_DEP_2)
	v_and_b32_e32 v22, 0xfc, v22
	v_cmp_eq_u64_e32 vcc_lo, 0, v[18:19]
	s_delay_alu instid0(VALU_DEP_2)
	v_and_or_b32 v3, v18, 3, v22
	s_and_b32 s10, s10, vcc_lo
	s_delay_alu instid0(VALU_DEP_1) | instid1(SALU_CYCLE_1)
	v_cndmask_b32_e64 v3, v3, 0, s10
	s_delay_alu instid0(VALU_DEP_1)
	v_or_b32_e32 v30, v3, v0
.LBB4_631:                              ;   in Loop: Header=BB4_129 Depth=2
	s_or_b32 exec_lo, exec_lo, s42
                                        ; implicit-def: $vgpr0
.LBB4_632:                              ;   in Loop: Header=BB4_129 Depth=2
	s_and_not1_saveexec_b32 s10, s15
; %bb.633:                              ;   in Loop: Header=BB4_129 Depth=2
	v_or_b32_e32 v30, 0x7b, v0
; %bb.634:                              ;   in Loop: Header=BB4_129 Depth=2
	s_or_b32 exec_lo, exec_lo, s10
                                        ; implicit-def: $vgpr3
                                        ; implicit-def: $vgpr0
.LBB4_635:                              ;   in Loop: Header=BB4_129 Depth=2
	s_and_not1_saveexec_b32 s10, s14
	s_cbranch_execz .LBB4_641
; %bb.636:                              ;   in Loop: Header=BB4_129 Depth=2
	s_mov_b32 s14, exec_lo
                                        ; implicit-def: $vgpr30
	v_cmpx_ne_u64_e32 0, v[54:55]
	s_xor_b32 s14, exec_lo, s14
; %bb.637:                              ;   in Loop: Header=BB4_129 Depth=2
	v_or_b32_e32 v30, 0x7f, v0
                                        ; implicit-def: $vgpr3
; %bb.638:                              ;   in Loop: Header=BB4_129 Depth=2
	s_and_not1_saveexec_b32 s14, s14
; %bb.639:                              ;   in Loop: Header=BB4_129 Depth=2
	v_cmp_lt_i32_e32 vcc_lo, -1, v3
	v_cndmask_b32_e32 v30, 0xfc, v122, vcc_lo
; %bb.640:                              ;   in Loop: Header=BB4_129 Depth=2
	s_or_b32 exec_lo, exec_lo, s14
.LBB4_641:                              ;   in Loop: Header=BB4_129 Depth=2
	s_delay_alu instid0(SALU_CYCLE_1)
	s_or_b32 exec_lo, exec_lo, s10
	v_and_b32_e32 v18, 0xff, v24
	v_bfe_i32 v3, v24, 0, 8
	v_bfe_i32 v0, v20, 0, 8
	s_and_b32 vcc_lo, exec_lo, s13
	s_mov_b32 s14, -1
	v_cmp_ne_u16_e64 s10, 0, v18
                                        ; implicit-def: $vgpr18
	s_cbranch_vccz .LBB4_663
; %bb.642:                              ;   in Loop: Header=BB4_129 Depth=2
	v_dual_mov_b32 v19, 0 :: v_dual_mov_b32 v18, 0
	s_and_saveexec_b32 s14, s10
	s_cbranch_execz .LBB4_652
; %bb.643:                              ;   in Loop: Header=BB4_129 Depth=2
	v_bfrev_b32_e32 v18, 1
	s_mov_b32 s15, exec_lo
	v_cmpx_ne_u16_e32 0xff80, v3
	s_cbranch_execz .LBB4_651
; %bb.644:                              ;   in Loop: Header=BB4_129 Depth=2
	v_and_b32_e32 v18, 0x7c, v24
	v_and_b32_e32 v22, 3, v24
	s_delay_alu instid0(VALU_DEP_2) | instskip(SKIP_1) | instid1(SALU_CYCLE_1)
	v_cmp_ne_u32_e32 vcc_lo, 0x7c, v18
                                        ; implicit-def: $vgpr18
	s_and_saveexec_b32 s42, vcc_lo
	s_xor_b32 s42, exec_lo, s42
	s_cbranch_execz .LBB4_648
; %bb.645:                              ;   in Loop: Header=BB4_129 Depth=2
	v_bfe_u32 v18, v24, 2, 5
	s_mov_b32 s43, exec_lo
	s_delay_alu instid0(VALU_DEP_1)
	v_cmpx_eq_u32_e32 0, v18
; %bb.646:                              ;   in Loop: Header=BB4_129 Depth=2
	v_clz_i32_u32_e32 v18, v22
	s_delay_alu instid0(VALU_DEP_1) | instskip(NEXT) | instid1(VALU_DEP_1)
	v_min_u32_e32 v18, 32, v18
	v_subrev_nc_u32_e32 v22, 29, v18
	v_sub_nc_u32_e32 v18, 30, v18
	s_delay_alu instid0(VALU_DEP_2) | instskip(NEXT) | instid1(VALU_DEP_1)
	v_lshlrev_b64_e32 v[22:23], v22, v[24:25]
	v_and_b32_e32 v22, 3, v22
; %bb.647:                              ;   in Loop: Header=BB4_129 Depth=2
	s_or_b32 exec_lo, exec_lo, s43
	v_lshlrev_b32_e32 v23, 24, v24
	s_delay_alu instid0(VALU_DEP_1) | instskip(NEXT) | instid1(VALU_DEP_1)
	v_and_b32_e32 v23, 0x80000000, v23
	v_lshl_add_u32 v18, v18, 23, v23
	s_delay_alu instid0(VALU_DEP_1) | instskip(NEXT) | instid1(VALU_DEP_1)
	v_lshl_or_b32 v18, v22, 21, v18
                                        ; implicit-def: $vgpr22
	v_add_nc_u32_e32 v18, 0x38000000, v18
.LBB4_648:                              ;   in Loop: Header=BB4_129 Depth=2
	s_and_not1_saveexec_b32 s42, s42
; %bb.649:                              ;   in Loop: Header=BB4_129 Depth=2
	v_cmp_lt_i16_e32 vcc_lo, -1, v3
	v_cndmask_b32_e32 v18, 0xff800000, v126, vcc_lo
	v_cmp_eq_u32_e32 vcc_lo, 0, v22
	s_delay_alu instid0(VALU_DEP_2)
	v_cndmask_b32_e32 v18, 0x7f800001, v18, vcc_lo
; %bb.650:                              ;   in Loop: Header=BB4_129 Depth=2
	s_or_b32 exec_lo, exec_lo, s42
.LBB4_651:                              ;   in Loop: Header=BB4_129 Depth=2
	s_delay_alu instid0(SALU_CYCLE_1)
	s_or_b32 exec_lo, exec_lo, s15
.LBB4_652:                              ;   in Loop: Header=BB4_129 Depth=2
	s_delay_alu instid0(SALU_CYCLE_1) | instskip(NEXT) | instid1(SALU_CYCLE_1)
	s_or_b32 exec_lo, exec_lo, s14
	s_mov_b32 s14, exec_lo
	v_cmpx_ne_u16_e32 0, v0
	s_cbranch_execz .LBB4_662
; %bb.653:                              ;   in Loop: Header=BB4_129 Depth=2
	v_bfrev_b32_e32 v19, 1
	s_mov_b32 s15, exec_lo
	v_cmpx_ne_u16_e32 0xff80, v0
	s_cbranch_execz .LBB4_661
; %bb.654:                              ;   in Loop: Header=BB4_129 Depth=2
	v_and_b32_e32 v19, 0x7c, v20
	v_and_b32_e32 v22, 3, v20
	s_delay_alu instid0(VALU_DEP_2) | instskip(SKIP_1) | instid1(SALU_CYCLE_1)
	v_cmp_ne_u32_e32 vcc_lo, 0x7c, v19
                                        ; implicit-def: $vgpr19
	s_and_saveexec_b32 s42, vcc_lo
	s_xor_b32 s42, exec_lo, s42
	s_cbranch_execz .LBB4_658
; %bb.655:                              ;   in Loop: Header=BB4_129 Depth=2
	v_bfe_u32 v19, v20, 2, 5
	s_mov_b32 s43, exec_lo
	s_delay_alu instid0(VALU_DEP_1)
	v_cmpx_eq_u32_e32 0, v19
; %bb.656:                              ;   in Loop: Header=BB4_129 Depth=2
	v_clz_i32_u32_e32 v19, v22
	s_delay_alu instid0(VALU_DEP_1) | instskip(NEXT) | instid1(VALU_DEP_1)
	v_min_u32_e32 v19, 32, v19
	v_subrev_nc_u32_e32 v22, 29, v19
	s_delay_alu instid0(VALU_DEP_1) | instskip(NEXT) | instid1(VALU_DEP_1)
	v_lshlrev_b64_e32 v[22:23], v22, v[20:21]
	v_dual_sub_nc_u32 v19, 30, v19 :: v_dual_bitop2_b32 v22, 3, v22 bitop3:0x40
; %bb.657:                              ;   in Loop: Header=BB4_129 Depth=2
	s_or_b32 exec_lo, exec_lo, s43
	v_lshlrev_b32_e32 v23, 24, v20
	s_delay_alu instid0(VALU_DEP_1) | instskip(NEXT) | instid1(VALU_DEP_1)
	v_and_b32_e32 v23, 0x80000000, v23
	v_lshl_add_u32 v19, v19, 23, v23
	s_delay_alu instid0(VALU_DEP_1) | instskip(NEXT) | instid1(VALU_DEP_1)
	v_lshl_or_b32 v19, v22, 21, v19
                                        ; implicit-def: $vgpr22
	v_add_nc_u32_e32 v19, 0x38000000, v19
.LBB4_658:                              ;   in Loop: Header=BB4_129 Depth=2
	s_and_not1_saveexec_b32 s42, s42
; %bb.659:                              ;   in Loop: Header=BB4_129 Depth=2
	v_cmp_lt_i16_e32 vcc_lo, -1, v0
	v_cndmask_b32_e32 v19, 0xff800000, v126, vcc_lo
	v_cmp_eq_u32_e32 vcc_lo, 0, v22
	s_delay_alu instid0(VALU_DEP_2)
	v_cndmask_b32_e32 v19, 0x7f800001, v19, vcc_lo
; %bb.660:                              ;   in Loop: Header=BB4_129 Depth=2
	s_or_b32 exec_lo, exec_lo, s42
.LBB4_661:                              ;   in Loop: Header=BB4_129 Depth=2
	s_delay_alu instid0(SALU_CYCLE_1)
	s_or_b32 exec_lo, exec_lo, s15
.LBB4_662:                              ;   in Loop: Header=BB4_129 Depth=2
	s_delay_alu instid0(SALU_CYCLE_1) | instskip(NEXT) | instid1(VALU_DEP_1)
	s_or_b32 exec_lo, exec_lo, s14
	v_dual_max_num_f32 v19, v19, v19 :: v_dual_max_num_f32 v18, v18, v18
	s_mov_b32 s14, 0
	s_delay_alu instid0(VALU_DEP_1)
	v_max_num_f32_e32 v18, v18, v19
.LBB4_663:                              ;   in Loop: Header=BB4_129 Depth=2
	s_and_b32 vcc_lo, exec_lo, s14
	s_cbranch_vccz .LBB4_685
; %bb.664:                              ;   in Loop: Header=BB4_129 Depth=2
	v_dual_mov_b32 v19, 0 :: v_dual_mov_b32 v18, 0
	s_and_saveexec_b32 s14, s10
	s_cbranch_execz .LBB4_674
; %bb.665:                              ;   in Loop: Header=BB4_129 Depth=2
	v_bfrev_b32_e32 v18, 1
	s_mov_b32 s10, exec_lo
	v_cmpx_ne_u16_e32 0xff80, v3
	s_cbranch_execz .LBB4_673
; %bb.666:                              ;   in Loop: Header=BB4_129 Depth=2
	v_and_b32_e32 v18, 0x7c, v24
	v_and_b32_e32 v22, 3, v24
	s_delay_alu instid0(VALU_DEP_2) | instskip(SKIP_1) | instid1(SALU_CYCLE_1)
	v_cmp_ne_u32_e32 vcc_lo, 0x7c, v18
                                        ; implicit-def: $vgpr18
	s_and_saveexec_b32 s15, vcc_lo
	s_xor_b32 s15, exec_lo, s15
	s_cbranch_execz .LBB4_670
; %bb.667:                              ;   in Loop: Header=BB4_129 Depth=2
	v_bfe_u32 v3, v24, 2, 5
	s_mov_b32 s42, exec_lo
	s_delay_alu instid0(VALU_DEP_1)
	v_cmpx_eq_u32_e32 0, v3
; %bb.668:                              ;   in Loop: Header=BB4_129 Depth=2
	v_clz_i32_u32_e32 v3, v22
	s_delay_alu instid0(VALU_DEP_1) | instskip(NEXT) | instid1(VALU_DEP_1)
	v_min_u32_e32 v3, 32, v3
	v_subrev_nc_u32_e32 v18, 29, v3
	s_delay_alu instid0(VALU_DEP_1) | instskip(NEXT) | instid1(VALU_DEP_1)
	v_lshlrev_b64_e32 v[22:23], v18, v[24:25]
	v_dual_sub_nc_u32 v3, 30, v3 :: v_dual_bitop2_b32 v22, 3, v22 bitop3:0x40
; %bb.669:                              ;   in Loop: Header=BB4_129 Depth=2
	s_or_b32 exec_lo, exec_lo, s42
	v_lshlrev_b32_e32 v18, 24, v24
	s_delay_alu instid0(VALU_DEP_1) | instskip(NEXT) | instid1(VALU_DEP_1)
	v_and_b32_e32 v18, 0x80000000, v18
	v_lshl_add_u32 v3, v3, 23, v18
	s_delay_alu instid0(VALU_DEP_1) | instskip(NEXT) | instid1(VALU_DEP_1)
	v_lshl_or_b32 v3, v22, 21, v3
                                        ; implicit-def: $vgpr22
	v_add_nc_u32_e32 v18, 0x38000000, v3
                                        ; implicit-def: $vgpr3
.LBB4_670:                              ;   in Loop: Header=BB4_129 Depth=2
	s_and_not1_saveexec_b32 s15, s15
; %bb.671:                              ;   in Loop: Header=BB4_129 Depth=2
	v_cmp_lt_i16_e32 vcc_lo, -1, v3
	v_cndmask_b32_e32 v3, 0xff800000, v126, vcc_lo
	v_cmp_eq_u32_e32 vcc_lo, 0, v22
	s_delay_alu instid0(VALU_DEP_2)
	v_cndmask_b32_e32 v18, 0x7f800001, v3, vcc_lo
; %bb.672:                              ;   in Loop: Header=BB4_129 Depth=2
	s_or_b32 exec_lo, exec_lo, s15
.LBB4_673:                              ;   in Loop: Header=BB4_129 Depth=2
	s_delay_alu instid0(SALU_CYCLE_1)
	s_or_b32 exec_lo, exec_lo, s10
.LBB4_674:                              ;   in Loop: Header=BB4_129 Depth=2
	s_delay_alu instid0(SALU_CYCLE_1) | instskip(NEXT) | instid1(SALU_CYCLE_1)
	s_or_b32 exec_lo, exec_lo, s14
	s_mov_b32 s10, exec_lo
	v_cmpx_ne_u16_e32 0, v0
	s_cbranch_execz .LBB4_684
; %bb.675:                              ;   in Loop: Header=BB4_129 Depth=2
	v_bfrev_b32_e32 v19, 1
	s_mov_b32 s14, exec_lo
	v_cmpx_ne_u16_e32 0xff80, v0
	s_cbranch_execz .LBB4_683
; %bb.676:                              ;   in Loop: Header=BB4_129 Depth=2
	v_and_b32_e32 v19, 0x7c, v20
	v_and_b32_e32 v3, 3, v20
	s_delay_alu instid0(VALU_DEP_2) | instskip(SKIP_1) | instid1(SALU_CYCLE_1)
	v_cmp_ne_u32_e32 vcc_lo, 0x7c, v19
                                        ; implicit-def: $vgpr19
	s_and_saveexec_b32 s15, vcc_lo
	s_xor_b32 s15, exec_lo, s15
	s_cbranch_execz .LBB4_680
; %bb.677:                              ;   in Loop: Header=BB4_129 Depth=2
	v_bfe_u32 v0, v20, 2, 5
	s_mov_b32 s42, exec_lo
	s_delay_alu instid0(VALU_DEP_1)
	v_cmpx_eq_u32_e32 0, v0
; %bb.678:                              ;   in Loop: Header=BB4_129 Depth=2
	v_clz_i32_u32_e32 v0, v3
	s_delay_alu instid0(VALU_DEP_1) | instskip(NEXT) | instid1(VALU_DEP_1)
	v_min_u32_e32 v0, 32, v0
	v_subrev_nc_u32_e32 v3, 29, v0
	s_delay_alu instid0(VALU_DEP_1) | instskip(NEXT) | instid1(VALU_DEP_1)
	v_lshlrev_b64_e32 v[22:23], v3, v[20:21]
	v_dual_sub_nc_u32 v0, 30, v0 :: v_dual_bitop2_b32 v3, 3, v22 bitop3:0x40
; %bb.679:                              ;   in Loop: Header=BB4_129 Depth=2
	s_or_b32 exec_lo, exec_lo, s42
	v_lshlrev_b32_e32 v19, 24, v20
	s_delay_alu instid0(VALU_DEP_1) | instskip(NEXT) | instid1(VALU_DEP_1)
	v_and_b32_e32 v19, 0x80000000, v19
	v_lshl_add_u32 v0, v0, 23, v19
	s_delay_alu instid0(VALU_DEP_1) | instskip(NEXT) | instid1(VALU_DEP_1)
	v_lshl_or_b32 v0, v3, 21, v0
                                        ; implicit-def: $vgpr3
	v_add_nc_u32_e32 v19, 0x38000000, v0
                                        ; implicit-def: $vgpr0
.LBB4_680:                              ;   in Loop: Header=BB4_129 Depth=2
	s_and_not1_saveexec_b32 s15, s15
; %bb.681:                              ;   in Loop: Header=BB4_129 Depth=2
	v_cmp_lt_i16_e32 vcc_lo, -1, v0
	v_cndmask_b32_e32 v0, 0xff800000, v126, vcc_lo
	v_cmp_eq_u32_e32 vcc_lo, 0, v3
	s_delay_alu instid0(VALU_DEP_2)
	v_cndmask_b32_e32 v19, 0x7f800001, v0, vcc_lo
; %bb.682:                              ;   in Loop: Header=BB4_129 Depth=2
	s_or_b32 exec_lo, exec_lo, s15
.LBB4_683:                              ;   in Loop: Header=BB4_129 Depth=2
	s_delay_alu instid0(SALU_CYCLE_1)
	s_or_b32 exec_lo, exec_lo, s14
.LBB4_684:                              ;   in Loop: Header=BB4_129 Depth=2
	s_delay_alu instid0(SALU_CYCLE_1) | instskip(NEXT) | instid1(VALU_DEP_1)
	s_or_b32 exec_lo, exec_lo, s10
	v_dual_max_num_f32 v0, v19, v19 :: v_dual_max_num_f32 v3, v18, v18
	s_delay_alu instid0(VALU_DEP_1)
	v_min_num_f32_e32 v18, v3, v0
.LBB4_685:                              ;   in Loop: Header=BB4_129 Depth=2
	s_delay_alu instid0(VALU_DEP_1) | instskip(SKIP_3) | instid1(VALU_DEP_2)
	v_and_b32_e32 v22, 0x7f800000, v18
	v_dual_mov_b32 v23, v55 :: v_dual_lshrrev_b32 v0, 24, v18
	v_and_b32_e32 v54, 0x7fffff, v18
                                        ; implicit-def: $vgpr119
	s_mov_b32 s10, exec_lo
	v_cmpx_ne_u64_e32 0x7f800000, v[22:23]
	s_xor_b32 s14, exec_lo, s10
	s_cbranch_execz .LBB4_699
; %bb.686:                              ;   in Loop: Header=BB4_129 Depth=2
	v_and_b32_e32 v22, 0x7fffffff, v18
	v_mov_b32_e32 v23, v55
	v_and_b32_e32 v0, 0x80, v0
                                        ; implicit-def: $vgpr119
	s_mov_b32 s10, exec_lo
	s_delay_alu instid0(VALU_DEP_2)
	v_cmpx_gt_u64_e32 0x47600001, v[22:23]
	s_xor_b32 s15, exec_lo, s10
	s_cbranch_execz .LBB4_696
; %bb.687:                              ;   in Loop: Header=BB4_129 Depth=2
	v_mov_b32_e32 v119, 0
	s_mov_b32 s42, exec_lo
	v_cmpx_ne_u32_e32 0, v18
	s_cbranch_execz .LBB4_695
; %bb.688:                              ;   in Loop: Header=BB4_129 Depth=2
	v_bfe_u32 v3, v18, 23, 8
	v_or_b32_e32 v22, 0x800000, v54
	s_delay_alu instid0(VALU_DEP_2) | instskip(SKIP_1) | instid1(VALU_DEP_2)
	v_sub_nc_u32_e32 v18, 0x71, v3
	v_cmp_gt_u32_e32 vcc_lo, 0x72, v3
	v_cndmask_b32_e32 v18, 0, v18, vcc_lo
	v_cmp_eq_u32_e32 vcc_lo, 0, v3
	s_delay_alu instid0(VALU_DEP_2) | instskip(NEXT) | instid1(VALU_DEP_1)
	v_cndmask_b32_e64 v87, v18, 0x70, vcc_lo
	v_dual_cndmask_b32 v54, v22, v54, vcc_lo :: v_dual_add_nc_u32 v18, 21, v87
	v_add_nc_u32_e32 v23, 20, v87
	s_delay_alu instid0(VALU_DEP_2) | instskip(NEXT) | instid1(VALU_DEP_2)
	v_lshlrev_b64_e64 v[18:19], v18, -1
	v_lshlrev_b64_e64 v[22:23], v23, 1
	s_delay_alu instid0(VALU_DEP_2) | instskip(NEXT) | instid1(VALU_DEP_3)
	v_bfi_b32 v117, v19, 0, 0
	v_bfi_b32 v116, v18, 0, v54
	v_lshrrev_b64 v[18:19], v87, v[54:55]
	s_delay_alu instid0(VALU_DEP_2) | instskip(NEXT) | instid1(VALU_DEP_2)
	v_cmp_eq_u64_e64 s10, v[116:117], v[22:23]
	v_mov_b64_e32 v[22:23], v[18:19]
	s_and_saveexec_b32 s43, s10
; %bb.689:                              ;   in Loop: Header=BB4_129 Depth=2
	v_bfe_u32 v54, v18, 21, 1
	s_delay_alu instid0(VALU_DEP_1) | instskip(NEXT) | instid1(VALU_DEP_1)
	v_add_nc_u64_e32 v[22:23], v[18:19], v[54:55]
	v_add_nc_u64_e32 v[22:23], -1, v[22:23]
; %bb.690:                              ;   in Loop: Header=BB4_129 Depth=2
	s_or_b32 exec_lo, exec_lo, s43
	v_add_nc_u32_e32 v3, 0xffffff81, v3
	v_lshrrev_b32_e32 v19, 23, v18
	s_mov_b32 s10, exec_lo
	s_delay_alu instid0(VALU_DEP_2) | instskip(NEXT) | instid1(VALU_DEP_1)
	v_cndmask_b32_e64 v3, v3, 0xffffff82, vcc_lo
	v_add3_u32 v23, v87, v3, v19
	v_and_b32_e32 v3, 0x1fffff, v22
	s_delay_alu instid0(VALU_DEP_1) | instskip(NEXT) | instid1(VALU_DEP_1)
	v_dual_add_nc_u32 v22, 14, v23 :: v_dual_add_nc_u32 v54, v3, v18
                                        ; implicit-def: $vgpr18_vgpr19
                                        ; implicit-def: $vgpr3
	v_cmpx_ne_u32_e32 0, v22
	s_xor_b32 s10, exec_lo, s10
; %bb.691:                              ;   in Loop: Header=BB4_129 Depth=2
	s_delay_alu instid0(VALU_DEP_2) | instskip(SKIP_2) | instid1(VALU_DEP_2)
	v_cmp_lt_u64_e32 vcc_lo, 0xffffff, v[54:55]
	v_add_nc_u32_e32 v3, 15, v23
	v_cndmask_b32_e64 v18, 0, 1, vcc_lo
	v_cndmask_b32_e32 v3, v22, v3, vcc_lo
	s_delay_alu instid0(VALU_DEP_2)
	v_lshrrev_b64 v[18:19], v18, v[54:55]
; %bb.692:                              ;   in Loop: Header=BB4_129 Depth=2
	s_and_not1_saveexec_b32 s10, s10
; %bb.693:                              ;   in Loop: Header=BB4_129 Depth=2
	v_mov_b64_e32 v[18:19], v[54:55]
	v_bfe_u32 v3, v54, 23, 1
; %bb.694:                              ;   in Loop: Header=BB4_129 Depth=2
	s_or_b32 exec_lo, exec_lo, s10
	s_delay_alu instid0(VALU_DEP_2) | instskip(NEXT) | instid1(VALU_DEP_2)
	v_lshrrev_b64 v[18:19], 21, v[18:19]
	v_cmp_gt_i32_e32 vcc_lo, 32, v3
	v_min_i32_e32 v22, 31, v3
	v_cmp_eq_u32_e64 s10, 0, v3
	s_delay_alu instid0(VALU_DEP_4) | instskip(NEXT) | instid1(VALU_DEP_3)
	v_cndmask_b32_e32 v18, 3, v18, vcc_lo
	v_dual_cndmask_b32 v19, 0, v19 :: v_dual_lshlrev_b32 v22, 2, v22
	s_delay_alu instid0(VALU_DEP_1) | instskip(NEXT) | instid1(VALU_DEP_2)
	v_and_b32_e32 v22, 0xfc, v22
	v_cmp_eq_u64_e32 vcc_lo, 0, v[18:19]
	s_delay_alu instid0(VALU_DEP_2)
	v_and_or_b32 v3, v18, 3, v22
	s_and_b32 s10, s10, vcc_lo
	s_delay_alu instid0(VALU_DEP_1) | instid1(SALU_CYCLE_1)
	v_cndmask_b32_e64 v3, v3, 0, s10
	s_delay_alu instid0(VALU_DEP_1)
	v_or_b32_e32 v119, v3, v0
.LBB4_695:                              ;   in Loop: Header=BB4_129 Depth=2
	s_or_b32 exec_lo, exec_lo, s42
                                        ; implicit-def: $vgpr0
.LBB4_696:                              ;   in Loop: Header=BB4_129 Depth=2
	s_and_not1_saveexec_b32 s10, s15
; %bb.697:                              ;   in Loop: Header=BB4_129 Depth=2
	v_or_b32_e32 v119, 0x7b, v0
; %bb.698:                              ;   in Loop: Header=BB4_129 Depth=2
	s_or_b32 exec_lo, exec_lo, s10
                                        ; implicit-def: $vgpr18
                                        ; implicit-def: $vgpr0
.LBB4_699:                              ;   in Loop: Header=BB4_129 Depth=2
	s_and_not1_saveexec_b32 s10, s14
	s_cbranch_execz .LBB4_705
; %bb.700:                              ;   in Loop: Header=BB4_129 Depth=2
	s_mov_b32 s14, exec_lo
                                        ; implicit-def: $vgpr119
	v_cmpx_ne_u64_e32 0, v[54:55]
	s_xor_b32 s14, exec_lo, s14
; %bb.701:                              ;   in Loop: Header=BB4_129 Depth=2
	v_or_b32_e32 v119, 0x7f, v0
                                        ; implicit-def: $vgpr18
; %bb.702:                              ;   in Loop: Header=BB4_129 Depth=2
	s_and_not1_saveexec_b32 s14, s14
; %bb.703:                              ;   in Loop: Header=BB4_129 Depth=2
	v_cmp_lt_i32_e32 vcc_lo, -1, v18
	v_cndmask_b32_e32 v119, 0xfc, v122, vcc_lo
; %bb.704:                              ;   in Loop: Header=BB4_129 Depth=2
	s_or_b32 exec_lo, exec_lo, s14
.LBB4_705:                              ;   in Loop: Header=BB4_129 Depth=2
	s_delay_alu instid0(SALU_CYCLE_1) | instskip(SKIP_4) | instid1(VALU_DEP_2)
	s_or_b32 exec_lo, exec_lo, s10
	v_lshrrev_b16 v54, 8, v24
	v_lshrrev_b16 v18, 8, v20
	s_and_b32 vcc_lo, exec_lo, s13
	s_mov_b32 s14, -1
                                        ; implicit-def: $vgpr3
	v_and_b32_e32 v0, 0xffff, v54
	v_cmp_ne_u16_e64 s10, 0, v54
	s_cbranch_vccz .LBB4_727
; %bb.706:                              ;   in Loop: Header=BB4_129 Depth=2
	v_dual_mov_b32 v19, 0 :: v_dual_mov_b32 v3, 0
	s_and_saveexec_b32 s14, s10
	s_cbranch_execz .LBB4_716
; %bb.707:                              ;   in Loop: Header=BB4_129 Depth=2
	v_bfrev_b32_e32 v3, 1
	s_mov_b32 s15, exec_lo
	v_cmpx_ne_u16_e32 0x80, v54
	s_cbranch_execz .LBB4_715
; %bb.708:                              ;   in Loop: Header=BB4_129 Depth=2
	v_and_b32_e32 v3, 0x7c, v0
	v_and_b32_e32 v22, 3, v0
	s_delay_alu instid0(VALU_DEP_2) | instskip(SKIP_1) | instid1(SALU_CYCLE_1)
	v_cmp_ne_u32_e32 vcc_lo, 0x7c, v3
                                        ; implicit-def: $vgpr3
	s_and_saveexec_b32 s42, vcc_lo
	s_xor_b32 s42, exec_lo, s42
	s_cbranch_execz .LBB4_712
; %bb.709:                              ;   in Loop: Header=BB4_129 Depth=2
	v_bfe_u32 v3, v0, 2, 5
	s_mov_b32 s43, exec_lo
	s_delay_alu instid0(VALU_DEP_1)
	v_cmpx_eq_u32_e32 0, v3
; %bb.710:                              ;   in Loop: Header=BB4_129 Depth=2
	v_clz_i32_u32_e32 v3, v22
	s_delay_alu instid0(VALU_DEP_1) | instskip(NEXT) | instid1(VALU_DEP_1)
	v_min_u32_e32 v3, 32, v3
	v_subrev_nc_u32_e32 v22, 29, v3
	s_delay_alu instid0(VALU_DEP_1) | instskip(NEXT) | instid1(VALU_DEP_1)
	v_lshlrev_b64_e32 v[22:23], v22, v[54:55]
	v_dual_sub_nc_u32 v3, 30, v3 :: v_dual_bitop2_b32 v22, 3, v22 bitop3:0x40
; %bb.711:                              ;   in Loop: Header=BB4_129 Depth=2
	s_or_b32 exec_lo, exec_lo, s43
	v_lshlrev_b32_e32 v23, 16, v24
	s_delay_alu instid0(VALU_DEP_1) | instskip(NEXT) | instid1(VALU_DEP_1)
	v_and_b32_e32 v23, 0x80000000, v23
	v_lshl_add_u32 v3, v3, 23, v23
	s_delay_alu instid0(VALU_DEP_1) | instskip(NEXT) | instid1(VALU_DEP_1)
	v_lshl_or_b32 v3, v22, 21, v3
                                        ; implicit-def: $vgpr22
	v_add_nc_u32_e32 v3, 0x38000000, v3
.LBB4_712:                              ;   in Loop: Header=BB4_129 Depth=2
	s_and_not1_saveexec_b32 s42, s42
; %bb.713:                              ;   in Loop: Header=BB4_129 Depth=2
	v_cmp_lt_i16_e32 vcc_lo, -1, v24
	v_cndmask_b32_e32 v3, 0xff800000, v126, vcc_lo
	v_cmp_eq_u32_e32 vcc_lo, 0, v22
	s_delay_alu instid0(VALU_DEP_2)
	v_cndmask_b32_e32 v3, 0x7f800001, v3, vcc_lo
; %bb.714:                              ;   in Loop: Header=BB4_129 Depth=2
	s_or_b32 exec_lo, exec_lo, s42
.LBB4_715:                              ;   in Loop: Header=BB4_129 Depth=2
	s_delay_alu instid0(SALU_CYCLE_1)
	s_or_b32 exec_lo, exec_lo, s15
.LBB4_716:                              ;   in Loop: Header=BB4_129 Depth=2
	s_delay_alu instid0(SALU_CYCLE_1) | instskip(NEXT) | instid1(SALU_CYCLE_1)
	s_or_b32 exec_lo, exec_lo, s14
	s_mov_b32 s14, exec_lo
	v_cmpx_ne_u16_e32 0, v18
	s_cbranch_execz .LBB4_726
; %bb.717:                              ;   in Loop: Header=BB4_129 Depth=2
	v_bfrev_b32_e32 v19, 1
	s_mov_b32 s15, exec_lo
	v_cmpx_ne_u16_e32 0x80, v18
	s_cbranch_execz .LBB4_725
; %bb.718:                              ;   in Loop: Header=BB4_129 Depth=2
	v_and_b32_e32 v23, 0xffff, v18
	s_delay_alu instid0(VALU_DEP_1) | instskip(SKIP_1) | instid1(VALU_DEP_2)
	v_and_b32_e32 v19, 0x7c, v23
	v_and_b32_e32 v22, 3, v23
	v_cmp_ne_u32_e32 vcc_lo, 0x7c, v19
                                        ; implicit-def: $vgpr19
	s_and_saveexec_b32 s42, vcc_lo
	s_delay_alu instid0(SALU_CYCLE_1)
	s_xor_b32 s42, exec_lo, s42
	s_cbranch_execz .LBB4_722
; %bb.719:                              ;   in Loop: Header=BB4_129 Depth=2
	v_bfe_u32 v19, v23, 2, 5
	s_mov_b32 s43, exec_lo
	s_delay_alu instid0(VALU_DEP_1)
	v_cmpx_eq_u32_e32 0, v19
	s_cbranch_execz .LBB4_721
; %bb.720:                              ;   in Loop: Header=BB4_129 Depth=2
	v_clz_i32_u32_e32 v19, v22
	s_delay_alu instid0(VALU_DEP_1) | instskip(SKIP_1) | instid1(VALU_DEP_2)
	v_min_u32_e32 v82, 32, v19
	v_mov_b32_e32 v19, v55
	v_subrev_nc_u32_e32 v22, 29, v82
	s_delay_alu instid0(VALU_DEP_1) | instskip(SKIP_1) | instid1(VALU_DEP_2)
	v_lshlrev_b64_e32 v[22:23], v22, v[18:19]
	v_sub_nc_u32_e32 v19, 30, v82
	v_and_b32_e32 v22, 3, v22
.LBB4_721:                              ;   in Loop: Header=BB4_129 Depth=2
	s_or_b32 exec_lo, exec_lo, s43
	v_lshlrev_b32_e32 v23, 16, v20
	s_delay_alu instid0(VALU_DEP_1) | instskip(NEXT) | instid1(VALU_DEP_1)
	v_and_b32_e32 v23, 0x80000000, v23
	v_lshl_add_u32 v19, v19, 23, v23
	s_delay_alu instid0(VALU_DEP_1) | instskip(NEXT) | instid1(VALU_DEP_1)
	v_lshl_or_b32 v19, v22, 21, v19
                                        ; implicit-def: $vgpr22
	v_add_nc_u32_e32 v19, 0x38000000, v19
.LBB4_722:                              ;   in Loop: Header=BB4_129 Depth=2
	s_and_not1_saveexec_b32 s42, s42
; %bb.723:                              ;   in Loop: Header=BB4_129 Depth=2
	v_cmp_lt_i16_e32 vcc_lo, -1, v20
	v_cndmask_b32_e32 v19, 0xff800000, v126, vcc_lo
	v_cmp_eq_u32_e32 vcc_lo, 0, v22
	s_delay_alu instid0(VALU_DEP_2)
	v_cndmask_b32_e32 v19, 0x7f800001, v19, vcc_lo
; %bb.724:                              ;   in Loop: Header=BB4_129 Depth=2
	s_or_b32 exec_lo, exec_lo, s42
.LBB4_725:                              ;   in Loop: Header=BB4_129 Depth=2
	s_delay_alu instid0(SALU_CYCLE_1)
	s_or_b32 exec_lo, exec_lo, s15
.LBB4_726:                              ;   in Loop: Header=BB4_129 Depth=2
	s_delay_alu instid0(SALU_CYCLE_1) | instskip(NEXT) | instid1(VALU_DEP_1)
	s_or_b32 exec_lo, exec_lo, s14
	v_max_num_f32_e32 v19, v19, v19
	v_max_num_f32_e32 v3, v3, v3
	s_mov_b32 s14, 0
	s_delay_alu instid0(VALU_DEP_1)
	v_max_num_f32_e32 v3, v3, v19
.LBB4_727:                              ;   in Loop: Header=BB4_129 Depth=2
	s_and_b32 vcc_lo, exec_lo, s14
	s_cbranch_vccz .LBB4_749
; %bb.728:                              ;   in Loop: Header=BB4_129 Depth=2
	v_dual_mov_b32 v19, 0 :: v_dual_mov_b32 v3, 0
	s_and_saveexec_b32 s14, s10
	s_cbranch_execz .LBB4_738
; %bb.729:                              ;   in Loop: Header=BB4_129 Depth=2
	v_bfrev_b32_e32 v3, 1
	s_mov_b32 s10, exec_lo
	v_cmpx_ne_u16_e32 0x80, v54
	s_cbranch_execz .LBB4_737
; %bb.730:                              ;   in Loop: Header=BB4_129 Depth=2
	v_and_b32_e32 v3, 0x7c, v0
	v_and_b32_e32 v22, 3, v0
	s_delay_alu instid0(VALU_DEP_2) | instskip(SKIP_1) | instid1(SALU_CYCLE_1)
	v_cmp_ne_u32_e32 vcc_lo, 0x7c, v3
                                        ; implicit-def: $vgpr3
	s_and_saveexec_b32 s15, vcc_lo
	s_xor_b32 s15, exec_lo, s15
	s_cbranch_execz .LBB4_734
; %bb.731:                              ;   in Loop: Header=BB4_129 Depth=2
	v_bfe_u32 v0, v0, 2, 5
	s_mov_b32 s42, exec_lo
	s_delay_alu instid0(VALU_DEP_1)
	v_cmpx_eq_u32_e32 0, v0
; %bb.732:                              ;   in Loop: Header=BB4_129 Depth=2
	v_clz_i32_u32_e32 v0, v22
	s_delay_alu instid0(VALU_DEP_1) | instskip(NEXT) | instid1(VALU_DEP_1)
	v_min_u32_e32 v0, 32, v0
	v_subrev_nc_u32_e32 v3, 29, v0
	s_delay_alu instid0(VALU_DEP_1) | instskip(NEXT) | instid1(VALU_DEP_1)
	v_lshlrev_b64_e32 v[22:23], v3, v[54:55]
	v_dual_sub_nc_u32 v0, 30, v0 :: v_dual_bitop2_b32 v22, 3, v22 bitop3:0x40
; %bb.733:                              ;   in Loop: Header=BB4_129 Depth=2
	s_or_b32 exec_lo, exec_lo, s42
	v_lshlrev_b32_e32 v3, 16, v24
	s_delay_alu instid0(VALU_DEP_1) | instskip(NEXT) | instid1(VALU_DEP_1)
	v_and_b32_e32 v3, 0x80000000, v3
	v_lshl_add_u32 v0, v0, 23, v3
	s_delay_alu instid0(VALU_DEP_1) | instskip(NEXT) | instid1(VALU_DEP_1)
	v_lshl_or_b32 v0, v22, 21, v0
                                        ; implicit-def: $vgpr22
	v_add_nc_u32_e32 v3, 0x38000000, v0
.LBB4_734:                              ;   in Loop: Header=BB4_129 Depth=2
	s_and_not1_saveexec_b32 s15, s15
; %bb.735:                              ;   in Loop: Header=BB4_129 Depth=2
	v_cmp_lt_i16_e32 vcc_lo, -1, v24
	v_cndmask_b32_e32 v0, 0xff800000, v126, vcc_lo
	v_cmp_eq_u32_e32 vcc_lo, 0, v22
	s_delay_alu instid0(VALU_DEP_2)
	v_cndmask_b32_e32 v3, 0x7f800001, v0, vcc_lo
; %bb.736:                              ;   in Loop: Header=BB4_129 Depth=2
	s_or_b32 exec_lo, exec_lo, s15
.LBB4_737:                              ;   in Loop: Header=BB4_129 Depth=2
	s_delay_alu instid0(SALU_CYCLE_1)
	s_or_b32 exec_lo, exec_lo, s10
.LBB4_738:                              ;   in Loop: Header=BB4_129 Depth=2
	s_delay_alu instid0(SALU_CYCLE_1) | instskip(NEXT) | instid1(SALU_CYCLE_1)
	s_or_b32 exec_lo, exec_lo, s14
	s_mov_b32 s10, exec_lo
	v_cmpx_ne_u16_e32 0, v18
	s_cbranch_execz .LBB4_748
; %bb.739:                              ;   in Loop: Header=BB4_129 Depth=2
	v_bfrev_b32_e32 v19, 1
	s_mov_b32 s14, exec_lo
	v_cmpx_ne_u16_e32 0x80, v18
	s_cbranch_execz .LBB4_747
; %bb.740:                              ;   in Loop: Header=BB4_129 Depth=2
	v_and_b32_e32 v22, 0xffff, v18
	s_delay_alu instid0(VALU_DEP_1) | instskip(SKIP_1) | instid1(VALU_DEP_2)
	v_and_b32_e32 v19, 0x7c, v22
	v_and_b32_e32 v0, 3, v22
	v_cmp_ne_u32_e32 vcc_lo, 0x7c, v19
                                        ; implicit-def: $vgpr19
	s_and_saveexec_b32 s15, vcc_lo
	s_delay_alu instid0(SALU_CYCLE_1)
	s_xor_b32 s15, exec_lo, s15
	s_cbranch_execz .LBB4_744
; %bb.741:                              ;   in Loop: Header=BB4_129 Depth=2
	v_bfe_u32 v19, v22, 2, 5
	s_mov_b32 s42, exec_lo
	s_delay_alu instid0(VALU_DEP_1)
	v_cmpx_eq_u32_e32 0, v19
; %bb.742:                              ;   in Loop: Header=BB4_129 Depth=2
	v_clz_i32_u32_e32 v0, v0
	v_mov_b32_e32 v19, v55
	s_delay_alu instid0(VALU_DEP_2) | instskip(NEXT) | instid1(VALU_DEP_1)
	v_min_u32_e32 v0, 32, v0
	v_subrev_nc_u32_e32 v22, 29, v0
	s_delay_alu instid0(VALU_DEP_1) | instskip(NEXT) | instid1(VALU_DEP_1)
	v_lshlrev_b64_e32 v[18:19], v22, v[18:19]
	v_dual_sub_nc_u32 v19, 30, v0 :: v_dual_bitop2_b32 v0, 3, v18 bitop3:0x40
; %bb.743:                              ;   in Loop: Header=BB4_129 Depth=2
	s_or_b32 exec_lo, exec_lo, s42
	v_lshlrev_b32_e32 v18, 16, v20
	s_delay_alu instid0(VALU_DEP_1) | instskip(NEXT) | instid1(VALU_DEP_1)
	v_and_b32_e32 v18, 0x80000000, v18
	v_lshl_add_u32 v18, v19, 23, v18
	s_delay_alu instid0(VALU_DEP_1) | instskip(NEXT) | instid1(VALU_DEP_1)
	v_lshl_or_b32 v0, v0, 21, v18
	v_add_nc_u32_e32 v19, 0x38000000, v0
                                        ; implicit-def: $vgpr0
.LBB4_744:                              ;   in Loop: Header=BB4_129 Depth=2
	s_and_not1_saveexec_b32 s15, s15
; %bb.745:                              ;   in Loop: Header=BB4_129 Depth=2
	v_cmp_lt_i16_e32 vcc_lo, -1, v20
	v_cndmask_b32_e32 v18, 0xff800000, v126, vcc_lo
	v_cmp_eq_u32_e32 vcc_lo, 0, v0
	s_delay_alu instid0(VALU_DEP_2)
	v_cndmask_b32_e32 v19, 0x7f800001, v18, vcc_lo
; %bb.746:                              ;   in Loop: Header=BB4_129 Depth=2
	s_or_b32 exec_lo, exec_lo, s15
.LBB4_747:                              ;   in Loop: Header=BB4_129 Depth=2
	s_delay_alu instid0(SALU_CYCLE_1)
	s_or_b32 exec_lo, exec_lo, s14
.LBB4_748:                              ;   in Loop: Header=BB4_129 Depth=2
	s_delay_alu instid0(SALU_CYCLE_1) | instskip(NEXT) | instid1(VALU_DEP_1)
	s_or_b32 exec_lo, exec_lo, s10
	v_max_num_f32_e32 v0, v19, v19
	v_max_num_f32_e32 v3, v3, v3
	s_delay_alu instid0(VALU_DEP_1)
	v_min_num_f32_e32 v3, v3, v0
.LBB4_749:                              ;   in Loop: Header=BB4_129 Depth=2
	s_delay_alu instid0(VALU_DEP_1) | instskip(SKIP_3) | instid1(VALU_DEP_2)
	v_and_b32_e32 v18, 0x7f800000, v3
	v_dual_mov_b32 v19, v55 :: v_dual_lshrrev_b32 v0, 24, v3
	v_and_b32_e32 v54, 0x7fffff, v3
                                        ; implicit-def: $vgpr41
	s_mov_b32 s10, exec_lo
	v_cmpx_ne_u64_e32 0x7f800000, v[18:19]
	s_xor_b32 s14, exec_lo, s10
	s_cbranch_execz .LBB4_763
; %bb.750:                              ;   in Loop: Header=BB4_129 Depth=2
	v_and_b32_e32 v18, 0x7fffffff, v3
	v_mov_b32_e32 v19, v55
	v_and_b32_e32 v0, 0x80, v0
                                        ; implicit-def: $vgpr41
	s_mov_b32 s10, exec_lo
	s_delay_alu instid0(VALU_DEP_2)
	v_cmpx_gt_u64_e32 0x47600001, v[18:19]
	s_xor_b32 s15, exec_lo, s10
	s_cbranch_execz .LBB4_760
; %bb.751:                              ;   in Loop: Header=BB4_129 Depth=2
	v_mov_b32_e32 v41, 0
	s_mov_b32 s42, exec_lo
	v_cmpx_ne_u32_e32 0, v3
	s_cbranch_execz .LBB4_759
; %bb.752:                              ;   in Loop: Header=BB4_129 Depth=2
	v_bfe_u32 v3, v3, 23, 8
	v_or_b32_e32 v22, 0x800000, v54
	s_delay_alu instid0(VALU_DEP_2) | instskip(SKIP_1) | instid1(VALU_DEP_2)
	v_sub_nc_u32_e32 v18, 0x71, v3
	v_cmp_gt_u32_e32 vcc_lo, 0x72, v3
	v_cndmask_b32_e32 v18, 0, v18, vcc_lo
	v_cmp_eq_u32_e32 vcc_lo, 0, v3
	s_delay_alu instid0(VALU_DEP_2) | instskip(NEXT) | instid1(VALU_DEP_1)
	v_cndmask_b32_e64 v87, v18, 0x70, vcc_lo
	v_dual_cndmask_b32 v54, v22, v54, vcc_lo :: v_dual_add_nc_u32 v18, 21, v87
	v_add_nc_u32_e32 v23, 20, v87
	s_delay_alu instid0(VALU_DEP_2) | instskip(NEXT) | instid1(VALU_DEP_2)
	v_lshlrev_b64_e64 v[18:19], v18, -1
	v_lshlrev_b64_e64 v[22:23], v23, 1
	s_delay_alu instid0(VALU_DEP_2) | instskip(NEXT) | instid1(VALU_DEP_3)
	v_bfi_b32 v117, v19, 0, 0
	v_bfi_b32 v116, v18, 0, v54
	v_lshrrev_b64 v[18:19], v87, v[54:55]
	s_delay_alu instid0(VALU_DEP_2) | instskip(NEXT) | instid1(VALU_DEP_2)
	v_cmp_eq_u64_e64 s10, v[116:117], v[22:23]
	v_mov_b64_e32 v[22:23], v[18:19]
	s_and_saveexec_b32 s43, s10
; %bb.753:                              ;   in Loop: Header=BB4_129 Depth=2
	v_bfe_u32 v54, v18, 21, 1
	s_delay_alu instid0(VALU_DEP_1) | instskip(NEXT) | instid1(VALU_DEP_1)
	v_add_nc_u64_e32 v[22:23], v[18:19], v[54:55]
	v_add_nc_u64_e32 v[22:23], -1, v[22:23]
; %bb.754:                              ;   in Loop: Header=BB4_129 Depth=2
	s_or_b32 exec_lo, exec_lo, s43
	v_add_nc_u32_e32 v3, 0xffffff81, v3
	v_lshrrev_b32_e32 v19, 23, v18
	s_mov_b32 s10, exec_lo
	s_delay_alu instid0(VALU_DEP_2) | instskip(NEXT) | instid1(VALU_DEP_1)
	v_cndmask_b32_e64 v3, v3, 0xffffff82, vcc_lo
	v_add3_u32 v23, v87, v3, v19
	v_and_b32_e32 v3, 0x1fffff, v22
	s_delay_alu instid0(VALU_DEP_1) | instskip(NEXT) | instid1(VALU_DEP_1)
	v_dual_add_nc_u32 v22, 14, v23 :: v_dual_add_nc_u32 v54, v3, v18
                                        ; implicit-def: $vgpr18_vgpr19
                                        ; implicit-def: $vgpr3
	v_cmpx_ne_u32_e32 0, v22
	s_xor_b32 s10, exec_lo, s10
; %bb.755:                              ;   in Loop: Header=BB4_129 Depth=2
	s_delay_alu instid0(VALU_DEP_2) | instskip(SKIP_2) | instid1(VALU_DEP_2)
	v_cmp_lt_u64_e32 vcc_lo, 0xffffff, v[54:55]
	v_add_nc_u32_e32 v3, 15, v23
	v_cndmask_b32_e64 v18, 0, 1, vcc_lo
	v_cndmask_b32_e32 v3, v22, v3, vcc_lo
	s_delay_alu instid0(VALU_DEP_2)
	v_lshrrev_b64 v[18:19], v18, v[54:55]
; %bb.756:                              ;   in Loop: Header=BB4_129 Depth=2
	s_and_not1_saveexec_b32 s10, s10
; %bb.757:                              ;   in Loop: Header=BB4_129 Depth=2
	v_mov_b64_e32 v[18:19], v[54:55]
	v_bfe_u32 v3, v54, 23, 1
; %bb.758:                              ;   in Loop: Header=BB4_129 Depth=2
	s_or_b32 exec_lo, exec_lo, s10
	s_delay_alu instid0(VALU_DEP_2) | instskip(NEXT) | instid1(VALU_DEP_2)
	v_lshrrev_b64 v[18:19], 21, v[18:19]
	v_cmp_gt_i32_e32 vcc_lo, 32, v3
	v_min_i32_e32 v22, 31, v3
	v_cmp_eq_u32_e64 s10, 0, v3
	s_delay_alu instid0(VALU_DEP_4) | instskip(NEXT) | instid1(VALU_DEP_3)
	v_cndmask_b32_e32 v18, 3, v18, vcc_lo
	v_dual_cndmask_b32 v19, 0, v19 :: v_dual_lshlrev_b32 v22, 2, v22
	s_delay_alu instid0(VALU_DEP_1) | instskip(NEXT) | instid1(VALU_DEP_2)
	v_and_b32_e32 v22, 0xfc, v22
	v_cmp_eq_u64_e32 vcc_lo, 0, v[18:19]
	s_delay_alu instid0(VALU_DEP_2)
	v_and_or_b32 v3, v18, 3, v22
	s_and_b32 s10, s10, vcc_lo
	s_delay_alu instid0(VALU_DEP_1) | instid1(SALU_CYCLE_1)
	v_cndmask_b32_e64 v3, v3, 0, s10
	s_delay_alu instid0(VALU_DEP_1)
	v_or_b32_e32 v41, v3, v0
.LBB4_759:                              ;   in Loop: Header=BB4_129 Depth=2
	s_or_b32 exec_lo, exec_lo, s42
                                        ; implicit-def: $vgpr0
.LBB4_760:                              ;   in Loop: Header=BB4_129 Depth=2
	s_and_not1_saveexec_b32 s10, s15
; %bb.761:                              ;   in Loop: Header=BB4_129 Depth=2
	v_or_b32_e32 v41, 0x7b, v0
; %bb.762:                              ;   in Loop: Header=BB4_129 Depth=2
	s_or_b32 exec_lo, exec_lo, s10
                                        ; implicit-def: $vgpr3
                                        ; implicit-def: $vgpr0
.LBB4_763:                              ;   in Loop: Header=BB4_129 Depth=2
	s_and_not1_saveexec_b32 s10, s14
	s_cbranch_execz .LBB4_769
; %bb.764:                              ;   in Loop: Header=BB4_129 Depth=2
	s_mov_b32 s14, exec_lo
                                        ; implicit-def: $vgpr41
	v_cmpx_ne_u64_e32 0, v[54:55]
	s_xor_b32 s14, exec_lo, s14
; %bb.765:                              ;   in Loop: Header=BB4_129 Depth=2
	v_or_b32_e32 v41, 0x7f, v0
                                        ; implicit-def: $vgpr3
; %bb.766:                              ;   in Loop: Header=BB4_129 Depth=2
	s_and_not1_saveexec_b32 s14, s14
; %bb.767:                              ;   in Loop: Header=BB4_129 Depth=2
	v_cmp_lt_i32_e32 vcc_lo, -1, v3
	v_cndmask_b32_e32 v41, 0xfc, v122, vcc_lo
; %bb.768:                              ;   in Loop: Header=BB4_129 Depth=2
	s_or_b32 exec_lo, exec_lo, s14
.LBB4_769:                              ;   in Loop: Header=BB4_129 Depth=2
	s_delay_alu instid0(SALU_CYCLE_1) | instskip(SKIP_4) | instid1(VALU_DEP_2)
	s_or_b32 exec_lo, exec_lo, s10
	v_lshrrev_b32_e32 v22, 16, v24
	v_lshrrev_b32_e32 v18, 16, v20
	s_and_b32 vcc_lo, exec_lo, s13
	s_mov_b32 s14, -1
                                        ; implicit-def: $vgpr3
	v_and_b32_e32 v0, 0xff, v22
	s_delay_alu instid0(VALU_DEP_1)
	v_cmp_ne_u16_e64 s10, 0, v0
	s_cbranch_vccz .LBB4_791
; %bb.770:                              ;   in Loop: Header=BB4_129 Depth=2
	v_dual_mov_b32 v19, 0 :: v_dual_mov_b32 v3, 0
	s_and_saveexec_b32 s14, s10
	s_cbranch_execz .LBB4_780
; %bb.771:                              ;   in Loop: Header=BB4_129 Depth=2
	v_bfrev_b32_e32 v3, 1
	s_mov_b32 s15, exec_lo
	v_cmpx_ne_u16_e32 0x80, v0
	s_cbranch_execz .LBB4_779
; %bb.772:                              ;   in Loop: Header=BB4_129 Depth=2
	v_and_b32_e32 v3, 0x7c0000, v24
	v_bfe_u32 v23, v24, 16, 2
	s_delay_alu instid0(VALU_DEP_2) | instskip(SKIP_1) | instid1(SALU_CYCLE_1)
	v_cmp_ne_u32_e32 vcc_lo, 0x7c0000, v3
                                        ; implicit-def: $vgpr3
	s_and_saveexec_b32 s42, vcc_lo
	s_xor_b32 s42, exec_lo, s42
	s_cbranch_execz .LBB4_776
; %bb.773:                              ;   in Loop: Header=BB4_129 Depth=2
	v_bfe_u32 v3, v24, 18, 5
	s_mov_b32 s43, exec_lo
	s_delay_alu instid0(VALU_DEP_1)
	v_cmpx_eq_u32_e32 0, v3
; %bb.774:                              ;   in Loop: Header=BB4_129 Depth=2
	v_clz_i32_u32_e32 v3, v23
	s_delay_alu instid0(VALU_DEP_1) | instskip(NEXT) | instid1(VALU_DEP_1)
	v_min_u32_e32 v3, 32, v3
	v_subrev_nc_u32_e32 v23, 29, v3
	s_delay_alu instid0(VALU_DEP_1) | instskip(NEXT) | instid1(VALU_DEP_1)
	v_lshlrev_b64_e32 v[116:117], v23, v[22:23]
	v_dual_sub_nc_u32 v3, 30, v3 :: v_dual_bitop2_b32 v23, 3, v116 bitop3:0x40
; %bb.775:                              ;   in Loop: Header=BB4_129 Depth=2
	s_or_b32 exec_lo, exec_lo, s43
	v_lshlrev_b32_e32 v54, 24, v22
	s_delay_alu instid0(VALU_DEP_1) | instskip(NEXT) | instid1(VALU_DEP_1)
	v_and_b32_e32 v54, 0x80000000, v54
	v_lshl_add_u32 v3, v3, 23, v54
	s_delay_alu instid0(VALU_DEP_1) | instskip(NEXT) | instid1(VALU_DEP_1)
	v_lshl_or_b32 v3, v23, 21, v3
                                        ; implicit-def: $vgpr23
	v_add_nc_u32_e32 v3, 0x38000000, v3
.LBB4_776:                              ;   in Loop: Header=BB4_129 Depth=2
	s_and_not1_saveexec_b32 s42, s42
; %bb.777:                              ;   in Loop: Header=BB4_129 Depth=2
	v_bfe_i32 v3, v22, 0, 8
	s_delay_alu instid0(VALU_DEP_1) | instskip(SKIP_2) | instid1(VALU_DEP_2)
	v_cmp_lt_i16_e32 vcc_lo, -1, v3
	v_cndmask_b32_e32 v3, 0xff800000, v126, vcc_lo
	v_cmp_eq_u32_e32 vcc_lo, 0, v23
	v_cndmask_b32_e32 v3, 0x7f800001, v3, vcc_lo
; %bb.778:                              ;   in Loop: Header=BB4_129 Depth=2
	s_or_b32 exec_lo, exec_lo, s42
.LBB4_779:                              ;   in Loop: Header=BB4_129 Depth=2
	s_delay_alu instid0(SALU_CYCLE_1)
	s_or_b32 exec_lo, exec_lo, s15
.LBB4_780:                              ;   in Loop: Header=BB4_129 Depth=2
	s_delay_alu instid0(SALU_CYCLE_1) | instskip(SKIP_2) | instid1(VALU_DEP_1)
	s_or_b32 exec_lo, exec_lo, s14
	v_and_b32_e32 v23, 0xff, v18
	s_mov_b32 s14, exec_lo
	v_cmpx_ne_u16_e32 0, v23
	s_cbranch_execz .LBB4_790
; %bb.781:                              ;   in Loop: Header=BB4_129 Depth=2
	v_bfrev_b32_e32 v19, 1
	s_mov_b32 s15, exec_lo
	v_cmpx_ne_u16_e32 0x80, v23
	s_cbranch_execz .LBB4_789
; %bb.782:                              ;   in Loop: Header=BB4_129 Depth=2
	v_and_b32_e32 v19, 0x7c0000, v20
	v_bfe_u32 v23, v20, 16, 2
	s_delay_alu instid0(VALU_DEP_2) | instskip(SKIP_1) | instid1(SALU_CYCLE_1)
	v_cmp_ne_u32_e32 vcc_lo, 0x7c0000, v19
                                        ; implicit-def: $vgpr19
	s_and_saveexec_b32 s42, vcc_lo
	s_xor_b32 s42, exec_lo, s42
	s_cbranch_execz .LBB4_786
; %bb.783:                              ;   in Loop: Header=BB4_129 Depth=2
	v_bfe_u32 v19, v20, 18, 5
	s_mov_b32 s43, exec_lo
	s_delay_alu instid0(VALU_DEP_1)
	v_cmpx_eq_u32_e32 0, v19
; %bb.784:                              ;   in Loop: Header=BB4_129 Depth=2
	v_clz_i32_u32_e32 v19, v23
	s_delay_alu instid0(VALU_DEP_1) | instskip(NEXT) | instid1(VALU_DEP_1)
	v_min_u32_e32 v19, 32, v19
	v_subrev_nc_u32_e32 v23, 29, v19
	s_delay_alu instid0(VALU_DEP_1) | instskip(NEXT) | instid1(VALU_DEP_1)
	v_lshlrev_b64_e32 v[116:117], v23, v[18:19]
	v_dual_sub_nc_u32 v19, 30, v19 :: v_dual_bitop2_b32 v23, 3, v116 bitop3:0x40
; %bb.785:                              ;   in Loop: Header=BB4_129 Depth=2
	s_or_b32 exec_lo, exec_lo, s43
	v_lshlrev_b32_e32 v54, 24, v18
	s_delay_alu instid0(VALU_DEP_1) | instskip(NEXT) | instid1(VALU_DEP_1)
	v_and_b32_e32 v54, 0x80000000, v54
	v_lshl_add_u32 v19, v19, 23, v54
	s_delay_alu instid0(VALU_DEP_1) | instskip(NEXT) | instid1(VALU_DEP_1)
	v_lshl_or_b32 v19, v23, 21, v19
                                        ; implicit-def: $vgpr23
	v_add_nc_u32_e32 v19, 0x38000000, v19
.LBB4_786:                              ;   in Loop: Header=BB4_129 Depth=2
	s_and_not1_saveexec_b32 s42, s42
; %bb.787:                              ;   in Loop: Header=BB4_129 Depth=2
	v_bfe_i32 v19, v18, 0, 8
	s_delay_alu instid0(VALU_DEP_1) | instskip(SKIP_2) | instid1(VALU_DEP_2)
	v_cmp_lt_i16_e32 vcc_lo, -1, v19
	v_cndmask_b32_e32 v19, 0xff800000, v126, vcc_lo
	v_cmp_eq_u32_e32 vcc_lo, 0, v23
	v_cndmask_b32_e32 v19, 0x7f800001, v19, vcc_lo
; %bb.788:                              ;   in Loop: Header=BB4_129 Depth=2
	s_or_b32 exec_lo, exec_lo, s42
.LBB4_789:                              ;   in Loop: Header=BB4_129 Depth=2
	s_delay_alu instid0(SALU_CYCLE_1)
	s_or_b32 exec_lo, exec_lo, s15
.LBB4_790:                              ;   in Loop: Header=BB4_129 Depth=2
	s_delay_alu instid0(SALU_CYCLE_1) | instskip(NEXT) | instid1(VALU_DEP_1)
	s_or_b32 exec_lo, exec_lo, s14
	v_max_num_f32_e32 v19, v19, v19
	v_max_num_f32_e32 v3, v3, v3
	s_mov_b32 s14, 0
	s_delay_alu instid0(VALU_DEP_1)
	v_max_num_f32_e32 v3, v3, v19
.LBB4_791:                              ;   in Loop: Header=BB4_129 Depth=2
	s_and_b32 vcc_lo, exec_lo, s14
	s_cbranch_vccz .LBB4_813
; %bb.792:                              ;   in Loop: Header=BB4_129 Depth=2
	v_dual_mov_b32 v19, 0 :: v_dual_mov_b32 v3, 0
	s_and_saveexec_b32 s14, s10
	s_cbranch_execz .LBB4_802
; %bb.793:                              ;   in Loop: Header=BB4_129 Depth=2
	v_bfrev_b32_e32 v3, 1
	s_mov_b32 s10, exec_lo
	v_cmpx_ne_u16_e32 0x80, v0
	s_cbranch_execz .LBB4_801
; %bb.794:                              ;   in Loop: Header=BB4_129 Depth=2
	v_and_b32_e32 v3, 0x7c0000, v24
	v_bfe_u32 v0, v24, 16, 2
	s_delay_alu instid0(VALU_DEP_2) | instskip(SKIP_1) | instid1(SALU_CYCLE_1)
	v_cmp_ne_u32_e32 vcc_lo, 0x7c0000, v3
                                        ; implicit-def: $vgpr3
	s_and_saveexec_b32 s15, vcc_lo
	s_xor_b32 s15, exec_lo, s15
	s_cbranch_execz .LBB4_798
; %bb.795:                              ;   in Loop: Header=BB4_129 Depth=2
	v_bfe_u32 v3, v24, 18, 5
	s_mov_b32 s42, exec_lo
	s_delay_alu instid0(VALU_DEP_1)
	v_cmpx_eq_u32_e32 0, v3
; %bb.796:                              ;   in Loop: Header=BB4_129 Depth=2
	v_clz_i32_u32_e32 v0, v0
	s_delay_alu instid0(VALU_DEP_1) | instskip(NEXT) | instid1(VALU_DEP_1)
	v_min_u32_e32 v0, 32, v0
	v_subrev_nc_u32_e32 v3, 29, v0
	s_delay_alu instid0(VALU_DEP_1) | instskip(SKIP_1) | instid1(VALU_DEP_2)
	v_lshlrev_b64_e32 v[116:117], v3, v[22:23]
	v_sub_nc_u32_e32 v3, 30, v0
	v_and_b32_e32 v0, 3, v116
; %bb.797:                              ;   in Loop: Header=BB4_129 Depth=2
	s_or_b32 exec_lo, exec_lo, s42
	v_lshlrev_b32_e32 v22, 24, v22
	s_delay_alu instid0(VALU_DEP_1) | instskip(NEXT) | instid1(VALU_DEP_1)
	v_and_b32_e32 v22, 0x80000000, v22
	v_lshl_add_u32 v3, v3, 23, v22
                                        ; implicit-def: $vgpr22
	s_delay_alu instid0(VALU_DEP_1) | instskip(NEXT) | instid1(VALU_DEP_1)
	v_lshl_or_b32 v0, v0, 21, v3
	v_add_nc_u32_e32 v3, 0x38000000, v0
                                        ; implicit-def: $vgpr0
.LBB4_798:                              ;   in Loop: Header=BB4_129 Depth=2
	s_and_not1_saveexec_b32 s15, s15
; %bb.799:                              ;   in Loop: Header=BB4_129 Depth=2
	v_bfe_i32 v3, v22, 0, 8
	s_delay_alu instid0(VALU_DEP_1) | instskip(SKIP_2) | instid1(VALU_DEP_2)
	v_cmp_lt_i16_e32 vcc_lo, -1, v3
	v_cndmask_b32_e32 v3, 0xff800000, v126, vcc_lo
	v_cmp_eq_u32_e32 vcc_lo, 0, v0
	v_cndmask_b32_e32 v3, 0x7f800001, v3, vcc_lo
; %bb.800:                              ;   in Loop: Header=BB4_129 Depth=2
	s_or_b32 exec_lo, exec_lo, s15
.LBB4_801:                              ;   in Loop: Header=BB4_129 Depth=2
	s_delay_alu instid0(SALU_CYCLE_1)
	s_or_b32 exec_lo, exec_lo, s10
.LBB4_802:                              ;   in Loop: Header=BB4_129 Depth=2
	s_delay_alu instid0(SALU_CYCLE_1) | instskip(SKIP_2) | instid1(VALU_DEP_1)
	s_or_b32 exec_lo, exec_lo, s14
	v_and_b32_e32 v0, 0xff, v18
	s_mov_b32 s10, exec_lo
	v_cmpx_ne_u16_e32 0, v0
	s_cbranch_execz .LBB4_812
; %bb.803:                              ;   in Loop: Header=BB4_129 Depth=2
	v_bfrev_b32_e32 v19, 1
	s_mov_b32 s14, exec_lo
	v_cmpx_ne_u16_e32 0x80, v0
	s_cbranch_execz .LBB4_811
; %bb.804:                              ;   in Loop: Header=BB4_129 Depth=2
	v_and_b32_e32 v19, 0x7c0000, v20
	v_bfe_u32 v0, v20, 16, 2
	s_delay_alu instid0(VALU_DEP_2) | instskip(SKIP_1) | instid1(SALU_CYCLE_1)
	v_cmp_ne_u32_e32 vcc_lo, 0x7c0000, v19
                                        ; implicit-def: $vgpr19
	s_and_saveexec_b32 s15, vcc_lo
	s_xor_b32 s15, exec_lo, s15
	s_cbranch_execz .LBB4_808
; %bb.805:                              ;   in Loop: Header=BB4_129 Depth=2
	v_bfe_u32 v19, v20, 18, 5
	s_mov_b32 s42, exec_lo
	s_delay_alu instid0(VALU_DEP_1)
	v_cmpx_eq_u32_e32 0, v19
; %bb.806:                              ;   in Loop: Header=BB4_129 Depth=2
	v_clz_i32_u32_e32 v0, v0
	s_delay_alu instid0(VALU_DEP_1) | instskip(NEXT) | instid1(VALU_DEP_1)
	v_min_u32_e32 v0, 32, v0
	v_subrev_nc_u32_e32 v19, 29, v0
	s_delay_alu instid0(VALU_DEP_1) | instskip(NEXT) | instid1(VALU_DEP_1)
	v_lshlrev_b64_e32 v[22:23], v19, v[18:19]
	v_dual_sub_nc_u32 v19, 30, v0 :: v_dual_bitop2_b32 v0, 3, v22 bitop3:0x40
; %bb.807:                              ;   in Loop: Header=BB4_129 Depth=2
	s_or_b32 exec_lo, exec_lo, s42
	v_lshlrev_b32_e32 v18, 24, v18
	s_delay_alu instid0(VALU_DEP_1) | instskip(NEXT) | instid1(VALU_DEP_1)
	v_and_b32_e32 v18, 0x80000000, v18
	v_lshl_add_u32 v18, v19, 23, v18
	s_delay_alu instid0(VALU_DEP_1) | instskip(NEXT) | instid1(VALU_DEP_1)
	v_lshl_or_b32 v0, v0, 21, v18
                                        ; implicit-def: $vgpr18
	v_add_nc_u32_e32 v19, 0x38000000, v0
                                        ; implicit-def: $vgpr0
.LBB4_808:                              ;   in Loop: Header=BB4_129 Depth=2
	s_and_not1_saveexec_b32 s15, s15
; %bb.809:                              ;   in Loop: Header=BB4_129 Depth=2
	v_bfe_i32 v18, v18, 0, 8
	s_delay_alu instid0(VALU_DEP_1) | instskip(SKIP_2) | instid1(VALU_DEP_2)
	v_cmp_lt_i16_e32 vcc_lo, -1, v18
	v_cndmask_b32_e32 v18, 0xff800000, v126, vcc_lo
	v_cmp_eq_u32_e32 vcc_lo, 0, v0
	v_cndmask_b32_e32 v19, 0x7f800001, v18, vcc_lo
; %bb.810:                              ;   in Loop: Header=BB4_129 Depth=2
	s_or_b32 exec_lo, exec_lo, s15
.LBB4_811:                              ;   in Loop: Header=BB4_129 Depth=2
	s_delay_alu instid0(SALU_CYCLE_1)
	s_or_b32 exec_lo, exec_lo, s14
.LBB4_812:                              ;   in Loop: Header=BB4_129 Depth=2
	s_delay_alu instid0(SALU_CYCLE_1) | instskip(NEXT) | instid1(VALU_DEP_1)
	s_or_b32 exec_lo, exec_lo, s10
	v_max_num_f32_e32 v0, v19, v19
	v_max_num_f32_e32 v3, v3, v3
	s_delay_alu instid0(VALU_DEP_1)
	v_min_num_f32_e32 v3, v3, v0
.LBB4_813:                              ;   in Loop: Header=BB4_129 Depth=2
	s_delay_alu instid0(VALU_DEP_1) | instskip(SKIP_3) | instid1(VALU_DEP_2)
	v_and_b32_e32 v18, 0x7f800000, v3
	v_dual_mov_b32 v19, v55 :: v_dual_lshrrev_b32 v0, 24, v3
	v_and_b32_e32 v54, 0x7fffff, v3
                                        ; implicit-def: $vgpr47
	s_mov_b32 s10, exec_lo
	v_cmpx_ne_u64_e32 0x7f800000, v[18:19]
	s_xor_b32 s14, exec_lo, s10
	s_cbranch_execz .LBB4_827
; %bb.814:                              ;   in Loop: Header=BB4_129 Depth=2
	v_and_b32_e32 v18, 0x7fffffff, v3
	v_mov_b32_e32 v19, v55
	v_and_b32_e32 v0, 0x80, v0
                                        ; implicit-def: $vgpr47
	s_mov_b32 s10, exec_lo
	s_delay_alu instid0(VALU_DEP_2)
	v_cmpx_gt_u64_e32 0x47600001, v[18:19]
	s_xor_b32 s15, exec_lo, s10
	s_cbranch_execz .LBB4_824
; %bb.815:                              ;   in Loop: Header=BB4_129 Depth=2
	v_mov_b32_e32 v47, 0
	s_mov_b32 s42, exec_lo
	v_cmpx_ne_u32_e32 0, v3
	s_cbranch_execz .LBB4_823
; %bb.816:                              ;   in Loop: Header=BB4_129 Depth=2
	v_bfe_u32 v3, v3, 23, 8
	v_or_b32_e32 v22, 0x800000, v54
	s_delay_alu instid0(VALU_DEP_2) | instskip(SKIP_1) | instid1(VALU_DEP_2)
	v_sub_nc_u32_e32 v18, 0x71, v3
	v_cmp_gt_u32_e32 vcc_lo, 0x72, v3
	v_cndmask_b32_e32 v18, 0, v18, vcc_lo
	v_cmp_eq_u32_e32 vcc_lo, 0, v3
	s_delay_alu instid0(VALU_DEP_2) | instskip(NEXT) | instid1(VALU_DEP_1)
	v_cndmask_b32_e64 v87, v18, 0x70, vcc_lo
	v_dual_cndmask_b32 v54, v22, v54, vcc_lo :: v_dual_add_nc_u32 v18, 21, v87
	v_add_nc_u32_e32 v23, 20, v87
	s_delay_alu instid0(VALU_DEP_2) | instskip(NEXT) | instid1(VALU_DEP_2)
	v_lshlrev_b64_e64 v[18:19], v18, -1
	v_lshlrev_b64_e64 v[22:23], v23, 1
	s_delay_alu instid0(VALU_DEP_2) | instskip(NEXT) | instid1(VALU_DEP_3)
	v_bfi_b32 v117, v19, 0, 0
	v_bfi_b32 v116, v18, 0, v54
	v_lshrrev_b64 v[18:19], v87, v[54:55]
	s_delay_alu instid0(VALU_DEP_2) | instskip(NEXT) | instid1(VALU_DEP_2)
	v_cmp_eq_u64_e64 s10, v[116:117], v[22:23]
	v_mov_b64_e32 v[22:23], v[18:19]
	s_and_saveexec_b32 s43, s10
; %bb.817:                              ;   in Loop: Header=BB4_129 Depth=2
	v_bfe_u32 v54, v18, 21, 1
	s_delay_alu instid0(VALU_DEP_1) | instskip(NEXT) | instid1(VALU_DEP_1)
	v_add_nc_u64_e32 v[22:23], v[18:19], v[54:55]
	v_add_nc_u64_e32 v[22:23], -1, v[22:23]
; %bb.818:                              ;   in Loop: Header=BB4_129 Depth=2
	s_or_b32 exec_lo, exec_lo, s43
	v_add_nc_u32_e32 v3, 0xffffff81, v3
	v_lshrrev_b32_e32 v19, 23, v18
	s_mov_b32 s10, exec_lo
	s_delay_alu instid0(VALU_DEP_2) | instskip(NEXT) | instid1(VALU_DEP_1)
	v_cndmask_b32_e64 v3, v3, 0xffffff82, vcc_lo
	v_add3_u32 v23, v87, v3, v19
	v_and_b32_e32 v3, 0x1fffff, v22
	s_delay_alu instid0(VALU_DEP_1) | instskip(NEXT) | instid1(VALU_DEP_1)
	v_dual_add_nc_u32 v22, 14, v23 :: v_dual_add_nc_u32 v54, v3, v18
                                        ; implicit-def: $vgpr18_vgpr19
                                        ; implicit-def: $vgpr3
	v_cmpx_ne_u32_e32 0, v22
	s_xor_b32 s10, exec_lo, s10
; %bb.819:                              ;   in Loop: Header=BB4_129 Depth=2
	s_delay_alu instid0(VALU_DEP_2) | instskip(SKIP_2) | instid1(VALU_DEP_2)
	v_cmp_lt_u64_e32 vcc_lo, 0xffffff, v[54:55]
	v_add_nc_u32_e32 v3, 15, v23
	v_cndmask_b32_e64 v18, 0, 1, vcc_lo
	v_cndmask_b32_e32 v3, v22, v3, vcc_lo
	s_delay_alu instid0(VALU_DEP_2)
	v_lshrrev_b64 v[18:19], v18, v[54:55]
; %bb.820:                              ;   in Loop: Header=BB4_129 Depth=2
	s_and_not1_saveexec_b32 s10, s10
; %bb.821:                              ;   in Loop: Header=BB4_129 Depth=2
	v_mov_b64_e32 v[18:19], v[54:55]
	v_bfe_u32 v3, v54, 23, 1
; %bb.822:                              ;   in Loop: Header=BB4_129 Depth=2
	s_or_b32 exec_lo, exec_lo, s10
	s_delay_alu instid0(VALU_DEP_2) | instskip(NEXT) | instid1(VALU_DEP_2)
	v_lshrrev_b64 v[18:19], 21, v[18:19]
	v_cmp_gt_i32_e32 vcc_lo, 32, v3
	v_min_i32_e32 v22, 31, v3
	v_cmp_eq_u32_e64 s10, 0, v3
	s_delay_alu instid0(VALU_DEP_4) | instskip(NEXT) | instid1(VALU_DEP_3)
	v_cndmask_b32_e32 v18, 3, v18, vcc_lo
	v_dual_cndmask_b32 v19, 0, v19 :: v_dual_lshlrev_b32 v22, 2, v22
	s_delay_alu instid0(VALU_DEP_1) | instskip(NEXT) | instid1(VALU_DEP_2)
	v_and_b32_e32 v22, 0xfc, v22
	v_cmp_eq_u64_e32 vcc_lo, 0, v[18:19]
	s_delay_alu instid0(VALU_DEP_2)
	v_and_or_b32 v3, v18, 3, v22
	s_and_b32 s10, s10, vcc_lo
	s_delay_alu instid0(VALU_DEP_1) | instid1(SALU_CYCLE_1)
	v_cndmask_b32_e64 v3, v3, 0, s10
	s_delay_alu instid0(VALU_DEP_1)
	v_or_b32_e32 v47, v3, v0
.LBB4_823:                              ;   in Loop: Header=BB4_129 Depth=2
	s_or_b32 exec_lo, exec_lo, s42
                                        ; implicit-def: $vgpr0
.LBB4_824:                              ;   in Loop: Header=BB4_129 Depth=2
	s_and_not1_saveexec_b32 s10, s15
; %bb.825:                              ;   in Loop: Header=BB4_129 Depth=2
	v_or_b32_e32 v47, 0x7b, v0
; %bb.826:                              ;   in Loop: Header=BB4_129 Depth=2
	s_or_b32 exec_lo, exec_lo, s10
                                        ; implicit-def: $vgpr3
                                        ; implicit-def: $vgpr0
.LBB4_827:                              ;   in Loop: Header=BB4_129 Depth=2
	s_and_not1_saveexec_b32 s10, s14
	s_cbranch_execz .LBB4_833
; %bb.828:                              ;   in Loop: Header=BB4_129 Depth=2
	s_mov_b32 s14, exec_lo
                                        ; implicit-def: $vgpr47
	v_cmpx_ne_u64_e32 0, v[54:55]
	s_xor_b32 s14, exec_lo, s14
; %bb.829:                              ;   in Loop: Header=BB4_129 Depth=2
	v_or_b32_e32 v47, 0x7f, v0
                                        ; implicit-def: $vgpr3
; %bb.830:                              ;   in Loop: Header=BB4_129 Depth=2
	s_and_not1_saveexec_b32 s14, s14
; %bb.831:                              ;   in Loop: Header=BB4_129 Depth=2
	v_cmp_lt_i32_e32 vcc_lo, -1, v3
	v_cndmask_b32_e32 v47, 0xfc, v122, vcc_lo
; %bb.832:                              ;   in Loop: Header=BB4_129 Depth=2
	s_or_b32 exec_lo, exec_lo, s14
.LBB4_833:                              ;   in Loop: Header=BB4_129 Depth=2
	s_delay_alu instid0(SALU_CYCLE_1)
	s_or_b32 exec_lo, exec_lo, s10
	v_lshrrev_b32_e32 v22, 24, v24
	v_lshrrev_b32_e32 v18, 24, v20
	v_cmp_lt_u32_e64 s10, 0xffffff, v24
	s_and_b32 vcc_lo, exec_lo, s13
	s_mov_b32 s14, -1
                                        ; implicit-def: $vgpr3
	s_cbranch_vccz .LBB4_855
; %bb.834:                              ;   in Loop: Header=BB4_129 Depth=2
	v_dual_mov_b32 v3, 0 :: v_dual_mov_b32 v0, 0
	s_and_saveexec_b32 s14, s10
	s_cbranch_execz .LBB4_844
; %bb.835:                              ;   in Loop: Header=BB4_129 Depth=2
	v_bfrev_b32_e32 v0, 1
	s_mov_b32 s15, exec_lo
	v_cmpx_ne_u32_e32 0x80, v22
	s_cbranch_execz .LBB4_843
; %bb.836:                              ;   in Loop: Header=BB4_129 Depth=2
	v_and_b32_e32 v0, 0x7c000000, v24
	v_bfe_u32 v19, v24, 24, 2
	s_delay_alu instid0(VALU_DEP_2) | instskip(SKIP_1) | instid1(SALU_CYCLE_1)
	v_cmp_ne_u32_e32 vcc_lo, 0x7c000000, v0
                                        ; implicit-def: $vgpr0
	s_and_saveexec_b32 s42, vcc_lo
	s_xor_b32 s42, exec_lo, s42
	s_cbranch_execz .LBB4_840
; %bb.837:                              ;   in Loop: Header=BB4_129 Depth=2
	v_bfe_u32 v0, v24, 26, 5
	s_mov_b32 s43, exec_lo
	s_delay_alu instid0(VALU_DEP_1)
	v_cmpx_eq_u32_e32 0, v0
; %bb.838:                              ;   in Loop: Header=BB4_129 Depth=2
	v_clz_i32_u32_e32 v0, v19
	s_delay_alu instid0(VALU_DEP_1) | instskip(NEXT) | instid1(VALU_DEP_1)
	v_min_u32_e32 v0, 32, v0
	v_subrev_nc_u32_e32 v19, 29, v0
	v_sub_nc_u32_e32 v0, 30, v0
	s_delay_alu instid0(VALU_DEP_2) | instskip(NEXT) | instid1(VALU_DEP_1)
	v_lshlrev_b64_e32 v[116:117], v19, v[22:23]
	v_and_b32_e32 v19, 3, v116
; %bb.839:                              ;   in Loop: Header=BB4_129 Depth=2
	s_or_b32 exec_lo, exec_lo, s43
	v_and_b32_e32 v23, 0x80000000, v24
	s_delay_alu instid0(VALU_DEP_1) | instskip(NEXT) | instid1(VALU_DEP_1)
	v_lshl_add_u32 v0, v0, 23, v23
	v_lshl_or_b32 v0, v19, 21, v0
                                        ; implicit-def: $vgpr19
	s_delay_alu instid0(VALU_DEP_1)
	v_add_nc_u32_e32 v0, 0x38000000, v0
.LBB4_840:                              ;   in Loop: Header=BB4_129 Depth=2
	s_and_not1_saveexec_b32 s42, s42
; %bb.841:                              ;   in Loop: Header=BB4_129 Depth=2
	v_cmp_lt_i32_e32 vcc_lo, -1, v24
	v_cndmask_b32_e32 v0, 0xff800000, v126, vcc_lo
	v_cmp_eq_u32_e32 vcc_lo, 0, v19
	s_delay_alu instid0(VALU_DEP_2)
	v_cndmask_b32_e32 v0, 0x7f800001, v0, vcc_lo
; %bb.842:                              ;   in Loop: Header=BB4_129 Depth=2
	s_or_b32 exec_lo, exec_lo, s42
.LBB4_843:                              ;   in Loop: Header=BB4_129 Depth=2
	s_delay_alu instid0(SALU_CYCLE_1)
	s_or_b32 exec_lo, exec_lo, s15
.LBB4_844:                              ;   in Loop: Header=BB4_129 Depth=2
	s_delay_alu instid0(SALU_CYCLE_1) | instskip(NEXT) | instid1(SALU_CYCLE_1)
	s_or_b32 exec_lo, exec_lo, s14
	s_mov_b32 s14, exec_lo
	v_cmpx_lt_u32_e32 0xffffff, v20
	s_cbranch_execz .LBB4_854
; %bb.845:                              ;   in Loop: Header=BB4_129 Depth=2
	v_bfrev_b32_e32 v3, 1
	s_mov_b32 s15, exec_lo
	v_cmpx_ne_u32_e32 0x80, v18
	s_cbranch_execz .LBB4_853
; %bb.846:                              ;   in Loop: Header=BB4_129 Depth=2
	v_and_b32_e32 v3, 0x7c000000, v20
	v_bfe_u32 v19, v20, 24, 2
	s_delay_alu instid0(VALU_DEP_2) | instskip(SKIP_1) | instid1(SALU_CYCLE_1)
	v_cmp_ne_u32_e32 vcc_lo, 0x7c000000, v3
                                        ; implicit-def: $vgpr3
	s_and_saveexec_b32 s42, vcc_lo
	s_xor_b32 s42, exec_lo, s42
	s_cbranch_execz .LBB4_850
; %bb.847:                              ;   in Loop: Header=BB4_129 Depth=2
	v_bfe_u32 v3, v20, 26, 5
	s_mov_b32 s43, exec_lo
	s_delay_alu instid0(VALU_DEP_1)
	v_cmpx_eq_u32_e32 0, v3
; %bb.848:                              ;   in Loop: Header=BB4_129 Depth=2
	v_clz_i32_u32_e32 v3, v19
	s_delay_alu instid0(VALU_DEP_1) | instskip(NEXT) | instid1(VALU_DEP_1)
	v_min_u32_e32 v3, 32, v3
	v_subrev_nc_u32_e32 v19, 29, v3
	s_delay_alu instid0(VALU_DEP_1) | instskip(NEXT) | instid1(VALU_DEP_1)
	v_lshlrev_b64_e32 v[116:117], v19, v[18:19]
	v_dual_sub_nc_u32 v3, 30, v3 :: v_dual_bitop2_b32 v19, 3, v116 bitop3:0x40
; %bb.849:                              ;   in Loop: Header=BB4_129 Depth=2
	s_or_b32 exec_lo, exec_lo, s43
	v_and_b32_e32 v23, 0x80000000, v20
	s_delay_alu instid0(VALU_DEP_1) | instskip(NEXT) | instid1(VALU_DEP_1)
	v_lshl_add_u32 v3, v3, 23, v23
	v_lshl_or_b32 v3, v19, 21, v3
                                        ; implicit-def: $vgpr19
	s_delay_alu instid0(VALU_DEP_1)
	v_add_nc_u32_e32 v3, 0x38000000, v3
.LBB4_850:                              ;   in Loop: Header=BB4_129 Depth=2
	s_and_not1_saveexec_b32 s42, s42
; %bb.851:                              ;   in Loop: Header=BB4_129 Depth=2
	v_cmp_lt_i32_e32 vcc_lo, -1, v20
	v_cndmask_b32_e32 v3, 0xff800000, v126, vcc_lo
	v_cmp_eq_u32_e32 vcc_lo, 0, v19
	s_delay_alu instid0(VALU_DEP_2)
	v_cndmask_b32_e32 v3, 0x7f800001, v3, vcc_lo
; %bb.852:                              ;   in Loop: Header=BB4_129 Depth=2
	s_or_b32 exec_lo, exec_lo, s42
.LBB4_853:                              ;   in Loop: Header=BB4_129 Depth=2
	s_delay_alu instid0(SALU_CYCLE_1)
	s_or_b32 exec_lo, exec_lo, s15
.LBB4_854:                              ;   in Loop: Header=BB4_129 Depth=2
	s_delay_alu instid0(SALU_CYCLE_1) | instskip(NEXT) | instid1(VALU_DEP_1)
	s_or_b32 exec_lo, exec_lo, s14
	v_dual_max_num_f32 v3, v3, v3 :: v_dual_max_num_f32 v0, v0, v0
	s_mov_b32 s14, 0
	s_delay_alu instid0(VALU_DEP_1)
	v_max_num_f32_e32 v3, v0, v3
.LBB4_855:                              ;   in Loop: Header=BB4_129 Depth=2
	s_and_b32 vcc_lo, exec_lo, s14
	s_cbranch_vccz .LBB4_877
; %bb.856:                              ;   in Loop: Header=BB4_129 Depth=2
	v_dual_mov_b32 v3, 0 :: v_dual_mov_b32 v0, 0
	s_and_saveexec_b32 s14, s10
	s_cbranch_execz .LBB4_866
; %bb.857:                              ;   in Loop: Header=BB4_129 Depth=2
	v_bfrev_b32_e32 v0, 1
	s_mov_b32 s10, exec_lo
	v_cmpx_ne_u32_e32 0x80, v22
	s_cbranch_execz .LBB4_865
; %bb.858:                              ;   in Loop: Header=BB4_129 Depth=2
	v_and_b32_e32 v0, 0x7c000000, v24
	v_bfe_u32 v19, v24, 24, 2
	s_delay_alu instid0(VALU_DEP_2) | instskip(SKIP_1) | instid1(SALU_CYCLE_1)
	v_cmp_ne_u32_e32 vcc_lo, 0x7c000000, v0
                                        ; implicit-def: $vgpr0
	s_and_saveexec_b32 s15, vcc_lo
	s_xor_b32 s15, exec_lo, s15
	s_cbranch_execz .LBB4_862
; %bb.859:                              ;   in Loop: Header=BB4_129 Depth=2
	v_bfe_u32 v0, v24, 26, 5
	s_mov_b32 s42, exec_lo
	s_delay_alu instid0(VALU_DEP_1)
	v_cmpx_eq_u32_e32 0, v0
; %bb.860:                              ;   in Loop: Header=BB4_129 Depth=2
	v_clz_i32_u32_e32 v0, v19
	s_delay_alu instid0(VALU_DEP_1) | instskip(NEXT) | instid1(VALU_DEP_1)
	v_min_u32_e32 v0, 32, v0
	v_subrev_nc_u32_e32 v19, 29, v0
	s_delay_alu instid0(VALU_DEP_1) | instskip(NEXT) | instid1(VALU_DEP_1)
	v_lshlrev_b64_e32 v[22:23], v19, v[22:23]
	v_dual_sub_nc_u32 v0, 30, v0 :: v_dual_bitop2_b32 v19, 3, v22 bitop3:0x40
; %bb.861:                              ;   in Loop: Header=BB4_129 Depth=2
	s_or_b32 exec_lo, exec_lo, s42
	v_and_b32_e32 v22, 0x80000000, v24
	s_delay_alu instid0(VALU_DEP_1) | instskip(NEXT) | instid1(VALU_DEP_1)
	v_lshl_add_u32 v0, v0, 23, v22
	v_lshl_or_b32 v0, v19, 21, v0
                                        ; implicit-def: $vgpr19
	s_delay_alu instid0(VALU_DEP_1)
	v_add_nc_u32_e32 v0, 0x38000000, v0
.LBB4_862:                              ;   in Loop: Header=BB4_129 Depth=2
	s_and_not1_saveexec_b32 s15, s15
; %bb.863:                              ;   in Loop: Header=BB4_129 Depth=2
	v_cmp_lt_i32_e32 vcc_lo, -1, v24
	v_cndmask_b32_e32 v0, 0xff800000, v126, vcc_lo
	v_cmp_eq_u32_e32 vcc_lo, 0, v19
	s_delay_alu instid0(VALU_DEP_2)
	v_cndmask_b32_e32 v0, 0x7f800001, v0, vcc_lo
; %bb.864:                              ;   in Loop: Header=BB4_129 Depth=2
	s_or_b32 exec_lo, exec_lo, s15
.LBB4_865:                              ;   in Loop: Header=BB4_129 Depth=2
	s_delay_alu instid0(SALU_CYCLE_1)
	s_or_b32 exec_lo, exec_lo, s10
.LBB4_866:                              ;   in Loop: Header=BB4_129 Depth=2
	s_delay_alu instid0(SALU_CYCLE_1) | instskip(NEXT) | instid1(SALU_CYCLE_1)
	s_or_b32 exec_lo, exec_lo, s14
	s_mov_b32 s10, exec_lo
	v_cmpx_lt_u32_e32 0xffffff, v20
	s_cbranch_execz .LBB4_876
; %bb.867:                              ;   in Loop: Header=BB4_129 Depth=2
	v_bfrev_b32_e32 v3, 1
	s_mov_b32 s14, exec_lo
	v_cmpx_ne_u32_e32 0x80, v18
	s_cbranch_execz .LBB4_875
; %bb.868:                              ;   in Loop: Header=BB4_129 Depth=2
	v_and_b32_e32 v3, 0x7c000000, v20
	v_bfe_u32 v19, v20, 24, 2
	s_delay_alu instid0(VALU_DEP_2) | instskip(SKIP_1) | instid1(SALU_CYCLE_1)
	v_cmp_ne_u32_e32 vcc_lo, 0x7c000000, v3
                                        ; implicit-def: $vgpr3
	s_and_saveexec_b32 s15, vcc_lo
	s_xor_b32 s15, exec_lo, s15
	s_cbranch_execz .LBB4_872
; %bb.869:                              ;   in Loop: Header=BB4_129 Depth=2
	v_bfe_u32 v3, v20, 26, 5
	s_mov_b32 s42, exec_lo
	s_delay_alu instid0(VALU_DEP_1)
	v_cmpx_eq_u32_e32 0, v3
; %bb.870:                              ;   in Loop: Header=BB4_129 Depth=2
	v_clz_i32_u32_e32 v3, v19
	s_delay_alu instid0(VALU_DEP_1) | instskip(NEXT) | instid1(VALU_DEP_1)
	v_min_u32_e32 v3, 32, v3
	v_subrev_nc_u32_e32 v19, 29, v3
	s_delay_alu instid0(VALU_DEP_1) | instskip(NEXT) | instid1(VALU_DEP_1)
	v_lshlrev_b64_e32 v[18:19], v19, v[18:19]
	v_dual_sub_nc_u32 v3, 30, v3 :: v_dual_bitop2_b32 v19, 3, v18 bitop3:0x40
; %bb.871:                              ;   in Loop: Header=BB4_129 Depth=2
	s_or_b32 exec_lo, exec_lo, s42
	v_and_b32_e32 v18, 0x80000000, v20
	s_delay_alu instid0(VALU_DEP_1) | instskip(NEXT) | instid1(VALU_DEP_1)
	v_lshl_add_u32 v3, v3, 23, v18
	v_lshl_or_b32 v3, v19, 21, v3
                                        ; implicit-def: $vgpr19
	s_delay_alu instid0(VALU_DEP_1)
	v_add_nc_u32_e32 v3, 0x38000000, v3
.LBB4_872:                              ;   in Loop: Header=BB4_129 Depth=2
	s_and_not1_saveexec_b32 s15, s15
; %bb.873:                              ;   in Loop: Header=BB4_129 Depth=2
	v_cmp_lt_i32_e32 vcc_lo, -1, v20
	v_cndmask_b32_e32 v3, 0xff800000, v126, vcc_lo
	v_cmp_eq_u32_e32 vcc_lo, 0, v19
	s_delay_alu instid0(VALU_DEP_2)
	v_cndmask_b32_e32 v3, 0x7f800001, v3, vcc_lo
; %bb.874:                              ;   in Loop: Header=BB4_129 Depth=2
	s_or_b32 exec_lo, exec_lo, s15
.LBB4_875:                              ;   in Loop: Header=BB4_129 Depth=2
	s_delay_alu instid0(SALU_CYCLE_1)
	s_or_b32 exec_lo, exec_lo, s14
.LBB4_876:                              ;   in Loop: Header=BB4_129 Depth=2
	s_delay_alu instid0(SALU_CYCLE_1) | instskip(NEXT) | instid1(VALU_DEP_1)
	s_or_b32 exec_lo, exec_lo, s10
	v_dual_max_num_f32 v3, v3, v3 :: v_dual_max_num_f32 v0, v0, v0
	s_delay_alu instid0(VALU_DEP_1)
	v_min_num_f32_e32 v3, v0, v3
.LBB4_877:                              ;   in Loop: Header=BB4_129 Depth=2
	s_delay_alu instid0(VALU_DEP_1) | instskip(SKIP_3) | instid1(VALU_DEP_2)
	v_and_b32_e32 v18, 0x7f800000, v3
	v_dual_mov_b32 v19, v55 :: v_dual_lshrrev_b32 v0, 24, v3
	v_and_b32_e32 v54, 0x7fffff, v3
                                        ; implicit-def: $vgpr56
	s_mov_b32 s10, exec_lo
	v_cmpx_ne_u64_e32 0x7f800000, v[18:19]
	s_xor_b32 s14, exec_lo, s10
	s_cbranch_execz .LBB4_891
; %bb.878:                              ;   in Loop: Header=BB4_129 Depth=2
	v_and_b32_e32 v18, 0x7fffffff, v3
	v_mov_b32_e32 v19, v55
	v_and_b32_e32 v0, 0x80, v0
                                        ; implicit-def: $vgpr56
	s_mov_b32 s10, exec_lo
	s_delay_alu instid0(VALU_DEP_2)
	v_cmpx_gt_u64_e32 0x47600001, v[18:19]
	s_xor_b32 s15, exec_lo, s10
	s_cbranch_execz .LBB4_888
; %bb.879:                              ;   in Loop: Header=BB4_129 Depth=2
	v_mov_b32_e32 v56, 0
	s_mov_b32 s42, exec_lo
	v_cmpx_ne_u32_e32 0, v3
	s_cbranch_execz .LBB4_887
; %bb.880:                              ;   in Loop: Header=BB4_129 Depth=2
	v_bfe_u32 v3, v3, 23, 8
	v_or_b32_e32 v22, 0x800000, v54
	s_delay_alu instid0(VALU_DEP_2) | instskip(SKIP_1) | instid1(VALU_DEP_2)
	v_sub_nc_u32_e32 v18, 0x71, v3
	v_cmp_gt_u32_e32 vcc_lo, 0x72, v3
	v_cndmask_b32_e32 v18, 0, v18, vcc_lo
	v_cmp_eq_u32_e32 vcc_lo, 0, v3
	s_delay_alu instid0(VALU_DEP_2) | instskip(NEXT) | instid1(VALU_DEP_1)
	v_cndmask_b32_e64 v87, v18, 0x70, vcc_lo
	v_dual_cndmask_b32 v54, v22, v54, vcc_lo :: v_dual_add_nc_u32 v18, 21, v87
	v_add_nc_u32_e32 v23, 20, v87
	s_delay_alu instid0(VALU_DEP_2) | instskip(NEXT) | instid1(VALU_DEP_2)
	v_lshlrev_b64_e64 v[18:19], v18, -1
	v_lshlrev_b64_e64 v[22:23], v23, 1
	s_delay_alu instid0(VALU_DEP_2) | instskip(NEXT) | instid1(VALU_DEP_3)
	v_bfi_b32 v117, v19, 0, 0
	v_bfi_b32 v116, v18, 0, v54
	v_lshrrev_b64 v[18:19], v87, v[54:55]
	s_delay_alu instid0(VALU_DEP_2) | instskip(NEXT) | instid1(VALU_DEP_2)
	v_cmp_eq_u64_e64 s10, v[116:117], v[22:23]
	v_mov_b64_e32 v[22:23], v[18:19]
	s_and_saveexec_b32 s43, s10
; %bb.881:                              ;   in Loop: Header=BB4_129 Depth=2
	v_bfe_u32 v54, v18, 21, 1
	s_delay_alu instid0(VALU_DEP_1) | instskip(NEXT) | instid1(VALU_DEP_1)
	v_add_nc_u64_e32 v[22:23], v[18:19], v[54:55]
	v_add_nc_u64_e32 v[22:23], -1, v[22:23]
; %bb.882:                              ;   in Loop: Header=BB4_129 Depth=2
	s_or_b32 exec_lo, exec_lo, s43
	v_add_nc_u32_e32 v3, 0xffffff81, v3
	v_lshrrev_b32_e32 v19, 23, v18
	s_mov_b32 s10, exec_lo
	s_delay_alu instid0(VALU_DEP_2) | instskip(NEXT) | instid1(VALU_DEP_1)
	v_cndmask_b32_e64 v3, v3, 0xffffff82, vcc_lo
	v_add3_u32 v23, v87, v3, v19
	v_and_b32_e32 v3, 0x1fffff, v22
	s_delay_alu instid0(VALU_DEP_1) | instskip(NEXT) | instid1(VALU_DEP_1)
	v_dual_add_nc_u32 v22, 14, v23 :: v_dual_add_nc_u32 v54, v3, v18
                                        ; implicit-def: $vgpr18_vgpr19
                                        ; implicit-def: $vgpr3
	v_cmpx_ne_u32_e32 0, v22
	s_xor_b32 s10, exec_lo, s10
; %bb.883:                              ;   in Loop: Header=BB4_129 Depth=2
	s_delay_alu instid0(VALU_DEP_2) | instskip(SKIP_2) | instid1(VALU_DEP_2)
	v_cmp_lt_u64_e32 vcc_lo, 0xffffff, v[54:55]
	v_add_nc_u32_e32 v3, 15, v23
	v_cndmask_b32_e64 v18, 0, 1, vcc_lo
	v_cndmask_b32_e32 v3, v22, v3, vcc_lo
	s_delay_alu instid0(VALU_DEP_2)
	v_lshrrev_b64 v[18:19], v18, v[54:55]
; %bb.884:                              ;   in Loop: Header=BB4_129 Depth=2
	s_and_not1_saveexec_b32 s10, s10
; %bb.885:                              ;   in Loop: Header=BB4_129 Depth=2
	v_mov_b64_e32 v[18:19], v[54:55]
	v_bfe_u32 v3, v54, 23, 1
; %bb.886:                              ;   in Loop: Header=BB4_129 Depth=2
	s_or_b32 exec_lo, exec_lo, s10
	s_delay_alu instid0(VALU_DEP_2) | instskip(NEXT) | instid1(VALU_DEP_2)
	v_lshrrev_b64 v[18:19], 21, v[18:19]
	v_cmp_gt_i32_e32 vcc_lo, 32, v3
	v_min_i32_e32 v22, 31, v3
	v_cmp_eq_u32_e64 s10, 0, v3
	s_delay_alu instid0(VALU_DEP_4) | instskip(NEXT) | instid1(VALU_DEP_3)
	v_cndmask_b32_e32 v18, 3, v18, vcc_lo
	v_dual_cndmask_b32 v19, 0, v19 :: v_dual_lshlrev_b32 v22, 2, v22
	s_delay_alu instid0(VALU_DEP_1) | instskip(NEXT) | instid1(VALU_DEP_2)
	v_and_b32_e32 v22, 0xfc, v22
	v_cmp_eq_u64_e32 vcc_lo, 0, v[18:19]
	s_delay_alu instid0(VALU_DEP_2)
	v_and_or_b32 v3, v18, 3, v22
	s_and_b32 s10, s10, vcc_lo
	s_delay_alu instid0(VALU_DEP_1) | instid1(SALU_CYCLE_1)
	v_cndmask_b32_e64 v3, v3, 0, s10
	s_delay_alu instid0(VALU_DEP_1)
	v_or_b32_e32 v56, v3, v0
.LBB4_887:                              ;   in Loop: Header=BB4_129 Depth=2
	s_or_b32 exec_lo, exec_lo, s42
                                        ; implicit-def: $vgpr0
.LBB4_888:                              ;   in Loop: Header=BB4_129 Depth=2
	s_and_not1_saveexec_b32 s10, s15
; %bb.889:                              ;   in Loop: Header=BB4_129 Depth=2
	v_or_b32_e32 v56, 0x7b, v0
; %bb.890:                              ;   in Loop: Header=BB4_129 Depth=2
	s_or_b32 exec_lo, exec_lo, s10
                                        ; implicit-def: $vgpr3
                                        ; implicit-def: $vgpr0
.LBB4_891:                              ;   in Loop: Header=BB4_129 Depth=2
	s_and_not1_saveexec_b32 s10, s14
	s_cbranch_execz .LBB4_897
; %bb.892:                              ;   in Loop: Header=BB4_129 Depth=2
	s_mov_b32 s14, exec_lo
                                        ; implicit-def: $vgpr56
	v_cmpx_ne_u64_e32 0, v[54:55]
	s_xor_b32 s14, exec_lo, s14
; %bb.893:                              ;   in Loop: Header=BB4_129 Depth=2
	v_or_b32_e32 v56, 0x7f, v0
                                        ; implicit-def: $vgpr3
; %bb.894:                              ;   in Loop: Header=BB4_129 Depth=2
	s_and_not1_saveexec_b32 s14, s14
; %bb.895:                              ;   in Loop: Header=BB4_129 Depth=2
	v_cmp_lt_i32_e32 vcc_lo, -1, v3
	v_cndmask_b32_e32 v56, 0xfc, v122, vcc_lo
; %bb.896:                              ;   in Loop: Header=BB4_129 Depth=2
	s_or_b32 exec_lo, exec_lo, s14
.LBB4_897:                              ;   in Loop: Header=BB4_129 Depth=2
	s_delay_alu instid0(SALU_CYCLE_1) | instskip(SKIP_4) | instid1(VALU_DEP_3)
	s_or_b32 exec_lo, exec_lo, s10
	v_and_b32_e32 v0, 0xff, v25
	v_dual_mov_b32 v54, v25 :: v_dual_mov_b32 v18, v21
	v_mov_b32_e32 v19, v55
	s_and_b32 vcc_lo, exec_lo, s13
	v_cmp_ne_u16_e64 s10, 0, v0
	s_mov_b32 s14, -1
                                        ; implicit-def: $vgpr3
	s_cbranch_vccz .LBB4_919
; %bb.898:                              ;   in Loop: Header=BB4_129 Depth=2
	v_dual_mov_b32 v22, 0 :: v_dual_mov_b32 v3, 0
	s_and_saveexec_b32 s14, s10
	s_cbranch_execz .LBB4_908
; %bb.899:                              ;   in Loop: Header=BB4_129 Depth=2
	v_bfrev_b32_e32 v3, 1
	s_mov_b32 s15, exec_lo
	v_cmpx_ne_u16_e32 0x80, v0
	s_cbranch_execz .LBB4_907
; %bb.900:                              ;   in Loop: Header=BB4_129 Depth=2
	v_and_b32_e32 v3, 0x7c, v25
	v_and_b32_e32 v23, 3, v25
	s_delay_alu instid0(VALU_DEP_2) | instskip(SKIP_1) | instid1(SALU_CYCLE_1)
	v_cmp_ne_u32_e32 vcc_lo, 0x7c, v3
                                        ; implicit-def: $vgpr3
	s_and_saveexec_b32 s42, vcc_lo
	s_xor_b32 s42, exec_lo, s42
	s_cbranch_execz .LBB4_904
; %bb.901:                              ;   in Loop: Header=BB4_129 Depth=2
	v_bfe_u32 v3, v25, 2, 5
	s_mov_b32 s43, exec_lo
	s_delay_alu instid0(VALU_DEP_1)
	v_cmpx_eq_u32_e32 0, v3
; %bb.902:                              ;   in Loop: Header=BB4_129 Depth=2
	v_clz_i32_u32_e32 v3, v23
	s_delay_alu instid0(VALU_DEP_1) | instskip(NEXT) | instid1(VALU_DEP_1)
	v_min_u32_e32 v3, 32, v3
	v_subrev_nc_u32_e32 v23, 29, v3
	s_delay_alu instid0(VALU_DEP_1) | instskip(NEXT) | instid1(VALU_DEP_1)
	v_lshlrev_b64_e32 v[116:117], v23, v[54:55]
	v_dual_sub_nc_u32 v3, 30, v3 :: v_dual_bitop2_b32 v23, 3, v116 bitop3:0x40
; %bb.903:                              ;   in Loop: Header=BB4_129 Depth=2
	s_or_b32 exec_lo, exec_lo, s43
	v_lshlrev_b32_e32 v82, 24, v25
	s_delay_alu instid0(VALU_DEP_1) | instskip(NEXT) | instid1(VALU_DEP_1)
	v_and_b32_e32 v82, 0x80000000, v82
	v_lshl_add_u32 v3, v3, 23, v82
	s_delay_alu instid0(VALU_DEP_1) | instskip(NEXT) | instid1(VALU_DEP_1)
	v_lshl_or_b32 v3, v23, 21, v3
                                        ; implicit-def: $vgpr23
	v_add_nc_u32_e32 v3, 0x38000000, v3
.LBB4_904:                              ;   in Loop: Header=BB4_129 Depth=2
	s_and_not1_saveexec_b32 s42, s42
; %bb.905:                              ;   in Loop: Header=BB4_129 Depth=2
	v_bfe_i32 v3, v25, 0, 8
	s_delay_alu instid0(VALU_DEP_1) | instskip(SKIP_2) | instid1(VALU_DEP_2)
	v_cmp_lt_i16_e32 vcc_lo, -1, v3
	v_cndmask_b32_e32 v3, 0xff800000, v126, vcc_lo
	v_cmp_eq_u32_e32 vcc_lo, 0, v23
	v_cndmask_b32_e32 v3, 0x7f800001, v3, vcc_lo
; %bb.906:                              ;   in Loop: Header=BB4_129 Depth=2
	s_or_b32 exec_lo, exec_lo, s42
.LBB4_907:                              ;   in Loop: Header=BB4_129 Depth=2
	s_delay_alu instid0(SALU_CYCLE_1)
	s_or_b32 exec_lo, exec_lo, s15
.LBB4_908:                              ;   in Loop: Header=BB4_129 Depth=2
	s_delay_alu instid0(SALU_CYCLE_1) | instskip(SKIP_2) | instid1(VALU_DEP_1)
	s_or_b32 exec_lo, exec_lo, s14
	v_and_b32_e32 v23, 0xff, v21
	s_mov_b32 s14, exec_lo
	v_cmpx_ne_u16_e32 0, v23
	s_cbranch_execz .LBB4_918
; %bb.909:                              ;   in Loop: Header=BB4_129 Depth=2
	v_bfrev_b32_e32 v22, 1
	s_mov_b32 s15, exec_lo
	v_cmpx_ne_u16_e32 0x80, v23
	s_cbranch_execz .LBB4_917
; %bb.910:                              ;   in Loop: Header=BB4_129 Depth=2
	v_and_b32_e32 v22, 0x7c, v21
	v_and_b32_e32 v23, 3, v21
	s_delay_alu instid0(VALU_DEP_2) | instskip(SKIP_1) | instid1(SALU_CYCLE_1)
	v_cmp_ne_u32_e32 vcc_lo, 0x7c, v22
                                        ; implicit-def: $vgpr22
	s_and_saveexec_b32 s42, vcc_lo
	s_xor_b32 s42, exec_lo, s42
	s_cbranch_execz .LBB4_914
; %bb.911:                              ;   in Loop: Header=BB4_129 Depth=2
	v_bfe_u32 v22, v21, 2, 5
	s_mov_b32 s43, exec_lo
	s_delay_alu instid0(VALU_DEP_1)
	v_cmpx_eq_u32_e32 0, v22
; %bb.912:                              ;   in Loop: Header=BB4_129 Depth=2
	v_clz_i32_u32_e32 v22, v23
	s_delay_alu instid0(VALU_DEP_1) | instskip(NEXT) | instid1(VALU_DEP_1)
	v_min_u32_e32 v22, 32, v22
	v_subrev_nc_u32_e32 v23, 29, v22
	s_delay_alu instid0(VALU_DEP_1) | instskip(NEXT) | instid1(VALU_DEP_1)
	v_lshlrev_b64_e32 v[116:117], v23, v[18:19]
	v_dual_sub_nc_u32 v22, 30, v22 :: v_dual_bitop2_b32 v23, 3, v116 bitop3:0x40
; %bb.913:                              ;   in Loop: Header=BB4_129 Depth=2
	s_or_b32 exec_lo, exec_lo, s43
	v_lshlrev_b32_e32 v82, 24, v21
	s_delay_alu instid0(VALU_DEP_1) | instskip(NEXT) | instid1(VALU_DEP_1)
	v_and_b32_e32 v82, 0x80000000, v82
	v_lshl_add_u32 v22, v22, 23, v82
	s_delay_alu instid0(VALU_DEP_1) | instskip(NEXT) | instid1(VALU_DEP_1)
	v_lshl_or_b32 v22, v23, 21, v22
                                        ; implicit-def: $vgpr23
	v_add_nc_u32_e32 v22, 0x38000000, v22
.LBB4_914:                              ;   in Loop: Header=BB4_129 Depth=2
	s_and_not1_saveexec_b32 s42, s42
; %bb.915:                              ;   in Loop: Header=BB4_129 Depth=2
	v_bfe_i32 v22, v21, 0, 8
	s_delay_alu instid0(VALU_DEP_1) | instskip(SKIP_2) | instid1(VALU_DEP_2)
	v_cmp_lt_i16_e32 vcc_lo, -1, v22
	v_cndmask_b32_e32 v22, 0xff800000, v126, vcc_lo
	v_cmp_eq_u32_e32 vcc_lo, 0, v23
	v_cndmask_b32_e32 v22, 0x7f800001, v22, vcc_lo
; %bb.916:                              ;   in Loop: Header=BB4_129 Depth=2
	s_or_b32 exec_lo, exec_lo, s42
.LBB4_917:                              ;   in Loop: Header=BB4_129 Depth=2
	s_delay_alu instid0(SALU_CYCLE_1)
	s_or_b32 exec_lo, exec_lo, s15
.LBB4_918:                              ;   in Loop: Header=BB4_129 Depth=2
	s_delay_alu instid0(SALU_CYCLE_1) | instskip(NEXT) | instid1(VALU_DEP_1)
	s_or_b32 exec_lo, exec_lo, s14
	v_dual_max_num_f32 v22, v22, v22 :: v_dual_max_num_f32 v3, v3, v3
	s_mov_b32 s14, 0
	s_delay_alu instid0(VALU_DEP_1)
	v_max_num_f32_e32 v3, v3, v22
.LBB4_919:                              ;   in Loop: Header=BB4_129 Depth=2
	s_and_b32 vcc_lo, exec_lo, s14
	s_cbranch_vccz .LBB4_941
; %bb.920:                              ;   in Loop: Header=BB4_129 Depth=2
	v_dual_mov_b32 v22, 0 :: v_dual_mov_b32 v3, 0
	s_and_saveexec_b32 s14, s10
	s_cbranch_execz .LBB4_930
; %bb.921:                              ;   in Loop: Header=BB4_129 Depth=2
	v_bfrev_b32_e32 v3, 1
	s_mov_b32 s10, exec_lo
	v_cmpx_ne_u16_e32 0x80, v0
	s_cbranch_execz .LBB4_929
; %bb.922:                              ;   in Loop: Header=BB4_129 Depth=2
	v_and_b32_e32 v3, 0x7c, v25
	v_and_b32_e32 v0, 3, v25
	s_delay_alu instid0(VALU_DEP_2) | instskip(SKIP_1) | instid1(SALU_CYCLE_1)
	v_cmp_ne_u32_e32 vcc_lo, 0x7c, v3
                                        ; implicit-def: $vgpr3
	s_and_saveexec_b32 s15, vcc_lo
	s_xor_b32 s15, exec_lo, s15
	s_cbranch_execz .LBB4_926
; %bb.923:                              ;   in Loop: Header=BB4_129 Depth=2
	v_bfe_u32 v3, v25, 2, 5
	s_mov_b32 s42, exec_lo
	s_delay_alu instid0(VALU_DEP_1)
	v_cmpx_eq_u32_e32 0, v3
; %bb.924:                              ;   in Loop: Header=BB4_129 Depth=2
	v_clz_i32_u32_e32 v0, v0
	s_delay_alu instid0(VALU_DEP_1) | instskip(NEXT) | instid1(VALU_DEP_1)
	v_min_u32_e32 v0, 32, v0
	v_subrev_nc_u32_e32 v3, 29, v0
	s_delay_alu instid0(VALU_DEP_1) | instskip(SKIP_1) | instid1(VALU_DEP_2)
	v_lshlrev_b64_e32 v[116:117], v3, v[54:55]
	v_sub_nc_u32_e32 v3, 30, v0
	v_and_b32_e32 v0, 3, v116
; %bb.925:                              ;   in Loop: Header=BB4_129 Depth=2
	s_or_b32 exec_lo, exec_lo, s42
	v_lshlrev_b32_e32 v23, 24, v25
	s_delay_alu instid0(VALU_DEP_1) | instskip(NEXT) | instid1(VALU_DEP_1)
	v_and_b32_e32 v23, 0x80000000, v23
	v_lshl_add_u32 v3, v3, 23, v23
	s_delay_alu instid0(VALU_DEP_1) | instskip(NEXT) | instid1(VALU_DEP_1)
	v_lshl_or_b32 v0, v0, 21, v3
	v_add_nc_u32_e32 v3, 0x38000000, v0
                                        ; implicit-def: $vgpr0
.LBB4_926:                              ;   in Loop: Header=BB4_129 Depth=2
	s_and_not1_saveexec_b32 s15, s15
; %bb.927:                              ;   in Loop: Header=BB4_129 Depth=2
	v_bfe_i32 v3, v25, 0, 8
	s_delay_alu instid0(VALU_DEP_1) | instskip(SKIP_2) | instid1(VALU_DEP_2)
	v_cmp_lt_i16_e32 vcc_lo, -1, v3
	v_cndmask_b32_e32 v3, 0xff800000, v126, vcc_lo
	v_cmp_eq_u32_e32 vcc_lo, 0, v0
	v_cndmask_b32_e32 v3, 0x7f800001, v3, vcc_lo
; %bb.928:                              ;   in Loop: Header=BB4_129 Depth=2
	s_or_b32 exec_lo, exec_lo, s15
.LBB4_929:                              ;   in Loop: Header=BB4_129 Depth=2
	s_delay_alu instid0(SALU_CYCLE_1)
	s_or_b32 exec_lo, exec_lo, s10
.LBB4_930:                              ;   in Loop: Header=BB4_129 Depth=2
	s_delay_alu instid0(SALU_CYCLE_1) | instskip(SKIP_2) | instid1(VALU_DEP_1)
	s_or_b32 exec_lo, exec_lo, s14
	v_and_b32_e32 v0, 0xff, v21
	s_mov_b32 s10, exec_lo
	v_cmpx_ne_u16_e32 0, v0
	s_cbranch_execz .LBB4_940
; %bb.931:                              ;   in Loop: Header=BB4_129 Depth=2
	v_bfrev_b32_e32 v22, 1
	s_mov_b32 s14, exec_lo
	v_cmpx_ne_u16_e32 0x80, v0
	s_cbranch_execz .LBB4_939
; %bb.932:                              ;   in Loop: Header=BB4_129 Depth=2
	v_and_b32_e32 v22, 0x7c, v21
	v_and_b32_e32 v0, 3, v21
	s_delay_alu instid0(VALU_DEP_2) | instskip(SKIP_1) | instid1(SALU_CYCLE_1)
	v_cmp_ne_u32_e32 vcc_lo, 0x7c, v22
                                        ; implicit-def: $vgpr22
	s_and_saveexec_b32 s15, vcc_lo
	s_xor_b32 s15, exec_lo, s15
	s_cbranch_execz .LBB4_936
; %bb.933:                              ;   in Loop: Header=BB4_129 Depth=2
	v_bfe_u32 v22, v21, 2, 5
	s_mov_b32 s42, exec_lo
	s_delay_alu instid0(VALU_DEP_1)
	v_cmpx_eq_u32_e32 0, v22
; %bb.934:                              ;   in Loop: Header=BB4_129 Depth=2
	v_clz_i32_u32_e32 v0, v0
	s_delay_alu instid0(VALU_DEP_1) | instskip(NEXT) | instid1(VALU_DEP_1)
	v_min_u32_e32 v0, 32, v0
	v_subrev_nc_u32_e32 v22, 29, v0
	s_delay_alu instid0(VALU_DEP_1) | instskip(SKIP_1) | instid1(VALU_DEP_2)
	v_lshlrev_b64_e32 v[116:117], v22, v[18:19]
	v_sub_nc_u32_e32 v22, 30, v0
	v_and_b32_e32 v0, 3, v116
; %bb.935:                              ;   in Loop: Header=BB4_129 Depth=2
	s_or_b32 exec_lo, exec_lo, s42
	v_lshlrev_b32_e32 v19, 24, v21
	s_delay_alu instid0(VALU_DEP_1) | instskip(NEXT) | instid1(VALU_DEP_1)
	v_and_b32_e32 v19, 0x80000000, v19
	v_lshl_add_u32 v19, v22, 23, v19
	s_delay_alu instid0(VALU_DEP_1) | instskip(NEXT) | instid1(VALU_DEP_1)
	v_lshl_or_b32 v0, v0, 21, v19
	v_add_nc_u32_e32 v22, 0x38000000, v0
                                        ; implicit-def: $vgpr0
.LBB4_936:                              ;   in Loop: Header=BB4_129 Depth=2
	s_and_not1_saveexec_b32 s15, s15
; %bb.937:                              ;   in Loop: Header=BB4_129 Depth=2
	v_bfe_i32 v19, v21, 0, 8
	s_delay_alu instid0(VALU_DEP_1) | instskip(SKIP_2) | instid1(VALU_DEP_2)
	v_cmp_lt_i16_e32 vcc_lo, -1, v19
	v_cndmask_b32_e32 v19, 0xff800000, v126, vcc_lo
	v_cmp_eq_u32_e32 vcc_lo, 0, v0
	v_cndmask_b32_e32 v22, 0x7f800001, v19, vcc_lo
; %bb.938:                              ;   in Loop: Header=BB4_129 Depth=2
	s_or_b32 exec_lo, exec_lo, s15
.LBB4_939:                              ;   in Loop: Header=BB4_129 Depth=2
	s_delay_alu instid0(SALU_CYCLE_1)
	s_or_b32 exec_lo, exec_lo, s14
.LBB4_940:                              ;   in Loop: Header=BB4_129 Depth=2
	s_delay_alu instid0(SALU_CYCLE_1) | instskip(NEXT) | instid1(VALU_DEP_1)
	s_or_b32 exec_lo, exec_lo, s10
	v_dual_max_num_f32 v0, v22, v22 :: v_dual_max_num_f32 v3, v3, v3
	s_delay_alu instid0(VALU_DEP_1)
	v_min_num_f32_e32 v3, v3, v0
.LBB4_941:                              ;   in Loop: Header=BB4_129 Depth=2
	s_delay_alu instid0(VALU_DEP_1) | instskip(SKIP_4) | instid1(VALU_DEP_3)
	v_and_b32_e32 v116, 0x7f800000, v3
	v_dual_mov_b32 v117, v55 :: v_dual_mov_b32 v23, v55
	v_and_b32_e32 v22, 0x7fffff, v3
	v_lshrrev_b32_e32 v0, 24, v3
                                        ; implicit-def: $vgpr57
	s_mov_b32 s10, exec_lo
	v_cmpx_ne_u64_e32 0x7f800000, v[116:117]
	s_xor_b32 s14, exec_lo, s10
	s_cbranch_execz .LBB4_955
; %bb.942:                              ;   in Loop: Header=BB4_129 Depth=2
	v_and_b32_e32 v116, 0x7fffffff, v3
	v_mov_b32_e32 v117, v55
	v_and_b32_e32 v0, 0x80, v0
                                        ; implicit-def: $vgpr57
	s_mov_b32 s10, exec_lo
	s_delay_alu instid0(VALU_DEP_2)
	v_cmpx_gt_u64_e32 0x47600001, v[116:117]
	s_xor_b32 s15, exec_lo, s10
	s_cbranch_execz .LBB4_952
; %bb.943:                              ;   in Loop: Header=BB4_129 Depth=2
	v_mov_b32_e32 v57, 0
	s_mov_b32 s42, exec_lo
	v_cmpx_ne_u32_e32 0, v3
	s_cbranch_execz .LBB4_951
; %bb.944:                              ;   in Loop: Header=BB4_129 Depth=2
	v_bfe_u32 v3, v3, 23, 8
	v_or_b32_e32 v83, 0x800000, v22
	s_delay_alu instid0(VALU_DEP_2) | instskip(SKIP_1) | instid1(VALU_DEP_2)
	v_sub_nc_u32_e32 v19, 0x71, v3
	v_cmp_gt_u32_e32 vcc_lo, 0x72, v3
	v_cndmask_b32_e32 v19, 0, v19, vcc_lo
	v_cmp_eq_u32_e32 vcc_lo, 0, v3
	s_delay_alu instid0(VALU_DEP_2) | instskip(NEXT) | instid1(VALU_DEP_1)
	v_cndmask_b32_e64 v19, v19, 0x70, vcc_lo
	v_dual_cndmask_b32 v22, v83, v22, vcc_lo :: v_dual_add_nc_u32 v82, 21, v19
	s_delay_alu instid0(VALU_DEP_1) | instskip(SKIP_1) | instid1(VALU_DEP_1)
	v_lshlrev_b64_e64 v[116:117], v82, -1
	v_add_nc_u32_e32 v82, 20, v19
	v_lshlrev_b64_e64 v[58:59], v82, 1
	s_delay_alu instid0(VALU_DEP_3) | instskip(SKIP_2) | instid1(VALU_DEP_1)
	v_bfi_b32 v116, v116, 0, v22
	v_lshrrev_b64 v[22:23], v19, v[22:23]
	v_bfi_b32 v117, v117, 0, 0
	v_cmp_eq_u64_e64 s10, v[116:117], v[58:59]
	s_delay_alu instid0(VALU_DEP_3)
	v_mov_b64_e32 v[116:117], v[22:23]
	s_and_saveexec_b32 s43, s10
; %bb.945:                              ;   in Loop: Header=BB4_129 Depth=2
	v_bfe_u32 v116, v22, 21, 1
	v_mov_b32_e32 v117, v55
	s_delay_alu instid0(VALU_DEP_1) | instskip(NEXT) | instid1(VALU_DEP_1)
	v_add_nc_u64_e32 v[116:117], v[22:23], v[116:117]
	v_add_nc_u64_e32 v[116:117], -1, v[116:117]
; %bb.946:                              ;   in Loop: Header=BB4_129 Depth=2
	s_or_b32 exec_lo, exec_lo, s43
	v_add_nc_u32_e32 v3, 0xffffff81, v3
	v_lshrrev_b32_e32 v23, 23, v22
	s_mov_b32 s10, exec_lo
	s_delay_alu instid0(VALU_DEP_2) | instskip(NEXT) | instid1(VALU_DEP_1)
	v_cndmask_b32_e64 v3, v3, 0xffffff82, vcc_lo
	v_add3_u32 v19, v19, v3, v23
	v_and_b32_e32 v3, 0x1fffff, v116
	s_delay_alu instid0(VALU_DEP_2) | instskip(NEXT) | instid1(VALU_DEP_2)
	v_dual_mov_b32 v23, v55 :: v_dual_add_nc_u32 v87, 14, v19
	v_add_nc_u32_e32 v22, v3, v22
                                        ; implicit-def: $vgpr3
	s_delay_alu instid0(VALU_DEP_2)
	v_cmpx_ne_u32_e32 0, v87
	s_xor_b32 s10, exec_lo, s10
; %bb.947:                              ;   in Loop: Header=BB4_129 Depth=2
	s_delay_alu instid0(VALU_DEP_2) | instskip(SKIP_2) | instid1(VALU_DEP_2)
	v_cmp_lt_u64_e32 vcc_lo, 0xffffff, v[22:23]
	v_add_nc_u32_e32 v3, 15, v19
	v_cndmask_b32_e64 v19, 0, 1, vcc_lo
	v_cndmask_b32_e32 v3, v87, v3, vcc_lo
	s_delay_alu instid0(VALU_DEP_2)
	v_lshrrev_b64 v[22:23], v19, v[22:23]
; %bb.948:                              ;   in Loop: Header=BB4_129 Depth=2
	s_and_not1_saveexec_b32 s10, s10
; %bb.949:                              ;   in Loop: Header=BB4_129 Depth=2
	s_delay_alu instid0(VALU_DEP_1)
	v_bfe_u32 v3, v22, 23, 1
; %bb.950:                              ;   in Loop: Header=BB4_129 Depth=2
	s_or_b32 exec_lo, exec_lo, s10
	s_delay_alu instid0(VALU_DEP_2) | instskip(NEXT) | instid1(VALU_DEP_2)
	v_lshrrev_b64 v[22:23], 21, v[22:23]
	v_cmp_gt_i32_e32 vcc_lo, 32, v3
	v_min_i32_e32 v19, 31, v3
	v_cmp_eq_u32_e64 s10, 0, v3
	s_delay_alu instid0(VALU_DEP_2) | instskip(SKIP_1) | instid1(VALU_DEP_2)
	v_dual_cndmask_b32 v22, 3, v22 :: v_dual_lshlrev_b32 v19, 2, v19
	v_cndmask_b32_e32 v23, 0, v23, vcc_lo
	v_and_b32_e32 v19, 0xfc, v19
	s_delay_alu instid0(VALU_DEP_2) | instskip(NEXT) | instid1(VALU_DEP_2)
	v_cmp_eq_u64_e32 vcc_lo, 0, v[22:23]
	v_and_or_b32 v3, v22, 3, v19
	s_and_b32 s10, s10, vcc_lo
	s_delay_alu instid0(VALU_DEP_1) | instid1(SALU_CYCLE_1)
	v_cndmask_b32_e64 v3, v3, 0, s10
	s_delay_alu instid0(VALU_DEP_1)
	v_or_b32_e32 v57, v3, v0
.LBB4_951:                              ;   in Loop: Header=BB4_129 Depth=2
	s_or_b32 exec_lo, exec_lo, s42
                                        ; implicit-def: $vgpr0
.LBB4_952:                              ;   in Loop: Header=BB4_129 Depth=2
	s_and_not1_saveexec_b32 s10, s15
; %bb.953:                              ;   in Loop: Header=BB4_129 Depth=2
	v_or_b32_e32 v57, 0x7b, v0
; %bb.954:                              ;   in Loop: Header=BB4_129 Depth=2
	s_or_b32 exec_lo, exec_lo, s10
                                        ; implicit-def: $vgpr3
                                        ; implicit-def: $vgpr22_vgpr23
                                        ; implicit-def: $vgpr0
.LBB4_955:                              ;   in Loop: Header=BB4_129 Depth=2
	s_and_not1_saveexec_b32 s10, s14
	s_cbranch_execz .LBB4_961
; %bb.956:                              ;   in Loop: Header=BB4_129 Depth=2
	s_mov_b32 s14, exec_lo
                                        ; implicit-def: $vgpr57
	v_cmpx_ne_u64_e32 0, v[22:23]
	s_xor_b32 s14, exec_lo, s14
; %bb.957:                              ;   in Loop: Header=BB4_129 Depth=2
	v_or_b32_e32 v57, 0x7f, v0
                                        ; implicit-def: $vgpr3
; %bb.958:                              ;   in Loop: Header=BB4_129 Depth=2
	s_and_not1_saveexec_b32 s14, s14
; %bb.959:                              ;   in Loop: Header=BB4_129 Depth=2
	v_cmp_lt_i32_e32 vcc_lo, -1, v3
	v_cndmask_b32_e32 v57, 0xfc, v122, vcc_lo
; %bb.960:                              ;   in Loop: Header=BB4_129 Depth=2
	s_or_b32 exec_lo, exec_lo, s14
.LBB4_961:                              ;   in Loop: Header=BB4_129 Depth=2
	s_delay_alu instid0(SALU_CYCLE_1) | instskip(SKIP_4) | instid1(VALU_DEP_2)
	s_or_b32 exec_lo, exec_lo, s10
	v_lshrrev_b16 v116, 8, v54
	v_lshrrev_b16 v22, 8, v18
	s_and_b32 vcc_lo, exec_lo, s13
	s_mov_b32 s14, -1
                                        ; implicit-def: $vgpr3
	v_and_b32_e32 v0, 0xffff, v116
	v_cmp_ne_u16_e64 s10, 0, v116
	s_cbranch_vccz .LBB4_983
; %bb.962:                              ;   in Loop: Header=BB4_129 Depth=2
	v_dual_mov_b32 v19, 0 :: v_dual_mov_b32 v3, 0
	s_and_saveexec_b32 s14, s10
	s_cbranch_execz .LBB4_972
; %bb.963:                              ;   in Loop: Header=BB4_129 Depth=2
	v_bfrev_b32_e32 v3, 1
	s_mov_b32 s15, exec_lo
	v_cmpx_ne_u16_e32 0x80, v116
	s_cbranch_execz .LBB4_971
; %bb.964:                              ;   in Loop: Header=BB4_129 Depth=2
	v_and_b32_e32 v3, 0x7c, v0
	v_and_b32_e32 v23, 3, v0
	s_delay_alu instid0(VALU_DEP_2) | instskip(SKIP_1) | instid1(SALU_CYCLE_1)
	v_cmp_ne_u32_e32 vcc_lo, 0x7c, v3
                                        ; implicit-def: $vgpr3
	s_and_saveexec_b32 s42, vcc_lo
	s_xor_b32 s42, exec_lo, s42
	s_cbranch_execz .LBB4_968
; %bb.965:                              ;   in Loop: Header=BB4_129 Depth=2
	v_bfe_u32 v3, v0, 2, 5
	s_mov_b32 s43, exec_lo
	s_delay_alu instid0(VALU_DEP_1)
	v_cmpx_eq_u32_e32 0, v3
	s_cbranch_execz .LBB4_967
; %bb.966:                              ;   in Loop: Header=BB4_129 Depth=2
	v_clz_i32_u32_e32 v3, v23
	s_delay_alu instid0(VALU_DEP_1) | instskip(SKIP_1) | instid1(VALU_DEP_2)
	v_min_u32_e32 v3, 32, v3
	v_mov_b32_e32 v117, v55
	v_subrev_nc_u32_e32 v23, 29, v3
	v_sub_nc_u32_e32 v3, 30, v3
	s_delay_alu instid0(VALU_DEP_2) | instskip(NEXT) | instid1(VALU_DEP_1)
	v_lshlrev_b64_e32 v[58:59], v23, v[116:117]
	v_and_b32_e32 v23, 3, v58
.LBB4_967:                              ;   in Loop: Header=BB4_129 Depth=2
	s_or_b32 exec_lo, exec_lo, s43
	v_lshlrev_b32_e32 v82, 16, v54
	s_delay_alu instid0(VALU_DEP_1) | instskip(NEXT) | instid1(VALU_DEP_1)
	v_and_b32_e32 v82, 0x80000000, v82
	v_lshl_add_u32 v3, v3, 23, v82
	s_delay_alu instid0(VALU_DEP_1) | instskip(NEXT) | instid1(VALU_DEP_1)
	v_lshl_or_b32 v3, v23, 21, v3
                                        ; implicit-def: $vgpr23
	v_add_nc_u32_e32 v3, 0x38000000, v3
.LBB4_968:                              ;   in Loop: Header=BB4_129 Depth=2
	s_and_not1_saveexec_b32 s42, s42
; %bb.969:                              ;   in Loop: Header=BB4_129 Depth=2
	v_cmp_lt_i16_e32 vcc_lo, -1, v54
	v_cndmask_b32_e32 v3, 0xff800000, v126, vcc_lo
	v_cmp_eq_u32_e32 vcc_lo, 0, v23
	s_delay_alu instid0(VALU_DEP_2)
	v_cndmask_b32_e32 v3, 0x7f800001, v3, vcc_lo
; %bb.970:                              ;   in Loop: Header=BB4_129 Depth=2
	s_or_b32 exec_lo, exec_lo, s42
.LBB4_971:                              ;   in Loop: Header=BB4_129 Depth=2
	s_delay_alu instid0(SALU_CYCLE_1)
	s_or_b32 exec_lo, exec_lo, s15
.LBB4_972:                              ;   in Loop: Header=BB4_129 Depth=2
	s_delay_alu instid0(SALU_CYCLE_1) | instskip(NEXT) | instid1(SALU_CYCLE_1)
	s_or_b32 exec_lo, exec_lo, s14
	s_mov_b32 s14, exec_lo
	v_cmpx_ne_u16_e32 0, v22
	s_cbranch_execz .LBB4_982
; %bb.973:                              ;   in Loop: Header=BB4_129 Depth=2
	v_bfrev_b32_e32 v19, 1
	s_mov_b32 s15, exec_lo
	v_cmpx_ne_u16_e32 0x80, v22
	s_cbranch_execz .LBB4_981
; %bb.974:                              ;   in Loop: Header=BB4_129 Depth=2
	v_and_b32_e32 v87, 0xffff, v22
	s_delay_alu instid0(VALU_DEP_1) | instskip(SKIP_1) | instid1(VALU_DEP_2)
	v_and_b32_e32 v19, 0x7c, v87
	v_and_b32_e32 v23, 3, v87
	v_cmp_ne_u32_e32 vcc_lo, 0x7c, v19
                                        ; implicit-def: $vgpr19
	s_and_saveexec_b32 s42, vcc_lo
	s_delay_alu instid0(SALU_CYCLE_1)
	s_xor_b32 s42, exec_lo, s42
	s_cbranch_execz .LBB4_978
; %bb.975:                              ;   in Loop: Header=BB4_129 Depth=2
	v_bfe_u32 v19, v87, 2, 5
	s_mov_b32 s43, exec_lo
	s_delay_alu instid0(VALU_DEP_1)
	v_cmpx_eq_u32_e32 0, v19
	s_cbranch_execz .LBB4_977
; %bb.976:                              ;   in Loop: Header=BB4_129 Depth=2
	v_clz_i32_u32_e32 v19, v23
	s_delay_alu instid0(VALU_DEP_1) | instskip(SKIP_1) | instid1(VALU_DEP_2)
	v_min_u32_e32 v19, 32, v19
	v_mov_b32_e32 v23, v55
	v_subrev_nc_u32_e32 v82, 29, v19
	v_sub_nc_u32_e32 v19, 30, v19
	s_delay_alu instid0(VALU_DEP_2) | instskip(NEXT) | instid1(VALU_DEP_1)
	v_lshlrev_b64_e32 v[58:59], v82, v[22:23]
	v_and_b32_e32 v23, 3, v58
.LBB4_977:                              ;   in Loop: Header=BB4_129 Depth=2
	s_or_b32 exec_lo, exec_lo, s43
	v_lshlrev_b32_e32 v82, 16, v18
	s_delay_alu instid0(VALU_DEP_1) | instskip(NEXT) | instid1(VALU_DEP_1)
	v_and_b32_e32 v82, 0x80000000, v82
	v_lshl_add_u32 v19, v19, 23, v82
	s_delay_alu instid0(VALU_DEP_1) | instskip(NEXT) | instid1(VALU_DEP_1)
	v_lshl_or_b32 v19, v23, 21, v19
                                        ; implicit-def: $vgpr23
	v_add_nc_u32_e32 v19, 0x38000000, v19
.LBB4_978:                              ;   in Loop: Header=BB4_129 Depth=2
	s_and_not1_saveexec_b32 s42, s42
; %bb.979:                              ;   in Loop: Header=BB4_129 Depth=2
	v_cmp_lt_i16_e32 vcc_lo, -1, v18
	v_cndmask_b32_e32 v19, 0xff800000, v126, vcc_lo
	v_cmp_eq_u32_e32 vcc_lo, 0, v23
	s_delay_alu instid0(VALU_DEP_2)
	v_cndmask_b32_e32 v19, 0x7f800001, v19, vcc_lo
; %bb.980:                              ;   in Loop: Header=BB4_129 Depth=2
	s_or_b32 exec_lo, exec_lo, s42
.LBB4_981:                              ;   in Loop: Header=BB4_129 Depth=2
	s_delay_alu instid0(SALU_CYCLE_1)
	s_or_b32 exec_lo, exec_lo, s15
.LBB4_982:                              ;   in Loop: Header=BB4_129 Depth=2
	s_delay_alu instid0(SALU_CYCLE_1) | instskip(NEXT) | instid1(VALU_DEP_1)
	s_or_b32 exec_lo, exec_lo, s14
	v_max_num_f32_e32 v19, v19, v19
	v_max_num_f32_e32 v3, v3, v3
	s_mov_b32 s14, 0
	s_delay_alu instid0(VALU_DEP_1)
	v_max_num_f32_e32 v3, v3, v19
.LBB4_983:                              ;   in Loop: Header=BB4_129 Depth=2
	s_and_b32 vcc_lo, exec_lo, s14
	s_cbranch_vccz .LBB4_1005
; %bb.984:                              ;   in Loop: Header=BB4_129 Depth=2
	v_dual_mov_b32 v23, 0 :: v_dual_mov_b32 v3, 0
	s_and_saveexec_b32 s14, s10
	s_cbranch_execz .LBB4_994
; %bb.985:                              ;   in Loop: Header=BB4_129 Depth=2
	v_bfrev_b32_e32 v3, 1
	s_mov_b32 s10, exec_lo
	v_cmpx_ne_u16_e32 0x80, v116
	s_cbranch_execz .LBB4_993
; %bb.986:                              ;   in Loop: Header=BB4_129 Depth=2
	v_and_b32_e32 v3, 0x7c, v0
	v_and_b32_e32 v19, 3, v0
	s_delay_alu instid0(VALU_DEP_2) | instskip(SKIP_1) | instid1(SALU_CYCLE_1)
	v_cmp_ne_u32_e32 vcc_lo, 0x7c, v3
                                        ; implicit-def: $vgpr3
	s_and_saveexec_b32 s15, vcc_lo
	s_xor_b32 s15, exec_lo, s15
	s_cbranch_execz .LBB4_990
; %bb.987:                              ;   in Loop: Header=BB4_129 Depth=2
	v_bfe_u32 v0, v0, 2, 5
	s_mov_b32 s42, exec_lo
	s_delay_alu instid0(VALU_DEP_1)
	v_cmpx_eq_u32_e32 0, v0
	s_cbranch_execz .LBB4_989
; %bb.988:                              ;   in Loop: Header=BB4_129 Depth=2
	v_clz_i32_u32_e32 v0, v19
	s_delay_alu instid0(VALU_DEP_1) | instskip(SKIP_1) | instid1(VALU_DEP_2)
	v_min_u32_e32 v0, 32, v0
	v_mov_b32_e32 v117, v55
	v_subrev_nc_u32_e32 v3, 29, v0
	v_sub_nc_u32_e32 v0, 30, v0
	s_delay_alu instid0(VALU_DEP_2) | instskip(NEXT) | instid1(VALU_DEP_1)
	v_lshlrev_b64_e32 v[116:117], v3, v[116:117]
	v_and_b32_e32 v19, 3, v116
.LBB4_989:                              ;   in Loop: Header=BB4_129 Depth=2
	s_or_b32 exec_lo, exec_lo, s42
	v_lshlrev_b32_e32 v3, 16, v54
	s_delay_alu instid0(VALU_DEP_1) | instskip(NEXT) | instid1(VALU_DEP_1)
	v_and_b32_e32 v3, 0x80000000, v3
	v_lshl_add_u32 v0, v0, 23, v3
	s_delay_alu instid0(VALU_DEP_1) | instskip(NEXT) | instid1(VALU_DEP_1)
	v_lshl_or_b32 v0, v19, 21, v0
                                        ; implicit-def: $vgpr19
	v_add_nc_u32_e32 v3, 0x38000000, v0
.LBB4_990:                              ;   in Loop: Header=BB4_129 Depth=2
	s_and_not1_saveexec_b32 s15, s15
; %bb.991:                              ;   in Loop: Header=BB4_129 Depth=2
	v_cmp_lt_i16_e32 vcc_lo, -1, v54
	v_cndmask_b32_e32 v0, 0xff800000, v126, vcc_lo
	v_cmp_eq_u32_e32 vcc_lo, 0, v19
	s_delay_alu instid0(VALU_DEP_2)
	v_cndmask_b32_e32 v3, 0x7f800001, v0, vcc_lo
; %bb.992:                              ;   in Loop: Header=BB4_129 Depth=2
	s_or_b32 exec_lo, exec_lo, s15
.LBB4_993:                              ;   in Loop: Header=BB4_129 Depth=2
	s_delay_alu instid0(SALU_CYCLE_1)
	s_or_b32 exec_lo, exec_lo, s10
.LBB4_994:                              ;   in Loop: Header=BB4_129 Depth=2
	s_delay_alu instid0(SALU_CYCLE_1) | instskip(NEXT) | instid1(SALU_CYCLE_1)
	s_or_b32 exec_lo, exec_lo, s14
	s_mov_b32 s10, exec_lo
	v_cmpx_ne_u16_e32 0, v22
	s_cbranch_execz .LBB4_1004
; %bb.995:                              ;   in Loop: Header=BB4_129 Depth=2
	v_bfrev_b32_e32 v23, 1
	s_mov_b32 s14, exec_lo
	v_cmpx_ne_u16_e32 0x80, v22
	s_cbranch_execz .LBB4_1003
; %bb.996:                              ;   in Loop: Header=BB4_129 Depth=2
	v_and_b32_e32 v19, 0xffff, v22
	s_delay_alu instid0(VALU_DEP_1) | instskip(SKIP_1) | instid1(VALU_DEP_2)
	v_and_b32_e32 v23, 0x7c, v19
	v_and_b32_e32 v0, 3, v19
	v_cmp_ne_u32_e32 vcc_lo, 0x7c, v23
                                        ; implicit-def: $vgpr23
	s_and_saveexec_b32 s15, vcc_lo
	s_delay_alu instid0(SALU_CYCLE_1)
	s_xor_b32 s15, exec_lo, s15
	s_cbranch_execz .LBB4_1000
; %bb.997:                              ;   in Loop: Header=BB4_129 Depth=2
	v_bfe_u32 v19, v19, 2, 5
	s_mov_b32 s42, exec_lo
	s_delay_alu instid0(VALU_DEP_1)
	v_cmpx_eq_u32_e32 0, v19
; %bb.998:                              ;   in Loop: Header=BB4_129 Depth=2
	v_clz_i32_u32_e32 v0, v0
	s_delay_alu instid0(VALU_DEP_1) | instskip(SKIP_1) | instid1(VALU_DEP_2)
	v_min_u32_e32 v0, 32, v0
	v_mov_b32_e32 v23, v55
	v_subrev_nc_u32_e32 v19, 29, v0
	s_delay_alu instid0(VALU_DEP_1) | instskip(NEXT) | instid1(VALU_DEP_1)
	v_lshlrev_b64_e32 v[22:23], v19, v[22:23]
	v_dual_sub_nc_u32 v19, 30, v0 :: v_dual_bitop2_b32 v0, 3, v22 bitop3:0x40
; %bb.999:                              ;   in Loop: Header=BB4_129 Depth=2
	s_or_b32 exec_lo, exec_lo, s42
	v_lshlrev_b32_e32 v18, 16, v18
	s_delay_alu instid0(VALU_DEP_1) | instskip(NEXT) | instid1(VALU_DEP_1)
	v_and_b32_e32 v18, 0x80000000, v18
	v_lshl_add_u32 v18, v19, 23, v18
	s_delay_alu instid0(VALU_DEP_1) | instskip(NEXT) | instid1(VALU_DEP_1)
	v_lshl_or_b32 v0, v0, 21, v18
                                        ; implicit-def: $vgpr18_vgpr19
	v_add_nc_u32_e32 v23, 0x38000000, v0
                                        ; implicit-def: $vgpr0
.LBB4_1000:                             ;   in Loop: Header=BB4_129 Depth=2
	s_and_not1_saveexec_b32 s15, s15
; %bb.1001:                             ;   in Loop: Header=BB4_129 Depth=2
	v_cmp_lt_i16_e32 vcc_lo, -1, v18
	v_cndmask_b32_e32 v18, 0xff800000, v126, vcc_lo
	v_cmp_eq_u32_e32 vcc_lo, 0, v0
	s_delay_alu instid0(VALU_DEP_2)
	v_cndmask_b32_e32 v23, 0x7f800001, v18, vcc_lo
; %bb.1002:                             ;   in Loop: Header=BB4_129 Depth=2
	s_or_b32 exec_lo, exec_lo, s15
.LBB4_1003:                             ;   in Loop: Header=BB4_129 Depth=2
	s_delay_alu instid0(SALU_CYCLE_1)
	s_or_b32 exec_lo, exec_lo, s14
.LBB4_1004:                             ;   in Loop: Header=BB4_129 Depth=2
	s_delay_alu instid0(SALU_CYCLE_1) | instskip(NEXT) | instid1(VALU_DEP_1)
	s_or_b32 exec_lo, exec_lo, s10
	v_max_num_f32_e32 v0, v23, v23
	v_max_num_f32_e32 v3, v3, v3
	s_delay_alu instid0(VALU_DEP_1)
	v_min_num_f32_e32 v3, v3, v0
.LBB4_1005:                             ;   in Loop: Header=BB4_129 Depth=2
	s_delay_alu instid0(VALU_DEP_1) | instskip(SKIP_3) | instid1(VALU_DEP_2)
	v_and_b32_e32 v18, 0x7f800000, v3
	v_dual_mov_b32 v19, v55 :: v_dual_lshrrev_b32 v0, 24, v3
	v_and_b32_e32 v54, 0x7fffff, v3
                                        ; implicit-def: $vgpr116
	s_mov_b32 s10, exec_lo
	v_cmpx_ne_u64_e32 0x7f800000, v[18:19]
	s_xor_b32 s14, exec_lo, s10
	s_cbranch_execz .LBB4_1019
; %bb.1006:                             ;   in Loop: Header=BB4_129 Depth=2
	v_and_b32_e32 v18, 0x7fffffff, v3
	v_mov_b32_e32 v19, v55
	v_and_b32_e32 v0, 0x80, v0
                                        ; implicit-def: $vgpr116
	s_mov_b32 s10, exec_lo
	s_delay_alu instid0(VALU_DEP_2)
	v_cmpx_gt_u64_e32 0x47600001, v[18:19]
	s_xor_b32 s15, exec_lo, s10
	s_cbranch_execz .LBB4_1016
; %bb.1007:                             ;   in Loop: Header=BB4_129 Depth=2
	v_mov_b32_e32 v116, 0
	s_mov_b32 s42, exec_lo
	v_cmpx_ne_u32_e32 0, v3
	s_cbranch_execz .LBB4_1015
; %bb.1008:                             ;   in Loop: Header=BB4_129 Depth=2
	v_bfe_u32 v3, v3, 23, 8
	v_or_b32_e32 v22, 0x800000, v54
	s_delay_alu instid0(VALU_DEP_2) | instskip(SKIP_1) | instid1(VALU_DEP_2)
	v_sub_nc_u32_e32 v18, 0x71, v3
	v_cmp_gt_u32_e32 vcc_lo, 0x72, v3
	v_cndmask_b32_e32 v18, 0, v18, vcc_lo
	v_cmp_eq_u32_e32 vcc_lo, 0, v3
	s_delay_alu instid0(VALU_DEP_2) | instskip(NEXT) | instid1(VALU_DEP_1)
	v_cndmask_b32_e64 v87, v18, 0x70, vcc_lo
	v_dual_cndmask_b32 v54, v22, v54, vcc_lo :: v_dual_add_nc_u32 v18, 21, v87
	v_add_nc_u32_e32 v23, 20, v87
	s_delay_alu instid0(VALU_DEP_2) | instskip(NEXT) | instid1(VALU_DEP_2)
	v_lshlrev_b64_e64 v[18:19], v18, -1
	v_lshlrev_b64_e64 v[22:23], v23, 1
	s_delay_alu instid0(VALU_DEP_2) | instskip(NEXT) | instid1(VALU_DEP_3)
	v_bfi_b32 v117, v19, 0, 0
	v_bfi_b32 v116, v18, 0, v54
	v_lshrrev_b64 v[18:19], v87, v[54:55]
	s_delay_alu instid0(VALU_DEP_2) | instskip(NEXT) | instid1(VALU_DEP_2)
	v_cmp_eq_u64_e64 s10, v[116:117], v[22:23]
	v_mov_b64_e32 v[22:23], v[18:19]
	s_and_saveexec_b32 s43, s10
; %bb.1009:                             ;   in Loop: Header=BB4_129 Depth=2
	v_bfe_u32 v54, v18, 21, 1
	s_delay_alu instid0(VALU_DEP_1) | instskip(NEXT) | instid1(VALU_DEP_1)
	v_add_nc_u64_e32 v[22:23], v[18:19], v[54:55]
	v_add_nc_u64_e32 v[22:23], -1, v[22:23]
; %bb.1010:                             ;   in Loop: Header=BB4_129 Depth=2
	s_or_b32 exec_lo, exec_lo, s43
	v_add_nc_u32_e32 v3, 0xffffff81, v3
	v_lshrrev_b32_e32 v19, 23, v18
	s_mov_b32 s10, exec_lo
	s_delay_alu instid0(VALU_DEP_2) | instskip(NEXT) | instid1(VALU_DEP_1)
	v_cndmask_b32_e64 v3, v3, 0xffffff82, vcc_lo
	v_add3_u32 v23, v87, v3, v19
	v_and_b32_e32 v3, 0x1fffff, v22
	s_delay_alu instid0(VALU_DEP_1) | instskip(NEXT) | instid1(VALU_DEP_1)
	v_dual_add_nc_u32 v22, 14, v23 :: v_dual_add_nc_u32 v54, v3, v18
                                        ; implicit-def: $vgpr18_vgpr19
                                        ; implicit-def: $vgpr3
	v_cmpx_ne_u32_e32 0, v22
	s_xor_b32 s10, exec_lo, s10
; %bb.1011:                             ;   in Loop: Header=BB4_129 Depth=2
	s_delay_alu instid0(VALU_DEP_2) | instskip(SKIP_2) | instid1(VALU_DEP_2)
	v_cmp_lt_u64_e32 vcc_lo, 0xffffff, v[54:55]
	v_add_nc_u32_e32 v3, 15, v23
	v_cndmask_b32_e64 v18, 0, 1, vcc_lo
	v_cndmask_b32_e32 v3, v22, v3, vcc_lo
	s_delay_alu instid0(VALU_DEP_2)
	v_lshrrev_b64 v[18:19], v18, v[54:55]
; %bb.1012:                             ;   in Loop: Header=BB4_129 Depth=2
	s_and_not1_saveexec_b32 s10, s10
; %bb.1013:                             ;   in Loop: Header=BB4_129 Depth=2
	v_mov_b64_e32 v[18:19], v[54:55]
	v_bfe_u32 v3, v54, 23, 1
; %bb.1014:                             ;   in Loop: Header=BB4_129 Depth=2
	s_or_b32 exec_lo, exec_lo, s10
	s_delay_alu instid0(VALU_DEP_2) | instskip(NEXT) | instid1(VALU_DEP_2)
	v_lshrrev_b64 v[18:19], 21, v[18:19]
	v_cmp_gt_i32_e32 vcc_lo, 32, v3
	v_min_i32_e32 v22, 31, v3
	v_cmp_eq_u32_e64 s10, 0, v3
	s_delay_alu instid0(VALU_DEP_4) | instskip(NEXT) | instid1(VALU_DEP_3)
	v_cndmask_b32_e32 v18, 3, v18, vcc_lo
	v_dual_cndmask_b32 v19, 0, v19 :: v_dual_lshlrev_b32 v22, 2, v22
	s_delay_alu instid0(VALU_DEP_1) | instskip(NEXT) | instid1(VALU_DEP_2)
	v_and_b32_e32 v22, 0xfc, v22
	v_cmp_eq_u64_e32 vcc_lo, 0, v[18:19]
	s_delay_alu instid0(VALU_DEP_2)
	v_and_or_b32 v3, v18, 3, v22
	s_and_b32 s10, s10, vcc_lo
	s_delay_alu instid0(VALU_DEP_1) | instid1(SALU_CYCLE_1)
	v_cndmask_b32_e64 v3, v3, 0, s10
	s_delay_alu instid0(VALU_DEP_1)
	v_or_b32_e32 v116, v3, v0
.LBB4_1015:                             ;   in Loop: Header=BB4_129 Depth=2
	s_or_b32 exec_lo, exec_lo, s42
                                        ; implicit-def: $vgpr0
.LBB4_1016:                             ;   in Loop: Header=BB4_129 Depth=2
	s_and_not1_saveexec_b32 s10, s15
; %bb.1017:                             ;   in Loop: Header=BB4_129 Depth=2
	v_or_b32_e32 v116, 0x7b, v0
; %bb.1018:                             ;   in Loop: Header=BB4_129 Depth=2
	s_or_b32 exec_lo, exec_lo, s10
                                        ; implicit-def: $vgpr3
                                        ; implicit-def: $vgpr0
.LBB4_1019:                             ;   in Loop: Header=BB4_129 Depth=2
	s_and_not1_saveexec_b32 s10, s14
	s_cbranch_execz .LBB4_1025
; %bb.1020:                             ;   in Loop: Header=BB4_129 Depth=2
	s_mov_b32 s14, exec_lo
                                        ; implicit-def: $vgpr116
	v_cmpx_ne_u64_e32 0, v[54:55]
	s_xor_b32 s14, exec_lo, s14
; %bb.1021:                             ;   in Loop: Header=BB4_129 Depth=2
	v_or_b32_e32 v116, 0x7f, v0
                                        ; implicit-def: $vgpr3
; %bb.1022:                             ;   in Loop: Header=BB4_129 Depth=2
	s_and_not1_saveexec_b32 s14, s14
; %bb.1023:                             ;   in Loop: Header=BB4_129 Depth=2
	v_cmp_lt_i32_e32 vcc_lo, -1, v3
	v_cndmask_b32_e32 v116, 0xfc, v122, vcc_lo
; %bb.1024:                             ;   in Loop: Header=BB4_129 Depth=2
	s_or_b32 exec_lo, exec_lo, s14
.LBB4_1025:                             ;   in Loop: Header=BB4_129 Depth=2
	s_delay_alu instid0(SALU_CYCLE_1) | instskip(SKIP_4) | instid1(VALU_DEP_2)
	s_or_b32 exec_lo, exec_lo, s10
	v_lshrrev_b32_e32 v22, 16, v25
	v_lshrrev_b32_e32 v18, 16, v21
	s_and_b32 vcc_lo, exec_lo, s13
	s_mov_b32 s14, -1
                                        ; implicit-def: $vgpr3
	v_and_b32_e32 v0, 0xff, v22
	s_delay_alu instid0(VALU_DEP_1)
	v_cmp_ne_u16_e64 s10, 0, v0
	s_cbranch_vccz .LBB4_1047
; %bb.1026:                             ;   in Loop: Header=BB4_129 Depth=2
	v_dual_mov_b32 v19, 0 :: v_dual_mov_b32 v3, 0
	s_and_saveexec_b32 s14, s10
	s_cbranch_execz .LBB4_1036
; %bb.1027:                             ;   in Loop: Header=BB4_129 Depth=2
	v_bfrev_b32_e32 v3, 1
	s_mov_b32 s15, exec_lo
	v_cmpx_ne_u16_e32 0x80, v0
	s_cbranch_execz .LBB4_1035
; %bb.1028:                             ;   in Loop: Header=BB4_129 Depth=2
	v_and_b32_e32 v3, 0x7c0000, v25
	v_bfe_u32 v23, v25, 16, 2
	s_delay_alu instid0(VALU_DEP_2) | instskip(SKIP_1) | instid1(SALU_CYCLE_1)
	v_cmp_ne_u32_e32 vcc_lo, 0x7c0000, v3
                                        ; implicit-def: $vgpr3
	s_and_saveexec_b32 s42, vcc_lo
	s_xor_b32 s42, exec_lo, s42
	s_cbranch_execz .LBB4_1032
; %bb.1029:                             ;   in Loop: Header=BB4_129 Depth=2
	v_bfe_u32 v3, v25, 18, 5
	s_mov_b32 s43, exec_lo
	s_delay_alu instid0(VALU_DEP_1)
	v_cmpx_eq_u32_e32 0, v3
; %bb.1030:                             ;   in Loop: Header=BB4_129 Depth=2
	v_clz_i32_u32_e32 v3, v23
	s_delay_alu instid0(VALU_DEP_1) | instskip(NEXT) | instid1(VALU_DEP_1)
	v_min_u32_e32 v3, 32, v3
	v_subrev_nc_u32_e32 v23, 29, v3
	s_delay_alu instid0(VALU_DEP_1) | instskip(NEXT) | instid1(VALU_DEP_1)
	v_lshlrev_b64_e32 v[58:59], v23, v[22:23]
	v_dual_sub_nc_u32 v3, 30, v3 :: v_dual_bitop2_b32 v23, 3, v58 bitop3:0x40
; %bb.1031:                             ;   in Loop: Header=BB4_129 Depth=2
	s_or_b32 exec_lo, exec_lo, s43
	v_lshlrev_b32_e32 v54, 24, v22
	s_delay_alu instid0(VALU_DEP_1) | instskip(NEXT) | instid1(VALU_DEP_1)
	v_and_b32_e32 v54, 0x80000000, v54
	v_lshl_add_u32 v3, v3, 23, v54
	s_delay_alu instid0(VALU_DEP_1) | instskip(NEXT) | instid1(VALU_DEP_1)
	v_lshl_or_b32 v3, v23, 21, v3
                                        ; implicit-def: $vgpr23
	v_add_nc_u32_e32 v3, 0x38000000, v3
.LBB4_1032:                             ;   in Loop: Header=BB4_129 Depth=2
	s_and_not1_saveexec_b32 s42, s42
; %bb.1033:                             ;   in Loop: Header=BB4_129 Depth=2
	v_bfe_i32 v3, v22, 0, 8
	s_delay_alu instid0(VALU_DEP_1) | instskip(SKIP_2) | instid1(VALU_DEP_2)
	v_cmp_lt_i16_e32 vcc_lo, -1, v3
	v_cndmask_b32_e32 v3, 0xff800000, v126, vcc_lo
	v_cmp_eq_u32_e32 vcc_lo, 0, v23
	v_cndmask_b32_e32 v3, 0x7f800001, v3, vcc_lo
; %bb.1034:                             ;   in Loop: Header=BB4_129 Depth=2
	s_or_b32 exec_lo, exec_lo, s42
.LBB4_1035:                             ;   in Loop: Header=BB4_129 Depth=2
	s_delay_alu instid0(SALU_CYCLE_1)
	s_or_b32 exec_lo, exec_lo, s15
.LBB4_1036:                             ;   in Loop: Header=BB4_129 Depth=2
	s_delay_alu instid0(SALU_CYCLE_1) | instskip(SKIP_2) | instid1(VALU_DEP_1)
	s_or_b32 exec_lo, exec_lo, s14
	v_and_b32_e32 v23, 0xff, v18
	s_mov_b32 s14, exec_lo
	v_cmpx_ne_u16_e32 0, v23
	s_cbranch_execz .LBB4_1046
; %bb.1037:                             ;   in Loop: Header=BB4_129 Depth=2
	v_bfrev_b32_e32 v19, 1
	s_mov_b32 s15, exec_lo
	v_cmpx_ne_u16_e32 0x80, v23
	s_cbranch_execz .LBB4_1045
; %bb.1038:                             ;   in Loop: Header=BB4_129 Depth=2
	v_and_b32_e32 v19, 0x7c0000, v21
	v_bfe_u32 v23, v21, 16, 2
	s_delay_alu instid0(VALU_DEP_2) | instskip(SKIP_1) | instid1(SALU_CYCLE_1)
	v_cmp_ne_u32_e32 vcc_lo, 0x7c0000, v19
                                        ; implicit-def: $vgpr19
	s_and_saveexec_b32 s42, vcc_lo
	s_xor_b32 s42, exec_lo, s42
	s_cbranch_execz .LBB4_1042
; %bb.1039:                             ;   in Loop: Header=BB4_129 Depth=2
	v_bfe_u32 v19, v21, 18, 5
	s_mov_b32 s43, exec_lo
	s_delay_alu instid0(VALU_DEP_1)
	v_cmpx_eq_u32_e32 0, v19
; %bb.1040:                             ;   in Loop: Header=BB4_129 Depth=2
	v_clz_i32_u32_e32 v19, v23
	s_delay_alu instid0(VALU_DEP_1) | instskip(NEXT) | instid1(VALU_DEP_1)
	v_min_u32_e32 v19, 32, v19
	v_subrev_nc_u32_e32 v23, 29, v19
	s_delay_alu instid0(VALU_DEP_1) | instskip(NEXT) | instid1(VALU_DEP_1)
	v_lshlrev_b64_e32 v[58:59], v23, v[18:19]
	v_dual_sub_nc_u32 v19, 30, v19 :: v_dual_bitop2_b32 v23, 3, v58 bitop3:0x40
; %bb.1041:                             ;   in Loop: Header=BB4_129 Depth=2
	s_or_b32 exec_lo, exec_lo, s43
	v_lshlrev_b32_e32 v54, 24, v18
	s_delay_alu instid0(VALU_DEP_1) | instskip(NEXT) | instid1(VALU_DEP_1)
	v_and_b32_e32 v54, 0x80000000, v54
	v_lshl_add_u32 v19, v19, 23, v54
	s_delay_alu instid0(VALU_DEP_1) | instskip(NEXT) | instid1(VALU_DEP_1)
	v_lshl_or_b32 v19, v23, 21, v19
                                        ; implicit-def: $vgpr23
	v_add_nc_u32_e32 v19, 0x38000000, v19
.LBB4_1042:                             ;   in Loop: Header=BB4_129 Depth=2
	s_and_not1_saveexec_b32 s42, s42
; %bb.1043:                             ;   in Loop: Header=BB4_129 Depth=2
	v_bfe_i32 v19, v18, 0, 8
	s_delay_alu instid0(VALU_DEP_1) | instskip(SKIP_2) | instid1(VALU_DEP_2)
	v_cmp_lt_i16_e32 vcc_lo, -1, v19
	v_cndmask_b32_e32 v19, 0xff800000, v126, vcc_lo
	v_cmp_eq_u32_e32 vcc_lo, 0, v23
	v_cndmask_b32_e32 v19, 0x7f800001, v19, vcc_lo
; %bb.1044:                             ;   in Loop: Header=BB4_129 Depth=2
	s_or_b32 exec_lo, exec_lo, s42
.LBB4_1045:                             ;   in Loop: Header=BB4_129 Depth=2
	s_delay_alu instid0(SALU_CYCLE_1)
	s_or_b32 exec_lo, exec_lo, s15
.LBB4_1046:                             ;   in Loop: Header=BB4_129 Depth=2
	s_delay_alu instid0(SALU_CYCLE_1) | instskip(NEXT) | instid1(VALU_DEP_1)
	s_or_b32 exec_lo, exec_lo, s14
	v_max_num_f32_e32 v19, v19, v19
	v_max_num_f32_e32 v3, v3, v3
	s_mov_b32 s14, 0
	s_delay_alu instid0(VALU_DEP_1)
	v_max_num_f32_e32 v3, v3, v19
.LBB4_1047:                             ;   in Loop: Header=BB4_129 Depth=2
	s_and_b32 vcc_lo, exec_lo, s14
	s_cbranch_vccz .LBB4_1069
; %bb.1048:                             ;   in Loop: Header=BB4_129 Depth=2
	v_dual_mov_b32 v19, 0 :: v_dual_mov_b32 v3, 0
	s_and_saveexec_b32 s14, s10
	s_cbranch_execz .LBB4_1058
; %bb.1049:                             ;   in Loop: Header=BB4_129 Depth=2
	v_bfrev_b32_e32 v3, 1
	s_mov_b32 s10, exec_lo
	v_cmpx_ne_u16_e32 0x80, v0
	s_cbranch_execz .LBB4_1057
; %bb.1050:                             ;   in Loop: Header=BB4_129 Depth=2
	v_and_b32_e32 v3, 0x7c0000, v25
	v_bfe_u32 v0, v25, 16, 2
	s_delay_alu instid0(VALU_DEP_2) | instskip(SKIP_1) | instid1(SALU_CYCLE_1)
	v_cmp_ne_u32_e32 vcc_lo, 0x7c0000, v3
                                        ; implicit-def: $vgpr3
	s_and_saveexec_b32 s15, vcc_lo
	s_xor_b32 s15, exec_lo, s15
	s_cbranch_execz .LBB4_1054
; %bb.1051:                             ;   in Loop: Header=BB4_129 Depth=2
	v_bfe_u32 v3, v25, 18, 5
	s_mov_b32 s42, exec_lo
	s_delay_alu instid0(VALU_DEP_1)
	v_cmpx_eq_u32_e32 0, v3
; %bb.1052:                             ;   in Loop: Header=BB4_129 Depth=2
	v_clz_i32_u32_e32 v0, v0
	s_delay_alu instid0(VALU_DEP_1) | instskip(NEXT) | instid1(VALU_DEP_1)
	v_min_u32_e32 v0, 32, v0
	v_subrev_nc_u32_e32 v3, 29, v0
	s_delay_alu instid0(VALU_DEP_1) | instskip(NEXT) | instid1(VALU_DEP_1)
	v_lshlrev_b64_e32 v[58:59], v3, v[22:23]
	v_dual_sub_nc_u32 v3, 30, v0 :: v_dual_bitop2_b32 v0, 3, v58 bitop3:0x40
; %bb.1053:                             ;   in Loop: Header=BB4_129 Depth=2
	s_or_b32 exec_lo, exec_lo, s42
	v_lshlrev_b32_e32 v22, 24, v22
	s_delay_alu instid0(VALU_DEP_1) | instskip(NEXT) | instid1(VALU_DEP_1)
	v_and_b32_e32 v22, 0x80000000, v22
	v_lshl_add_u32 v3, v3, 23, v22
                                        ; implicit-def: $vgpr22
	s_delay_alu instid0(VALU_DEP_1) | instskip(NEXT) | instid1(VALU_DEP_1)
	v_lshl_or_b32 v0, v0, 21, v3
	v_add_nc_u32_e32 v3, 0x38000000, v0
                                        ; implicit-def: $vgpr0
.LBB4_1054:                             ;   in Loop: Header=BB4_129 Depth=2
	s_and_not1_saveexec_b32 s15, s15
; %bb.1055:                             ;   in Loop: Header=BB4_129 Depth=2
	v_bfe_i32 v3, v22, 0, 8
	s_delay_alu instid0(VALU_DEP_1) | instskip(SKIP_2) | instid1(VALU_DEP_2)
	v_cmp_lt_i16_e32 vcc_lo, -1, v3
	v_cndmask_b32_e32 v3, 0xff800000, v126, vcc_lo
	v_cmp_eq_u32_e32 vcc_lo, 0, v0
	v_cndmask_b32_e32 v3, 0x7f800001, v3, vcc_lo
; %bb.1056:                             ;   in Loop: Header=BB4_129 Depth=2
	s_or_b32 exec_lo, exec_lo, s15
.LBB4_1057:                             ;   in Loop: Header=BB4_129 Depth=2
	s_delay_alu instid0(SALU_CYCLE_1)
	s_or_b32 exec_lo, exec_lo, s10
.LBB4_1058:                             ;   in Loop: Header=BB4_129 Depth=2
	s_delay_alu instid0(SALU_CYCLE_1) | instskip(SKIP_2) | instid1(VALU_DEP_1)
	s_or_b32 exec_lo, exec_lo, s14
	v_and_b32_e32 v0, 0xff, v18
	s_mov_b32 s10, exec_lo
	v_cmpx_ne_u16_e32 0, v0
	s_cbranch_execz .LBB4_1068
; %bb.1059:                             ;   in Loop: Header=BB4_129 Depth=2
	v_bfrev_b32_e32 v19, 1
	s_mov_b32 s14, exec_lo
	v_cmpx_ne_u16_e32 0x80, v0
	s_cbranch_execz .LBB4_1067
; %bb.1060:                             ;   in Loop: Header=BB4_129 Depth=2
	v_and_b32_e32 v19, 0x7c0000, v21
	v_bfe_u32 v0, v21, 16, 2
	s_delay_alu instid0(VALU_DEP_2) | instskip(SKIP_1) | instid1(SALU_CYCLE_1)
	v_cmp_ne_u32_e32 vcc_lo, 0x7c0000, v19
                                        ; implicit-def: $vgpr19
	s_and_saveexec_b32 s15, vcc_lo
	s_xor_b32 s15, exec_lo, s15
	s_cbranch_execz .LBB4_1064
; %bb.1061:                             ;   in Loop: Header=BB4_129 Depth=2
	v_bfe_u32 v19, v21, 18, 5
	s_mov_b32 s42, exec_lo
	s_delay_alu instid0(VALU_DEP_1)
	v_cmpx_eq_u32_e32 0, v19
; %bb.1062:                             ;   in Loop: Header=BB4_129 Depth=2
	v_clz_i32_u32_e32 v0, v0
	s_delay_alu instid0(VALU_DEP_1) | instskip(NEXT) | instid1(VALU_DEP_1)
	v_min_u32_e32 v0, 32, v0
	v_subrev_nc_u32_e32 v19, 29, v0
	s_delay_alu instid0(VALU_DEP_1) | instskip(NEXT) | instid1(VALU_DEP_1)
	v_lshlrev_b64_e32 v[22:23], v19, v[18:19]
	v_dual_sub_nc_u32 v19, 30, v0 :: v_dual_bitop2_b32 v0, 3, v22 bitop3:0x40
; %bb.1063:                             ;   in Loop: Header=BB4_129 Depth=2
	s_or_b32 exec_lo, exec_lo, s42
	v_lshlrev_b32_e32 v18, 24, v18
	s_delay_alu instid0(VALU_DEP_1) | instskip(NEXT) | instid1(VALU_DEP_1)
	v_and_b32_e32 v18, 0x80000000, v18
	v_lshl_add_u32 v18, v19, 23, v18
	s_delay_alu instid0(VALU_DEP_1) | instskip(NEXT) | instid1(VALU_DEP_1)
	v_lshl_or_b32 v0, v0, 21, v18
                                        ; implicit-def: $vgpr18
	v_add_nc_u32_e32 v19, 0x38000000, v0
                                        ; implicit-def: $vgpr0
.LBB4_1064:                             ;   in Loop: Header=BB4_129 Depth=2
	s_and_not1_saveexec_b32 s15, s15
; %bb.1065:                             ;   in Loop: Header=BB4_129 Depth=2
	v_bfe_i32 v18, v18, 0, 8
	s_delay_alu instid0(VALU_DEP_1) | instskip(SKIP_2) | instid1(VALU_DEP_2)
	v_cmp_lt_i16_e32 vcc_lo, -1, v18
	v_cndmask_b32_e32 v18, 0xff800000, v126, vcc_lo
	v_cmp_eq_u32_e32 vcc_lo, 0, v0
	v_cndmask_b32_e32 v19, 0x7f800001, v18, vcc_lo
; %bb.1066:                             ;   in Loop: Header=BB4_129 Depth=2
	s_or_b32 exec_lo, exec_lo, s15
.LBB4_1067:                             ;   in Loop: Header=BB4_129 Depth=2
	s_delay_alu instid0(SALU_CYCLE_1)
	s_or_b32 exec_lo, exec_lo, s14
.LBB4_1068:                             ;   in Loop: Header=BB4_129 Depth=2
	s_delay_alu instid0(SALU_CYCLE_1) | instskip(NEXT) | instid1(VALU_DEP_1)
	s_or_b32 exec_lo, exec_lo, s10
	v_max_num_f32_e32 v0, v19, v19
	v_max_num_f32_e32 v3, v3, v3
	s_delay_alu instid0(VALU_DEP_1)
	v_min_num_f32_e32 v3, v3, v0
.LBB4_1069:                             ;   in Loop: Header=BB4_129 Depth=2
	s_delay_alu instid0(VALU_DEP_1) | instskip(SKIP_3) | instid1(VALU_DEP_2)
	v_and_b32_e32 v18, 0x7f800000, v3
	v_dual_mov_b32 v19, v55 :: v_dual_lshrrev_b32 v0, 24, v3
	v_and_b32_e32 v54, 0x7fffff, v3
                                        ; implicit-def: $vgpr117
	s_mov_b32 s10, exec_lo
	v_cmpx_ne_u64_e32 0x7f800000, v[18:19]
	s_xor_b32 s14, exec_lo, s10
	s_cbranch_execz .LBB4_1083
; %bb.1070:                             ;   in Loop: Header=BB4_129 Depth=2
	v_and_b32_e32 v18, 0x7fffffff, v3
	v_mov_b32_e32 v19, v55
	v_and_b32_e32 v0, 0x80, v0
                                        ; implicit-def: $vgpr117
	s_mov_b32 s10, exec_lo
	s_delay_alu instid0(VALU_DEP_2)
	v_cmpx_gt_u64_e32 0x47600001, v[18:19]
	s_xor_b32 s15, exec_lo, s10
	s_cbranch_execz .LBB4_1080
; %bb.1071:                             ;   in Loop: Header=BB4_129 Depth=2
	v_mov_b32_e32 v117, 0
	s_mov_b32 s42, exec_lo
	v_cmpx_ne_u32_e32 0, v3
	s_cbranch_execz .LBB4_1079
; %bb.1072:                             ;   in Loop: Header=BB4_129 Depth=2
	v_bfe_u32 v3, v3, 23, 8
	v_or_b32_e32 v22, 0x800000, v54
	s_delay_alu instid0(VALU_DEP_2) | instskip(SKIP_1) | instid1(VALU_DEP_2)
	v_sub_nc_u32_e32 v18, 0x71, v3
	v_cmp_gt_u32_e32 vcc_lo, 0x72, v3
	v_cndmask_b32_e32 v18, 0, v18, vcc_lo
	v_cmp_eq_u32_e32 vcc_lo, 0, v3
	s_delay_alu instid0(VALU_DEP_2) | instskip(NEXT) | instid1(VALU_DEP_1)
	v_cndmask_b32_e64 v87, v18, 0x70, vcc_lo
	v_dual_cndmask_b32 v54, v22, v54, vcc_lo :: v_dual_add_nc_u32 v18, 21, v87
	v_add_nc_u32_e32 v23, 20, v87
	s_delay_alu instid0(VALU_DEP_2) | instskip(NEXT) | instid1(VALU_DEP_2)
	v_lshlrev_b64_e64 v[18:19], v18, -1
	v_lshlrev_b64_e64 v[22:23], v23, 1
	s_delay_alu instid0(VALU_DEP_2) | instskip(NEXT) | instid1(VALU_DEP_3)
	v_bfi_b32 v59, v19, 0, 0
	v_bfi_b32 v58, v18, 0, v54
	v_lshrrev_b64 v[18:19], v87, v[54:55]
	s_delay_alu instid0(VALU_DEP_2) | instskip(NEXT) | instid1(VALU_DEP_2)
	v_cmp_eq_u64_e64 s10, v[58:59], v[22:23]
	v_mov_b64_e32 v[22:23], v[18:19]
	s_and_saveexec_b32 s43, s10
; %bb.1073:                             ;   in Loop: Header=BB4_129 Depth=2
	v_bfe_u32 v54, v18, 21, 1
	s_delay_alu instid0(VALU_DEP_1) | instskip(NEXT) | instid1(VALU_DEP_1)
	v_add_nc_u64_e32 v[22:23], v[18:19], v[54:55]
	v_add_nc_u64_e32 v[22:23], -1, v[22:23]
; %bb.1074:                             ;   in Loop: Header=BB4_129 Depth=2
	s_or_b32 exec_lo, exec_lo, s43
	v_add_nc_u32_e32 v3, 0xffffff81, v3
	v_lshrrev_b32_e32 v19, 23, v18
	s_mov_b32 s10, exec_lo
	s_delay_alu instid0(VALU_DEP_2) | instskip(NEXT) | instid1(VALU_DEP_1)
	v_cndmask_b32_e64 v3, v3, 0xffffff82, vcc_lo
	v_add3_u32 v23, v87, v3, v19
	v_and_b32_e32 v3, 0x1fffff, v22
	s_delay_alu instid0(VALU_DEP_1) | instskip(NEXT) | instid1(VALU_DEP_1)
	v_dual_add_nc_u32 v22, 14, v23 :: v_dual_add_nc_u32 v54, v3, v18
                                        ; implicit-def: $vgpr18_vgpr19
                                        ; implicit-def: $vgpr3
	v_cmpx_ne_u32_e32 0, v22
	s_xor_b32 s10, exec_lo, s10
; %bb.1075:                             ;   in Loop: Header=BB4_129 Depth=2
	s_delay_alu instid0(VALU_DEP_2) | instskip(SKIP_2) | instid1(VALU_DEP_2)
	v_cmp_lt_u64_e32 vcc_lo, 0xffffff, v[54:55]
	v_add_nc_u32_e32 v3, 15, v23
	v_cndmask_b32_e64 v18, 0, 1, vcc_lo
	v_cndmask_b32_e32 v3, v22, v3, vcc_lo
	s_delay_alu instid0(VALU_DEP_2)
	v_lshrrev_b64 v[18:19], v18, v[54:55]
; %bb.1076:                             ;   in Loop: Header=BB4_129 Depth=2
	s_and_not1_saveexec_b32 s10, s10
; %bb.1077:                             ;   in Loop: Header=BB4_129 Depth=2
	v_mov_b64_e32 v[18:19], v[54:55]
	v_bfe_u32 v3, v54, 23, 1
; %bb.1078:                             ;   in Loop: Header=BB4_129 Depth=2
	s_or_b32 exec_lo, exec_lo, s10
	s_delay_alu instid0(VALU_DEP_2) | instskip(NEXT) | instid1(VALU_DEP_2)
	v_lshrrev_b64 v[18:19], 21, v[18:19]
	v_cmp_gt_i32_e32 vcc_lo, 32, v3
	v_min_i32_e32 v22, 31, v3
	v_cmp_eq_u32_e64 s10, 0, v3
	s_delay_alu instid0(VALU_DEP_4) | instskip(NEXT) | instid1(VALU_DEP_3)
	v_cndmask_b32_e32 v18, 3, v18, vcc_lo
	v_dual_cndmask_b32 v19, 0, v19 :: v_dual_lshlrev_b32 v22, 2, v22
	s_delay_alu instid0(VALU_DEP_1) | instskip(NEXT) | instid1(VALU_DEP_2)
	v_and_b32_e32 v22, 0xfc, v22
	v_cmp_eq_u64_e32 vcc_lo, 0, v[18:19]
	s_delay_alu instid0(VALU_DEP_2)
	v_and_or_b32 v3, v18, 3, v22
	s_and_b32 s10, s10, vcc_lo
	s_delay_alu instid0(VALU_DEP_1) | instid1(SALU_CYCLE_1)
	v_cndmask_b32_e64 v3, v3, 0, s10
	s_delay_alu instid0(VALU_DEP_1)
	v_or_b32_e32 v117, v3, v0
.LBB4_1079:                             ;   in Loop: Header=BB4_129 Depth=2
	s_or_b32 exec_lo, exec_lo, s42
                                        ; implicit-def: $vgpr0
.LBB4_1080:                             ;   in Loop: Header=BB4_129 Depth=2
	s_and_not1_saveexec_b32 s10, s15
; %bb.1081:                             ;   in Loop: Header=BB4_129 Depth=2
	v_or_b32_e32 v117, 0x7b, v0
; %bb.1082:                             ;   in Loop: Header=BB4_129 Depth=2
	s_or_b32 exec_lo, exec_lo, s10
                                        ; implicit-def: $vgpr3
                                        ; implicit-def: $vgpr0
.LBB4_1083:                             ;   in Loop: Header=BB4_129 Depth=2
	s_and_not1_saveexec_b32 s10, s14
	s_cbranch_execz .LBB4_1089
; %bb.1084:                             ;   in Loop: Header=BB4_129 Depth=2
	s_mov_b32 s14, exec_lo
                                        ; implicit-def: $vgpr117
	v_cmpx_ne_u64_e32 0, v[54:55]
	s_xor_b32 s14, exec_lo, s14
; %bb.1085:                             ;   in Loop: Header=BB4_129 Depth=2
	v_or_b32_e32 v117, 0x7f, v0
                                        ; implicit-def: $vgpr3
; %bb.1086:                             ;   in Loop: Header=BB4_129 Depth=2
	s_and_not1_saveexec_b32 s14, s14
; %bb.1087:                             ;   in Loop: Header=BB4_129 Depth=2
	v_cmp_lt_i32_e32 vcc_lo, -1, v3
	v_cndmask_b32_e32 v117, 0xfc, v122, vcc_lo
; %bb.1088:                             ;   in Loop: Header=BB4_129 Depth=2
	s_or_b32 exec_lo, exec_lo, s14
.LBB4_1089:                             ;   in Loop: Header=BB4_129 Depth=2
	s_delay_alu instid0(SALU_CYCLE_1)
	s_or_b32 exec_lo, exec_lo, s10
	v_cmp_lt_u64_e64 s10, s[16:17], v[24:25]
	v_lshrrev_b32_e32 v22, 24, v25
	v_lshrrev_b32_e32 v18, 24, v21
	s_and_b32 vcc_lo, exec_lo, s13
	s_mov_b32 s14, -1
                                        ; implicit-def: $vgpr19
	s_cbranch_vccz .LBB4_1111
; %bb.1090:                             ;   in Loop: Header=BB4_129 Depth=2
	v_dual_mov_b32 v3, 0 :: v_dual_mov_b32 v0, 0
	s_and_saveexec_b32 s14, s10
	s_cbranch_execz .LBB4_1100
; %bb.1091:                             ;   in Loop: Header=BB4_129 Depth=2
	v_bfrev_b32_e32 v0, 1
	s_mov_b32 s15, exec_lo
	v_cmpx_ne_u32_e32 0x80, v22
	s_cbranch_execz .LBB4_1099
; %bb.1092:                             ;   in Loop: Header=BB4_129 Depth=2
	v_and_b32_e32 v0, 0x7c000000, v25
	v_bfe_u32 v19, v25, 24, 2
	s_delay_alu instid0(VALU_DEP_2) | instskip(SKIP_1) | instid1(SALU_CYCLE_1)
	v_cmp_ne_u32_e32 vcc_lo, 0x7c000000, v0
                                        ; implicit-def: $vgpr0
	s_and_saveexec_b32 s42, vcc_lo
	s_xor_b32 s42, exec_lo, s42
	s_cbranch_execz .LBB4_1096
; %bb.1093:                             ;   in Loop: Header=BB4_129 Depth=2
	v_bfe_u32 v0, v25, 26, 5
	s_mov_b32 s43, exec_lo
	s_delay_alu instid0(VALU_DEP_1)
	v_cmpx_eq_u32_e32 0, v0
; %bb.1094:                             ;   in Loop: Header=BB4_129 Depth=2
	v_clz_i32_u32_e32 v0, v19
	s_delay_alu instid0(VALU_DEP_1) | instskip(NEXT) | instid1(VALU_DEP_1)
	v_min_u32_e32 v0, 32, v0
	v_subrev_nc_u32_e32 v19, 29, v0
	s_delay_alu instid0(VALU_DEP_1) | instskip(NEXT) | instid1(VALU_DEP_1)
	v_lshlrev_b64_e32 v[58:59], v19, v[22:23]
	v_dual_sub_nc_u32 v0, 30, v0 :: v_dual_bitop2_b32 v19, 3, v58 bitop3:0x40
; %bb.1095:                             ;   in Loop: Header=BB4_129 Depth=2
	s_or_b32 exec_lo, exec_lo, s43
	v_and_b32_e32 v23, 0x80000000, v25
	s_delay_alu instid0(VALU_DEP_1) | instskip(NEXT) | instid1(VALU_DEP_1)
	v_lshl_add_u32 v0, v0, 23, v23
	v_lshl_or_b32 v0, v19, 21, v0
                                        ; implicit-def: $vgpr19
	s_delay_alu instid0(VALU_DEP_1)
	v_add_nc_u32_e32 v0, 0x38000000, v0
.LBB4_1096:                             ;   in Loop: Header=BB4_129 Depth=2
	s_and_not1_saveexec_b32 s42, s42
; %bb.1097:                             ;   in Loop: Header=BB4_129 Depth=2
	v_cmp_lt_i64_e32 vcc_lo, -1, v[24:25]
	v_cndmask_b32_e32 v0, 0xff800000, v126, vcc_lo
	v_cmp_eq_u32_e32 vcc_lo, 0, v19
	s_delay_alu instid0(VALU_DEP_2)
	v_cndmask_b32_e32 v0, 0x7f800001, v0, vcc_lo
; %bb.1098:                             ;   in Loop: Header=BB4_129 Depth=2
	s_or_b32 exec_lo, exec_lo, s42
.LBB4_1099:                             ;   in Loop: Header=BB4_129 Depth=2
	s_delay_alu instid0(SALU_CYCLE_1)
	s_or_b32 exec_lo, exec_lo, s15
.LBB4_1100:                             ;   in Loop: Header=BB4_129 Depth=2
	s_delay_alu instid0(SALU_CYCLE_1) | instskip(NEXT) | instid1(SALU_CYCLE_1)
	s_or_b32 exec_lo, exec_lo, s14
	s_mov_b32 s14, exec_lo
	v_cmpx_lt_u64_e64 s[16:17], v[20:21]
	s_cbranch_execz .LBB4_1110
; %bb.1101:                             ;   in Loop: Header=BB4_129 Depth=2
	v_bfrev_b32_e32 v3, 1
	s_mov_b32 s15, exec_lo
	v_cmpx_ne_u32_e32 0x80, v18
	s_cbranch_execz .LBB4_1109
; %bb.1102:                             ;   in Loop: Header=BB4_129 Depth=2
	v_and_b32_e32 v3, 0x7c000000, v21
	v_bfe_u32 v19, v21, 24, 2
	s_delay_alu instid0(VALU_DEP_2) | instskip(SKIP_1) | instid1(SALU_CYCLE_1)
	v_cmp_ne_u32_e32 vcc_lo, 0x7c000000, v3
                                        ; implicit-def: $vgpr3
	s_and_saveexec_b32 s42, vcc_lo
	s_xor_b32 s42, exec_lo, s42
	s_cbranch_execz .LBB4_1106
; %bb.1103:                             ;   in Loop: Header=BB4_129 Depth=2
	v_bfe_u32 v3, v21, 26, 5
	s_mov_b32 s43, exec_lo
	s_delay_alu instid0(VALU_DEP_1)
	v_cmpx_eq_u32_e32 0, v3
; %bb.1104:                             ;   in Loop: Header=BB4_129 Depth=2
	v_clz_i32_u32_e32 v3, v19
	s_delay_alu instid0(VALU_DEP_1) | instskip(NEXT) | instid1(VALU_DEP_1)
	v_min_u32_e32 v3, 32, v3
	v_subrev_nc_u32_e32 v19, 29, v3
	s_delay_alu instid0(VALU_DEP_1) | instskip(NEXT) | instid1(VALU_DEP_1)
	v_lshlrev_b64_e32 v[58:59], v19, v[18:19]
	v_dual_sub_nc_u32 v3, 30, v3 :: v_dual_bitop2_b32 v19, 3, v58 bitop3:0x40
; %bb.1105:                             ;   in Loop: Header=BB4_129 Depth=2
	s_or_b32 exec_lo, exec_lo, s43
	v_and_b32_e32 v23, 0x80000000, v21
	s_delay_alu instid0(VALU_DEP_1) | instskip(NEXT) | instid1(VALU_DEP_1)
	v_lshl_add_u32 v3, v3, 23, v23
	v_lshl_or_b32 v3, v19, 21, v3
                                        ; implicit-def: $vgpr19
	s_delay_alu instid0(VALU_DEP_1)
	v_add_nc_u32_e32 v3, 0x38000000, v3
.LBB4_1106:                             ;   in Loop: Header=BB4_129 Depth=2
	s_and_not1_saveexec_b32 s42, s42
; %bb.1107:                             ;   in Loop: Header=BB4_129 Depth=2
	v_cmp_lt_i64_e32 vcc_lo, -1, v[20:21]
	v_cndmask_b32_e32 v3, 0xff800000, v126, vcc_lo
	v_cmp_eq_u32_e32 vcc_lo, 0, v19
	s_delay_alu instid0(VALU_DEP_2)
	v_cndmask_b32_e32 v3, 0x7f800001, v3, vcc_lo
; %bb.1108:                             ;   in Loop: Header=BB4_129 Depth=2
	s_or_b32 exec_lo, exec_lo, s42
.LBB4_1109:                             ;   in Loop: Header=BB4_129 Depth=2
	s_delay_alu instid0(SALU_CYCLE_1)
	s_or_b32 exec_lo, exec_lo, s15
.LBB4_1110:                             ;   in Loop: Header=BB4_129 Depth=2
	s_delay_alu instid0(SALU_CYCLE_1) | instskip(NEXT) | instid1(VALU_DEP_1)
	s_or_b32 exec_lo, exec_lo, s14
	v_dual_max_num_f32 v3, v3, v3 :: v_dual_max_num_f32 v0, v0, v0
	s_mov_b32 s14, 0
	s_delay_alu instid0(VALU_DEP_1)
	v_max_num_f32_e32 v19, v0, v3
.LBB4_1111:                             ;   in Loop: Header=BB4_129 Depth=2
	s_and_b32 vcc_lo, exec_lo, s14
	s_cbranch_vccz .LBB4_1133
; %bb.1112:                             ;   in Loop: Header=BB4_129 Depth=2
	v_dual_mov_b32 v3, 0 :: v_dual_mov_b32 v0, 0
	s_and_saveexec_b32 s14, s10
	s_cbranch_execz .LBB4_1122
; %bb.1113:                             ;   in Loop: Header=BB4_129 Depth=2
	v_bfrev_b32_e32 v0, 1
	s_mov_b32 s10, exec_lo
	v_cmpx_ne_u32_e32 0x80, v22
	s_cbranch_execz .LBB4_1121
; %bb.1114:                             ;   in Loop: Header=BB4_129 Depth=2
	v_and_b32_e32 v0, 0x7c000000, v25
	v_bfe_u32 v19, v25, 24, 2
	s_delay_alu instid0(VALU_DEP_2) | instskip(SKIP_1) | instid1(SALU_CYCLE_1)
	v_cmp_ne_u32_e32 vcc_lo, 0x7c000000, v0
                                        ; implicit-def: $vgpr0
	s_and_saveexec_b32 s15, vcc_lo
	s_xor_b32 s15, exec_lo, s15
	s_cbranch_execz .LBB4_1118
; %bb.1115:                             ;   in Loop: Header=BB4_129 Depth=2
	v_bfe_u32 v0, v25, 26, 5
	s_mov_b32 s42, exec_lo
	s_delay_alu instid0(VALU_DEP_1)
	v_cmpx_eq_u32_e32 0, v0
; %bb.1116:                             ;   in Loop: Header=BB4_129 Depth=2
	v_clz_i32_u32_e32 v0, v19
	s_delay_alu instid0(VALU_DEP_1) | instskip(NEXT) | instid1(VALU_DEP_1)
	v_min_u32_e32 v0, 32, v0
	v_subrev_nc_u32_e32 v19, 29, v0
	s_delay_alu instid0(VALU_DEP_1) | instskip(NEXT) | instid1(VALU_DEP_1)
	v_lshlrev_b64_e32 v[22:23], v19, v[22:23]
	v_dual_sub_nc_u32 v0, 30, v0 :: v_dual_bitop2_b32 v19, 3, v22 bitop3:0x40
; %bb.1117:                             ;   in Loop: Header=BB4_129 Depth=2
	s_or_b32 exec_lo, exec_lo, s42
	v_and_b32_e32 v22, 0x80000000, v25
                                        ; implicit-def: $vgpr24_vgpr25
	s_delay_alu instid0(VALU_DEP_1) | instskip(NEXT) | instid1(VALU_DEP_1)
	v_lshl_add_u32 v0, v0, 23, v22
	v_lshl_or_b32 v0, v19, 21, v0
                                        ; implicit-def: $vgpr19
	s_delay_alu instid0(VALU_DEP_1)
	v_add_nc_u32_e32 v0, 0x38000000, v0
.LBB4_1118:                             ;   in Loop: Header=BB4_129 Depth=2
	s_and_not1_saveexec_b32 s15, s15
; %bb.1119:                             ;   in Loop: Header=BB4_129 Depth=2
	v_cmp_lt_i64_e32 vcc_lo, -1, v[24:25]
	v_cndmask_b32_e32 v0, 0xff800000, v126, vcc_lo
	v_cmp_eq_u32_e32 vcc_lo, 0, v19
	s_delay_alu instid0(VALU_DEP_2)
	v_cndmask_b32_e32 v0, 0x7f800001, v0, vcc_lo
; %bb.1120:                             ;   in Loop: Header=BB4_129 Depth=2
	s_or_b32 exec_lo, exec_lo, s15
.LBB4_1121:                             ;   in Loop: Header=BB4_129 Depth=2
	s_delay_alu instid0(SALU_CYCLE_1)
	s_or_b32 exec_lo, exec_lo, s10
.LBB4_1122:                             ;   in Loop: Header=BB4_129 Depth=2
	s_delay_alu instid0(SALU_CYCLE_1) | instskip(NEXT) | instid1(SALU_CYCLE_1)
	s_or_b32 exec_lo, exec_lo, s14
	s_mov_b32 s10, exec_lo
	v_cmpx_lt_u64_e64 s[16:17], v[20:21]
	s_cbranch_execz .LBB4_1132
; %bb.1123:                             ;   in Loop: Header=BB4_129 Depth=2
	v_bfrev_b32_e32 v3, 1
	s_mov_b32 s14, exec_lo
	v_cmpx_ne_u32_e32 0x80, v18
	s_cbranch_execz .LBB4_1131
; %bb.1124:                             ;   in Loop: Header=BB4_129 Depth=2
	v_and_b32_e32 v3, 0x7c000000, v21
	v_bfe_u32 v19, v21, 24, 2
	s_delay_alu instid0(VALU_DEP_2) | instskip(SKIP_1) | instid1(SALU_CYCLE_1)
	v_cmp_ne_u32_e32 vcc_lo, 0x7c000000, v3
                                        ; implicit-def: $vgpr3
	s_and_saveexec_b32 s15, vcc_lo
	s_xor_b32 s15, exec_lo, s15
	s_cbranch_execz .LBB4_1128
; %bb.1125:                             ;   in Loop: Header=BB4_129 Depth=2
	v_bfe_u32 v3, v21, 26, 5
	s_mov_b32 s42, exec_lo
	s_delay_alu instid0(VALU_DEP_1)
	v_cmpx_eq_u32_e32 0, v3
; %bb.1126:                             ;   in Loop: Header=BB4_129 Depth=2
	v_clz_i32_u32_e32 v3, v19
	s_delay_alu instid0(VALU_DEP_1) | instskip(NEXT) | instid1(VALU_DEP_1)
	v_min_u32_e32 v3, 32, v3
	v_subrev_nc_u32_e32 v19, 29, v3
	s_delay_alu instid0(VALU_DEP_1) | instskip(NEXT) | instid1(VALU_DEP_1)
	v_lshlrev_b64_e32 v[18:19], v19, v[18:19]
	v_dual_sub_nc_u32 v3, 30, v3 :: v_dual_bitop2_b32 v19, 3, v18 bitop3:0x40
; %bb.1127:                             ;   in Loop: Header=BB4_129 Depth=2
	s_or_b32 exec_lo, exec_lo, s42
	v_and_b32_e32 v18, 0x80000000, v21
                                        ; implicit-def: $vgpr20_vgpr21
	s_delay_alu instid0(VALU_DEP_1) | instskip(NEXT) | instid1(VALU_DEP_1)
	v_lshl_add_u32 v3, v3, 23, v18
	v_lshl_or_b32 v3, v19, 21, v3
                                        ; implicit-def: $vgpr19
	s_delay_alu instid0(VALU_DEP_1)
	v_add_nc_u32_e32 v3, 0x38000000, v3
.LBB4_1128:                             ;   in Loop: Header=BB4_129 Depth=2
	s_and_not1_saveexec_b32 s15, s15
; %bb.1129:                             ;   in Loop: Header=BB4_129 Depth=2
	v_cmp_lt_i64_e32 vcc_lo, -1, v[20:21]
	v_cndmask_b32_e32 v3, 0xff800000, v126, vcc_lo
	v_cmp_eq_u32_e32 vcc_lo, 0, v19
	s_delay_alu instid0(VALU_DEP_2)
	v_cndmask_b32_e32 v3, 0x7f800001, v3, vcc_lo
; %bb.1130:                             ;   in Loop: Header=BB4_129 Depth=2
	s_or_b32 exec_lo, exec_lo, s15
.LBB4_1131:                             ;   in Loop: Header=BB4_129 Depth=2
	s_delay_alu instid0(SALU_CYCLE_1)
	s_or_b32 exec_lo, exec_lo, s14
.LBB4_1132:                             ;   in Loop: Header=BB4_129 Depth=2
	s_delay_alu instid0(SALU_CYCLE_1) | instskip(NEXT) | instid1(VALU_DEP_1)
	s_or_b32 exec_lo, exec_lo, s10
	v_dual_max_num_f32 v3, v3, v3 :: v_dual_max_num_f32 v0, v0, v0
	s_delay_alu instid0(VALU_DEP_1)
	v_min_num_f32_e32 v19, v0, v3
.LBB4_1133:                             ;   in Loop: Header=BB4_129 Depth=2
	s_delay_alu instid0(VALU_DEP_1) | instskip(SKIP_3) | instid1(VALU_DEP_2)
	v_and_b32_e32 v20, 0x7f800000, v19
	v_dual_mov_b32 v21, v55 :: v_dual_lshrrev_b32 v3, 24, v19
	v_and_b32_e32 v54, 0x7fffff, v19
                                        ; implicit-def: $vgpr0
	s_mov_b32 s10, exec_lo
	v_cmpx_ne_u64_e32 0x7f800000, v[20:21]
	s_xor_b32 s14, exec_lo, s10
	s_cbranch_execz .LBB4_1147
; %bb.1134:                             ;   in Loop: Header=BB4_129 Depth=2
	v_and_b32_e32 v20, 0x7fffffff, v19
	v_mov_b32_e32 v21, v55
	v_and_b32_e32 v3, 0x80, v3
                                        ; implicit-def: $vgpr0
	s_mov_b32 s10, exec_lo
	s_delay_alu instid0(VALU_DEP_2)
	v_cmpx_gt_u64_e32 0x47600001, v[20:21]
	s_xor_b32 s15, exec_lo, s10
	s_cbranch_execz .LBB4_1144
; %bb.1135:                             ;   in Loop: Header=BB4_129 Depth=2
	v_mov_b32_e32 v0, 0
	s_mov_b32 s42, exec_lo
	v_cmpx_ne_u32_e32 0, v19
	s_cbranch_execz .LBB4_1143
; %bb.1136:                             ;   in Loop: Header=BB4_129 Depth=2
	v_bfe_u32 v0, v19, 23, 8
	v_or_b32_e32 v20, 0x800000, v54
	s_delay_alu instid0(VALU_DEP_2) | instskip(SKIP_1) | instid1(VALU_DEP_2)
	v_sub_nc_u32_e32 v18, 0x71, v0
	v_cmp_gt_u32_e32 vcc_lo, 0x72, v0
	v_cndmask_b32_e32 v18, 0, v18, vcc_lo
	v_cmp_eq_u32_e32 vcc_lo, 0, v0
	s_delay_alu instid0(VALU_DEP_2) | instskip(SKIP_1) | instid1(VALU_DEP_2)
	v_cndmask_b32_e64 v22, v18, 0x70, vcc_lo
	v_cndmask_b32_e32 v54, v20, v54, vcc_lo
	v_dual_add_nc_u32 v18, 21, v22 :: v_dual_add_nc_u32 v21, 20, v22
	s_delay_alu instid0(VALU_DEP_1) | instskip(NEXT) | instid1(VALU_DEP_2)
	v_lshlrev_b64_e64 v[18:19], v18, -1
	v_lshlrev_b64_e64 v[20:21], v21, 1
	s_delay_alu instid0(VALU_DEP_2) | instskip(NEXT) | instid1(VALU_DEP_3)
	v_bfi_b32 v25, v19, 0, 0
	v_bfi_b32 v24, v18, 0, v54
	v_lshrrev_b64 v[18:19], v22, v[54:55]
	s_delay_alu instid0(VALU_DEP_2) | instskip(NEXT) | instid1(VALU_DEP_2)
	v_cmp_eq_u64_e64 s10, v[24:25], v[20:21]
	v_mov_b64_e32 v[20:21], v[18:19]
	s_and_saveexec_b32 s43, s10
; %bb.1137:                             ;   in Loop: Header=BB4_129 Depth=2
	v_bfe_u32 v54, v18, 21, 1
	s_delay_alu instid0(VALU_DEP_1) | instskip(NEXT) | instid1(VALU_DEP_1)
	v_add_nc_u64_e32 v[20:21], v[18:19], v[54:55]
	v_add_nc_u64_e32 v[20:21], -1, v[20:21]
; %bb.1138:                             ;   in Loop: Header=BB4_129 Depth=2
	s_or_b32 exec_lo, exec_lo, s43
	v_add_nc_u32_e32 v0, 0xffffff81, v0
	v_lshrrev_b32_e32 v19, 23, v18
	s_mov_b32 s10, exec_lo
	s_delay_alu instid0(VALU_DEP_2) | instskip(NEXT) | instid1(VALU_DEP_1)
	v_cndmask_b32_e64 v0, v0, 0xffffff82, vcc_lo
	v_add3_u32 v21, v22, v0, v19
	v_and_b32_e32 v0, 0x1fffff, v20
	s_delay_alu instid0(VALU_DEP_1) | instskip(NEXT) | instid1(VALU_DEP_1)
	v_dual_add_nc_u32 v20, 14, v21 :: v_dual_add_nc_u32 v54, v0, v18
                                        ; implicit-def: $vgpr18_vgpr19
                                        ; implicit-def: $vgpr0
	v_cmpx_ne_u32_e32 0, v20
	s_xor_b32 s10, exec_lo, s10
; %bb.1139:                             ;   in Loop: Header=BB4_129 Depth=2
	s_delay_alu instid0(VALU_DEP_2) | instskip(SKIP_2) | instid1(VALU_DEP_2)
	v_cmp_lt_u64_e32 vcc_lo, 0xffffff, v[54:55]
	v_add_nc_u32_e32 v0, 15, v21
	v_cndmask_b32_e64 v18, 0, 1, vcc_lo
	v_cndmask_b32_e32 v0, v20, v0, vcc_lo
	s_delay_alu instid0(VALU_DEP_2)
	v_lshrrev_b64 v[18:19], v18, v[54:55]
; %bb.1140:                             ;   in Loop: Header=BB4_129 Depth=2
	s_and_not1_saveexec_b32 s10, s10
; %bb.1141:                             ;   in Loop: Header=BB4_129 Depth=2
	v_mov_b64_e32 v[18:19], v[54:55]
	v_bfe_u32 v0, v54, 23, 1
; %bb.1142:                             ;   in Loop: Header=BB4_129 Depth=2
	s_or_b32 exec_lo, exec_lo, s10
	s_delay_alu instid0(VALU_DEP_2) | instskip(NEXT) | instid1(VALU_DEP_2)
	v_lshrrev_b64 v[18:19], 21, v[18:19]
	v_cmp_gt_i32_e32 vcc_lo, 32, v0
	v_min_i32_e32 v20, 31, v0
	v_cmp_eq_u32_e64 s10, 0, v0
	s_delay_alu instid0(VALU_DEP_2) | instskip(SKIP_1) | instid1(VALU_DEP_2)
	v_dual_cndmask_b32 v19, 0, v19 :: v_dual_lshlrev_b32 v20, 2, v20
	v_cndmask_b32_e32 v18, 3, v18, vcc_lo
	v_and_b32_e32 v20, 0xfc, v20
	s_delay_alu instid0(VALU_DEP_2) | instskip(NEXT) | instid1(VALU_DEP_2)
	v_cmp_eq_u64_e32 vcc_lo, 0, v[18:19]
	v_and_or_b32 v0, v18, 3, v20
	s_and_b32 s10, s10, vcc_lo
	s_delay_alu instid0(VALU_DEP_1) | instid1(SALU_CYCLE_1)
	v_cndmask_b32_e64 v0, v0, 0, s10
	s_delay_alu instid0(VALU_DEP_1)
	v_or_b32_e32 v0, v0, v3
.LBB4_1143:                             ;   in Loop: Header=BB4_129 Depth=2
	s_or_b32 exec_lo, exec_lo, s42
                                        ; implicit-def: $vgpr3
.LBB4_1144:                             ;   in Loop: Header=BB4_129 Depth=2
	s_and_not1_saveexec_b32 s10, s15
; %bb.1145:                             ;   in Loop: Header=BB4_129 Depth=2
	v_or_b32_e32 v0, 0x7b, v3
; %bb.1146:                             ;   in Loop: Header=BB4_129 Depth=2
	s_or_b32 exec_lo, exec_lo, s10
                                        ; implicit-def: $vgpr19
                                        ; implicit-def: $vgpr3
.LBB4_1147:                             ;   in Loop: Header=BB4_129 Depth=2
	s_and_not1_saveexec_b32 s10, s14
	s_cbranch_execz .LBB4_1153
; %bb.1148:                             ;   in Loop: Header=BB4_129 Depth=2
	s_mov_b32 s14, exec_lo
                                        ; implicit-def: $vgpr0
	v_cmpx_ne_u64_e32 0, v[54:55]
	s_xor_b32 s14, exec_lo, s14
; %bb.1149:                             ;   in Loop: Header=BB4_129 Depth=2
	v_or_b32_e32 v0, 0x7f, v3
                                        ; implicit-def: $vgpr19
; %bb.1150:                             ;   in Loop: Header=BB4_129 Depth=2
	s_and_not1_saveexec_b32 s14, s14
; %bb.1151:                             ;   in Loop: Header=BB4_129 Depth=2
	v_cmp_lt_i32_e32 vcc_lo, -1, v19
	v_cndmask_b32_e32 v0, 0xfc, v122, vcc_lo
; %bb.1152:                             ;   in Loop: Header=BB4_129 Depth=2
	s_or_b32 exec_lo, exec_lo, s14
.LBB4_1153:                             ;   in Loop: Header=BB4_129 Depth=2
	s_delay_alu instid0(SALU_CYCLE_1)
	s_or_b32 exec_lo, exec_lo, s10
	s_wait_loadcnt 0x1
	v_and_b32_e32 v19, 0xff, v14
	v_bfe_i32 v18, v14, 0, 8
	s_wait_loadcnt 0x0
	v_bfe_i32 v3, v10, 0, 8
	s_and_not1_b32 vcc_lo, exec_lo, s13
	s_mov_b32 s14, -1
	v_cmp_ne_u16_e64 s10, 0, v19
                                        ; implicit-def: $vgpr19
	s_cbranch_vccnz .LBB4_1175
; %bb.1154:                             ;   in Loop: Header=BB4_129 Depth=2
	v_dual_mov_b32 v20, 0 :: v_dual_mov_b32 v19, 0
	s_and_saveexec_b32 s14, s10
	s_cbranch_execz .LBB4_1164
; %bb.1155:                             ;   in Loop: Header=BB4_129 Depth=2
	v_bfrev_b32_e32 v19, 1
	s_mov_b32 s15, exec_lo
	v_cmpx_ne_u16_e32 0xff80, v18
	s_cbranch_execz .LBB4_1163
; %bb.1156:                             ;   in Loop: Header=BB4_129 Depth=2
	v_and_b32_e32 v19, 0x7c, v14
	v_and_b32_e32 v21, 3, v14
	s_delay_alu instid0(VALU_DEP_2) | instskip(SKIP_1) | instid1(SALU_CYCLE_1)
	v_cmp_ne_u32_e32 vcc_lo, 0x7c, v19
                                        ; implicit-def: $vgpr19
	s_and_saveexec_b32 s42, vcc_lo
	s_xor_b32 s42, exec_lo, s42
	s_cbranch_execz .LBB4_1160
; %bb.1157:                             ;   in Loop: Header=BB4_129 Depth=2
	v_bfe_u32 v19, v14, 2, 5
	s_mov_b32 s43, exec_lo
	s_delay_alu instid0(VALU_DEP_1)
	v_cmpx_eq_u32_e32 0, v19
; %bb.1158:                             ;   in Loop: Header=BB4_129 Depth=2
	v_clz_i32_u32_e32 v19, v21
	s_delay_alu instid0(VALU_DEP_1) | instskip(NEXT) | instid1(VALU_DEP_1)
	v_min_u32_e32 v19, 32, v19
	v_subrev_nc_u32_e32 v21, 29, v19
	s_delay_alu instid0(VALU_DEP_1) | instskip(NEXT) | instid1(VALU_DEP_1)
	v_lshlrev_b64_e32 v[22:23], v21, v[14:15]
	v_dual_sub_nc_u32 v19, 30, v19 :: v_dual_bitop2_b32 v21, 3, v22 bitop3:0x40
; %bb.1159:                             ;   in Loop: Header=BB4_129 Depth=2
	s_or_b32 exec_lo, exec_lo, s43
	v_lshlrev_b32_e32 v22, 24, v14
	s_delay_alu instid0(VALU_DEP_1) | instskip(NEXT) | instid1(VALU_DEP_1)
	v_and_b32_e32 v22, 0x80000000, v22
	v_lshl_add_u32 v19, v19, 23, v22
	s_delay_alu instid0(VALU_DEP_1) | instskip(NEXT) | instid1(VALU_DEP_1)
	v_lshl_or_b32 v19, v21, 21, v19
                                        ; implicit-def: $vgpr21
	v_add_nc_u32_e32 v19, 0x38000000, v19
.LBB4_1160:                             ;   in Loop: Header=BB4_129 Depth=2
	s_and_not1_saveexec_b32 s42, s42
; %bb.1161:                             ;   in Loop: Header=BB4_129 Depth=2
	v_cmp_lt_i16_e32 vcc_lo, -1, v18
	v_cndmask_b32_e32 v19, 0xff800000, v126, vcc_lo
	v_cmp_eq_u32_e32 vcc_lo, 0, v21
	s_delay_alu instid0(VALU_DEP_2)
	v_cndmask_b32_e32 v19, 0x7f800001, v19, vcc_lo
; %bb.1162:                             ;   in Loop: Header=BB4_129 Depth=2
	s_or_b32 exec_lo, exec_lo, s42
.LBB4_1163:                             ;   in Loop: Header=BB4_129 Depth=2
	s_delay_alu instid0(SALU_CYCLE_1)
	s_or_b32 exec_lo, exec_lo, s15
.LBB4_1164:                             ;   in Loop: Header=BB4_129 Depth=2
	s_delay_alu instid0(SALU_CYCLE_1) | instskip(NEXT) | instid1(SALU_CYCLE_1)
	s_or_b32 exec_lo, exec_lo, s14
	s_mov_b32 s14, exec_lo
	v_cmpx_ne_u16_e32 0, v3
	s_cbranch_execz .LBB4_1174
; %bb.1165:                             ;   in Loop: Header=BB4_129 Depth=2
	v_bfrev_b32_e32 v20, 1
	s_mov_b32 s15, exec_lo
	v_cmpx_ne_u16_e32 0xff80, v3
	s_cbranch_execz .LBB4_1173
; %bb.1166:                             ;   in Loop: Header=BB4_129 Depth=2
	v_and_b32_e32 v20, 0x7c, v10
	v_and_b32_e32 v21, 3, v10
	s_delay_alu instid0(VALU_DEP_2) | instskip(SKIP_1) | instid1(SALU_CYCLE_1)
	v_cmp_ne_u32_e32 vcc_lo, 0x7c, v20
                                        ; implicit-def: $vgpr20
	s_and_saveexec_b32 s42, vcc_lo
	s_xor_b32 s42, exec_lo, s42
	s_cbranch_execz .LBB4_1170
; %bb.1167:                             ;   in Loop: Header=BB4_129 Depth=2
	v_bfe_u32 v20, v10, 2, 5
	s_mov_b32 s43, exec_lo
	s_delay_alu instid0(VALU_DEP_1)
	v_cmpx_eq_u32_e32 0, v20
; %bb.1168:                             ;   in Loop: Header=BB4_129 Depth=2
	v_clz_i32_u32_e32 v20, v21
	s_delay_alu instid0(VALU_DEP_1) | instskip(NEXT) | instid1(VALU_DEP_1)
	v_min_u32_e32 v20, 32, v20
	v_subrev_nc_u32_e32 v21, 29, v20
	s_delay_alu instid0(VALU_DEP_1) | instskip(NEXT) | instid1(VALU_DEP_1)
	v_lshlrev_b64_e32 v[22:23], v21, v[10:11]
	v_dual_sub_nc_u32 v20, 30, v20 :: v_dual_bitop2_b32 v21, 3, v22 bitop3:0x40
; %bb.1169:                             ;   in Loop: Header=BB4_129 Depth=2
	s_or_b32 exec_lo, exec_lo, s43
	v_lshlrev_b32_e32 v22, 24, v10
	s_delay_alu instid0(VALU_DEP_1) | instskip(NEXT) | instid1(VALU_DEP_1)
	v_and_b32_e32 v22, 0x80000000, v22
	v_lshl_add_u32 v20, v20, 23, v22
	s_delay_alu instid0(VALU_DEP_1) | instskip(NEXT) | instid1(VALU_DEP_1)
	v_lshl_or_b32 v20, v21, 21, v20
                                        ; implicit-def: $vgpr21
	v_add_nc_u32_e32 v20, 0x38000000, v20
.LBB4_1170:                             ;   in Loop: Header=BB4_129 Depth=2
	s_and_not1_saveexec_b32 s42, s42
; %bb.1171:                             ;   in Loop: Header=BB4_129 Depth=2
	v_cmp_lt_i16_e32 vcc_lo, -1, v3
	v_cndmask_b32_e32 v20, 0xff800000, v126, vcc_lo
	v_cmp_eq_u32_e32 vcc_lo, 0, v21
	s_delay_alu instid0(VALU_DEP_2)
	v_cndmask_b32_e32 v20, 0x7f800001, v20, vcc_lo
; %bb.1172:                             ;   in Loop: Header=BB4_129 Depth=2
	s_or_b32 exec_lo, exec_lo, s42
.LBB4_1173:                             ;   in Loop: Header=BB4_129 Depth=2
	s_delay_alu instid0(SALU_CYCLE_1)
	s_or_b32 exec_lo, exec_lo, s15
.LBB4_1174:                             ;   in Loop: Header=BB4_129 Depth=2
	s_delay_alu instid0(SALU_CYCLE_1) | instskip(NEXT) | instid1(VALU_DEP_1)
	s_or_b32 exec_lo, exec_lo, s14
	v_dual_max_num_f32 v20, v20, v20 :: v_dual_max_num_f32 v19, v19, v19
	s_mov_b32 s14, 0
	s_delay_alu instid0(VALU_DEP_1)
	v_max_num_f32_e32 v19, v19, v20
.LBB4_1175:                             ;   in Loop: Header=BB4_129 Depth=2
	s_and_b32 vcc_lo, exec_lo, s14
	s_cbranch_vccz .LBB4_1197
; %bb.1176:                             ;   in Loop: Header=BB4_129 Depth=2
	v_dual_mov_b32 v20, 0 :: v_dual_mov_b32 v19, 0
	s_and_saveexec_b32 s14, s10
	s_cbranch_execz .LBB4_1186
; %bb.1177:                             ;   in Loop: Header=BB4_129 Depth=2
	v_bfrev_b32_e32 v19, 1
	s_mov_b32 s10, exec_lo
	v_cmpx_ne_u16_e32 0xff80, v18
	s_cbranch_execz .LBB4_1185
; %bb.1178:                             ;   in Loop: Header=BB4_129 Depth=2
	v_and_b32_e32 v19, 0x7c, v14
	v_and_b32_e32 v21, 3, v14
	s_delay_alu instid0(VALU_DEP_2) | instskip(SKIP_1) | instid1(SALU_CYCLE_1)
	v_cmp_ne_u32_e32 vcc_lo, 0x7c, v19
                                        ; implicit-def: $vgpr19
	s_and_saveexec_b32 s15, vcc_lo
	s_xor_b32 s15, exec_lo, s15
	s_cbranch_execz .LBB4_1182
; %bb.1179:                             ;   in Loop: Header=BB4_129 Depth=2
	v_bfe_u32 v18, v14, 2, 5
	s_mov_b32 s42, exec_lo
	s_delay_alu instid0(VALU_DEP_1)
	v_cmpx_eq_u32_e32 0, v18
; %bb.1180:                             ;   in Loop: Header=BB4_129 Depth=2
	v_clz_i32_u32_e32 v18, v21
	s_delay_alu instid0(VALU_DEP_1) | instskip(NEXT) | instid1(VALU_DEP_1)
	v_min_u32_e32 v18, 32, v18
	v_subrev_nc_u32_e32 v19, 29, v18
	v_sub_nc_u32_e32 v18, 30, v18
	s_delay_alu instid0(VALU_DEP_2) | instskip(NEXT) | instid1(VALU_DEP_1)
	v_lshlrev_b64_e32 v[22:23], v19, v[14:15]
	v_and_b32_e32 v21, 3, v22
; %bb.1181:                             ;   in Loop: Header=BB4_129 Depth=2
	s_or_b32 exec_lo, exec_lo, s42
	v_lshlrev_b32_e32 v19, 24, v14
	s_delay_alu instid0(VALU_DEP_1) | instskip(NEXT) | instid1(VALU_DEP_1)
	v_and_b32_e32 v19, 0x80000000, v19
	v_lshl_add_u32 v18, v18, 23, v19
	s_delay_alu instid0(VALU_DEP_1) | instskip(NEXT) | instid1(VALU_DEP_1)
	v_lshl_or_b32 v18, v21, 21, v18
                                        ; implicit-def: $vgpr21
	v_add_nc_u32_e32 v19, 0x38000000, v18
                                        ; implicit-def: $vgpr18
.LBB4_1182:                             ;   in Loop: Header=BB4_129 Depth=2
	s_and_not1_saveexec_b32 s15, s15
; %bb.1183:                             ;   in Loop: Header=BB4_129 Depth=2
	v_cmp_lt_i16_e32 vcc_lo, -1, v18
	v_cndmask_b32_e32 v18, 0xff800000, v126, vcc_lo
	v_cmp_eq_u32_e32 vcc_lo, 0, v21
	s_delay_alu instid0(VALU_DEP_2)
	v_cndmask_b32_e32 v19, 0x7f800001, v18, vcc_lo
; %bb.1184:                             ;   in Loop: Header=BB4_129 Depth=2
	s_or_b32 exec_lo, exec_lo, s15
.LBB4_1185:                             ;   in Loop: Header=BB4_129 Depth=2
	s_delay_alu instid0(SALU_CYCLE_1)
	s_or_b32 exec_lo, exec_lo, s10
.LBB4_1186:                             ;   in Loop: Header=BB4_129 Depth=2
	s_delay_alu instid0(SALU_CYCLE_1) | instskip(NEXT) | instid1(SALU_CYCLE_1)
	s_or_b32 exec_lo, exec_lo, s14
	s_mov_b32 s10, exec_lo
	v_cmpx_ne_u16_e32 0, v3
	s_cbranch_execz .LBB4_1196
; %bb.1187:                             ;   in Loop: Header=BB4_129 Depth=2
	v_bfrev_b32_e32 v20, 1
	s_mov_b32 s14, exec_lo
	v_cmpx_ne_u16_e32 0xff80, v3
	s_cbranch_execz .LBB4_1195
; %bb.1188:                             ;   in Loop: Header=BB4_129 Depth=2
	v_and_b32_e32 v20, 0x7c, v10
	v_and_b32_e32 v18, 3, v10
	s_delay_alu instid0(VALU_DEP_2) | instskip(SKIP_1) | instid1(SALU_CYCLE_1)
	v_cmp_ne_u32_e32 vcc_lo, 0x7c, v20
                                        ; implicit-def: $vgpr20
	s_and_saveexec_b32 s15, vcc_lo
	s_xor_b32 s15, exec_lo, s15
	s_cbranch_execz .LBB4_1192
; %bb.1189:                             ;   in Loop: Header=BB4_129 Depth=2
	v_bfe_u32 v3, v10, 2, 5
	s_mov_b32 s42, exec_lo
	s_delay_alu instid0(VALU_DEP_1)
	v_cmpx_eq_u32_e32 0, v3
; %bb.1190:                             ;   in Loop: Header=BB4_129 Depth=2
	v_clz_i32_u32_e32 v3, v18
	s_delay_alu instid0(VALU_DEP_1) | instskip(NEXT) | instid1(VALU_DEP_1)
	v_min_u32_e32 v3, 32, v3
	v_subrev_nc_u32_e32 v18, 29, v3
	s_delay_alu instid0(VALU_DEP_1) | instskip(NEXT) | instid1(VALU_DEP_1)
	v_lshlrev_b64_e32 v[20:21], v18, v[10:11]
	v_dual_sub_nc_u32 v3, 30, v3 :: v_dual_bitop2_b32 v18, 3, v20 bitop3:0x40
; %bb.1191:                             ;   in Loop: Header=BB4_129 Depth=2
	s_or_b32 exec_lo, exec_lo, s42
	v_lshlrev_b32_e32 v20, 24, v10
	s_delay_alu instid0(VALU_DEP_1) | instskip(NEXT) | instid1(VALU_DEP_1)
	v_and_b32_e32 v20, 0x80000000, v20
	v_lshl_add_u32 v3, v3, 23, v20
	s_delay_alu instid0(VALU_DEP_1) | instskip(NEXT) | instid1(VALU_DEP_1)
	v_lshl_or_b32 v3, v18, 21, v3
                                        ; implicit-def: $vgpr18
	v_add_nc_u32_e32 v20, 0x38000000, v3
                                        ; implicit-def: $vgpr3
.LBB4_1192:                             ;   in Loop: Header=BB4_129 Depth=2
	s_and_not1_saveexec_b32 s15, s15
; %bb.1193:                             ;   in Loop: Header=BB4_129 Depth=2
	v_cmp_lt_i16_e32 vcc_lo, -1, v3
	v_cndmask_b32_e32 v3, 0xff800000, v126, vcc_lo
	v_cmp_eq_u32_e32 vcc_lo, 0, v18
	s_delay_alu instid0(VALU_DEP_2)
	v_cndmask_b32_e32 v20, 0x7f800001, v3, vcc_lo
; %bb.1194:                             ;   in Loop: Header=BB4_129 Depth=2
	s_or_b32 exec_lo, exec_lo, s15
.LBB4_1195:                             ;   in Loop: Header=BB4_129 Depth=2
	s_delay_alu instid0(SALU_CYCLE_1)
	s_or_b32 exec_lo, exec_lo, s14
.LBB4_1196:                             ;   in Loop: Header=BB4_129 Depth=2
	s_delay_alu instid0(SALU_CYCLE_1) | instskip(NEXT) | instid1(VALU_DEP_1)
	s_or_b32 exec_lo, exec_lo, s10
	v_dual_max_num_f32 v3, v20, v20 :: v_dual_max_num_f32 v18, v19, v19
	s_delay_alu instid0(VALU_DEP_1)
	v_min_num_f32_e32 v19, v18, v3
.LBB4_1197:                             ;   in Loop: Header=BB4_129 Depth=2
	s_delay_alu instid0(VALU_DEP_1) | instskip(SKIP_3) | instid1(VALU_DEP_2)
	v_and_b32_e32 v20, 0x7f800000, v19
	v_dual_mov_b32 v21, v55 :: v_dual_lshrrev_b32 v18, 24, v19
	v_and_b32_e32 v54, 0x7fffff, v19
                                        ; implicit-def: $vgpr3
	s_mov_b32 s10, exec_lo
	v_cmpx_ne_u64_e32 0x7f800000, v[20:21]
	s_xor_b32 s14, exec_lo, s10
	s_cbranch_execz .LBB4_1211
; %bb.1198:                             ;   in Loop: Header=BB4_129 Depth=2
	v_and_b32_e32 v20, 0x7fffffff, v19
	v_mov_b32_e32 v21, v55
	v_and_b32_e32 v22, 0x80, v18
                                        ; implicit-def: $vgpr3
	s_mov_b32 s10, exec_lo
	s_delay_alu instid0(VALU_DEP_2)
	v_cmpx_gt_u64_e32 0x47600001, v[20:21]
	s_xor_b32 s15, exec_lo, s10
	s_cbranch_execz .LBB4_1208
; %bb.1199:                             ;   in Loop: Header=BB4_129 Depth=2
	v_mov_b32_e32 v3, 0
	s_mov_b32 s42, exec_lo
	v_cmpx_ne_u32_e32 0, v19
	s_cbranch_execz .LBB4_1207
; %bb.1200:                             ;   in Loop: Header=BB4_129 Depth=2
	v_bfe_u32 v3, v19, 23, 8
	v_or_b32_e32 v20, 0x800000, v54
	s_delay_alu instid0(VALU_DEP_2) | instskip(SKIP_1) | instid1(VALU_DEP_2)
	v_sub_nc_u32_e32 v18, 0x71, v3
	v_cmp_gt_u32_e32 vcc_lo, 0x72, v3
	v_cndmask_b32_e32 v18, 0, v18, vcc_lo
	v_cmp_eq_u32_e32 vcc_lo, 0, v3
	s_delay_alu instid0(VALU_DEP_2) | instskip(NEXT) | instid1(VALU_DEP_1)
	v_cndmask_b32_e64 v23, v18, 0x70, vcc_lo
	v_dual_cndmask_b32 v54, v20, v54, vcc_lo :: v_dual_add_nc_u32 v18, 21, v23
	v_add_nc_u32_e32 v21, 20, v23
	s_delay_alu instid0(VALU_DEP_2) | instskip(NEXT) | instid1(VALU_DEP_2)
	v_lshlrev_b64_e64 v[18:19], v18, -1
	v_lshlrev_b64_e64 v[20:21], v21, 1
	s_delay_alu instid0(VALU_DEP_2) | instskip(NEXT) | instid1(VALU_DEP_3)
	v_bfi_b32 v25, v19, 0, 0
	v_bfi_b32 v24, v18, 0, v54
	v_lshrrev_b64 v[18:19], v23, v[54:55]
	s_delay_alu instid0(VALU_DEP_2) | instskip(NEXT) | instid1(VALU_DEP_2)
	v_cmp_eq_u64_e64 s10, v[24:25], v[20:21]
	v_mov_b64_e32 v[20:21], v[18:19]
	s_and_saveexec_b32 s43, s10
; %bb.1201:                             ;   in Loop: Header=BB4_129 Depth=2
	v_bfe_u32 v54, v18, 21, 1
	s_delay_alu instid0(VALU_DEP_1) | instskip(NEXT) | instid1(VALU_DEP_1)
	v_add_nc_u64_e32 v[20:21], v[18:19], v[54:55]
	v_add_nc_u64_e32 v[20:21], -1, v[20:21]
; %bb.1202:                             ;   in Loop: Header=BB4_129 Depth=2
	s_or_b32 exec_lo, exec_lo, s43
	v_add_nc_u32_e32 v3, 0xffffff81, v3
	v_lshrrev_b32_e32 v19, 23, v18
	s_mov_b32 s10, exec_lo
	s_delay_alu instid0(VALU_DEP_2) | instskip(NEXT) | instid1(VALU_DEP_1)
	v_cndmask_b32_e64 v3, v3, 0xffffff82, vcc_lo
	v_add3_u32 v21, v23, v3, v19
	v_and_b32_e32 v3, 0x1fffff, v20
	s_delay_alu instid0(VALU_DEP_1) | instskip(NEXT) | instid1(VALU_DEP_1)
	v_dual_add_nc_u32 v20, 14, v21 :: v_dual_add_nc_u32 v54, v3, v18
                                        ; implicit-def: $vgpr18_vgpr19
                                        ; implicit-def: $vgpr3
	v_cmpx_ne_u32_e32 0, v20
	s_xor_b32 s10, exec_lo, s10
; %bb.1203:                             ;   in Loop: Header=BB4_129 Depth=2
	s_delay_alu instid0(VALU_DEP_2) | instskip(SKIP_2) | instid1(VALU_DEP_2)
	v_cmp_lt_u64_e32 vcc_lo, 0xffffff, v[54:55]
	v_add_nc_u32_e32 v3, 15, v21
	v_cndmask_b32_e64 v18, 0, 1, vcc_lo
	v_cndmask_b32_e32 v3, v20, v3, vcc_lo
	s_delay_alu instid0(VALU_DEP_2)
	v_lshrrev_b64 v[18:19], v18, v[54:55]
; %bb.1204:                             ;   in Loop: Header=BB4_129 Depth=2
	s_and_not1_saveexec_b32 s10, s10
; %bb.1205:                             ;   in Loop: Header=BB4_129 Depth=2
	v_mov_b64_e32 v[18:19], v[54:55]
	v_bfe_u32 v3, v54, 23, 1
; %bb.1206:                             ;   in Loop: Header=BB4_129 Depth=2
	s_or_b32 exec_lo, exec_lo, s10
	s_delay_alu instid0(VALU_DEP_2) | instskip(NEXT) | instid1(VALU_DEP_2)
	v_lshrrev_b64 v[18:19], 21, v[18:19]
	v_cmp_gt_i32_e32 vcc_lo, 32, v3
	v_min_i32_e32 v20, 31, v3
	v_cmp_eq_u32_e64 s10, 0, v3
	s_delay_alu instid0(VALU_DEP_2) | instskip(SKIP_1) | instid1(VALU_DEP_2)
	v_dual_cndmask_b32 v18, 3, v18, vcc_lo :: v_dual_lshlrev_b32 v20, 2, v20
	v_cndmask_b32_e32 v19, 0, v19, vcc_lo
	v_and_b32_e32 v20, 0xfc, v20
	s_delay_alu instid0(VALU_DEP_2) | instskip(NEXT) | instid1(VALU_DEP_2)
	v_cmp_eq_u64_e32 vcc_lo, 0, v[18:19]
	v_and_or_b32 v3, v18, 3, v20
	s_and_b32 s10, s10, vcc_lo
	s_delay_alu instid0(VALU_DEP_1) | instid1(SALU_CYCLE_1)
	v_cndmask_b32_e64 v3, v3, 0, s10
	s_delay_alu instid0(VALU_DEP_1)
	v_or_b32_e32 v3, v3, v22
.LBB4_1207:                             ;   in Loop: Header=BB4_129 Depth=2
	s_or_b32 exec_lo, exec_lo, s42
                                        ; implicit-def: $vgpr22
.LBB4_1208:                             ;   in Loop: Header=BB4_129 Depth=2
	s_and_not1_saveexec_b32 s10, s15
; %bb.1209:                             ;   in Loop: Header=BB4_129 Depth=2
	v_or_b32_e32 v3, 0x7b, v22
; %bb.1210:                             ;   in Loop: Header=BB4_129 Depth=2
	s_or_b32 exec_lo, exec_lo, s10
                                        ; implicit-def: $vgpr19
                                        ; implicit-def: $vgpr18
.LBB4_1211:                             ;   in Loop: Header=BB4_129 Depth=2
	s_and_not1_saveexec_b32 s10, s14
	s_cbranch_execz .LBB4_1217
; %bb.1212:                             ;   in Loop: Header=BB4_129 Depth=2
	s_mov_b32 s14, exec_lo
                                        ; implicit-def: $vgpr3
	v_cmpx_ne_u64_e32 0, v[54:55]
	s_xor_b32 s14, exec_lo, s14
; %bb.1213:                             ;   in Loop: Header=BB4_129 Depth=2
	v_or_b32_e32 v3, 0x7f, v18
                                        ; implicit-def: $vgpr19
; %bb.1214:                             ;   in Loop: Header=BB4_129 Depth=2
	s_and_not1_saveexec_b32 s14, s14
; %bb.1215:                             ;   in Loop: Header=BB4_129 Depth=2
	v_cmp_lt_i32_e32 vcc_lo, -1, v19
	v_cndmask_b32_e32 v3, 0xfc, v122, vcc_lo
; %bb.1216:                             ;   in Loop: Header=BB4_129 Depth=2
	s_or_b32 exec_lo, exec_lo, s14
.LBB4_1217:                             ;   in Loop: Header=BB4_129 Depth=2
	s_delay_alu instid0(SALU_CYCLE_1) | instskip(SKIP_4) | instid1(VALU_DEP_2)
	s_or_b32 exec_lo, exec_lo, s10
	v_lshrrev_b16 v54, 8, v14
	v_lshrrev_b16 v18, 8, v10
	s_and_not1_b32 vcc_lo, exec_lo, s13
	s_mov_b32 s14, -1
                                        ; implicit-def: $vgpr19
	v_and_b32_e32 v20, 0xffff, v54
	v_cmp_ne_u16_e64 s10, 0, v54
	s_cbranch_vccnz .LBB4_1239
; %bb.1218:                             ;   in Loop: Header=BB4_129 Depth=2
	v_dual_mov_b32 v19, 0 :: v_dual_mov_b32 v21, 0
	s_and_saveexec_b32 s14, s10
	s_cbranch_execz .LBB4_1228
; %bb.1219:                             ;   in Loop: Header=BB4_129 Depth=2
	v_bfrev_b32_e32 v21, 1
	s_mov_b32 s15, exec_lo
	v_cmpx_ne_u16_e32 0x80, v54
	s_cbranch_execz .LBB4_1227
; %bb.1220:                             ;   in Loop: Header=BB4_129 Depth=2
	v_and_b32_e32 v21, 0x7c, v20
	v_and_b32_e32 v22, 3, v20
	s_delay_alu instid0(VALU_DEP_2) | instskip(SKIP_1) | instid1(SALU_CYCLE_1)
	v_cmp_ne_u32_e32 vcc_lo, 0x7c, v21
                                        ; implicit-def: $vgpr21
	s_and_saveexec_b32 s42, vcc_lo
	s_xor_b32 s42, exec_lo, s42
	s_cbranch_execz .LBB4_1224
; %bb.1221:                             ;   in Loop: Header=BB4_129 Depth=2
	v_bfe_u32 v21, v20, 2, 5
	s_mov_b32 s43, exec_lo
	s_delay_alu instid0(VALU_DEP_1)
	v_cmpx_eq_u32_e32 0, v21
; %bb.1222:                             ;   in Loop: Header=BB4_129 Depth=2
	v_clz_i32_u32_e32 v21, v22
	s_delay_alu instid0(VALU_DEP_1) | instskip(NEXT) | instid1(VALU_DEP_1)
	v_min_u32_e32 v21, 32, v21
	v_subrev_nc_u32_e32 v22, 29, v21
	s_delay_alu instid0(VALU_DEP_1) | instskip(NEXT) | instid1(VALU_DEP_1)
	v_lshlrev_b64_e32 v[22:23], v22, v[54:55]
	v_dual_sub_nc_u32 v21, 30, v21 :: v_dual_bitop2_b32 v22, 3, v22 bitop3:0x40
; %bb.1223:                             ;   in Loop: Header=BB4_129 Depth=2
	s_or_b32 exec_lo, exec_lo, s43
	v_lshlrev_b32_e32 v23, 16, v14
	s_delay_alu instid0(VALU_DEP_1) | instskip(NEXT) | instid1(VALU_DEP_1)
	v_and_b32_e32 v23, 0x80000000, v23
	v_lshl_add_u32 v21, v21, 23, v23
	s_delay_alu instid0(VALU_DEP_1) | instskip(NEXT) | instid1(VALU_DEP_1)
	v_lshl_or_b32 v21, v22, 21, v21
                                        ; implicit-def: $vgpr22
	v_add_nc_u32_e32 v21, 0x38000000, v21
.LBB4_1224:                             ;   in Loop: Header=BB4_129 Depth=2
	s_and_not1_saveexec_b32 s42, s42
; %bb.1225:                             ;   in Loop: Header=BB4_129 Depth=2
	v_cmp_lt_i16_e32 vcc_lo, -1, v14
	v_cndmask_b32_e32 v21, 0xff800000, v126, vcc_lo
	v_cmp_eq_u32_e32 vcc_lo, 0, v22
	s_delay_alu instid0(VALU_DEP_2)
	v_cndmask_b32_e32 v21, 0x7f800001, v21, vcc_lo
; %bb.1226:                             ;   in Loop: Header=BB4_129 Depth=2
	s_or_b32 exec_lo, exec_lo, s42
.LBB4_1227:                             ;   in Loop: Header=BB4_129 Depth=2
	s_delay_alu instid0(SALU_CYCLE_1)
	s_or_b32 exec_lo, exec_lo, s15
.LBB4_1228:                             ;   in Loop: Header=BB4_129 Depth=2
	s_delay_alu instid0(SALU_CYCLE_1) | instskip(NEXT) | instid1(SALU_CYCLE_1)
	s_or_b32 exec_lo, exec_lo, s14
	s_mov_b32 s14, exec_lo
	v_cmpx_ne_u16_e32 0, v18
	s_cbranch_execz .LBB4_1238
; %bb.1229:                             ;   in Loop: Header=BB4_129 Depth=2
	v_bfrev_b32_e32 v19, 1
	s_mov_b32 s15, exec_lo
	v_cmpx_ne_u16_e32 0x80, v18
	s_cbranch_execz .LBB4_1237
; %bb.1230:                             ;   in Loop: Header=BB4_129 Depth=2
	v_and_b32_e32 v23, 0xffff, v18
	s_delay_alu instid0(VALU_DEP_1) | instskip(SKIP_1) | instid1(VALU_DEP_2)
	v_and_b32_e32 v19, 0x7c, v23
	v_and_b32_e32 v22, 3, v23
	v_cmp_ne_u32_e32 vcc_lo, 0x7c, v19
                                        ; implicit-def: $vgpr19
	s_and_saveexec_b32 s42, vcc_lo
	s_delay_alu instid0(SALU_CYCLE_1)
	s_xor_b32 s42, exec_lo, s42
	s_cbranch_execz .LBB4_1234
; %bb.1231:                             ;   in Loop: Header=BB4_129 Depth=2
	v_bfe_u32 v19, v23, 2, 5
	s_mov_b32 s43, exec_lo
	s_delay_alu instid0(VALU_DEP_1)
	v_cmpx_eq_u32_e32 0, v19
; %bb.1232:                             ;   in Loop: Header=BB4_129 Depth=2
	v_clz_i32_u32_e32 v19, v22
	s_delay_alu instid0(VALU_DEP_1) | instskip(SKIP_1) | instid1(VALU_DEP_2)
	v_min_u32_e32 v24, 32, v19
	v_mov_b32_e32 v19, v55
	v_subrev_nc_u32_e32 v22, 29, v24
	s_delay_alu instid0(VALU_DEP_1) | instskip(NEXT) | instid1(VALU_DEP_1)
	v_lshlrev_b64_e32 v[22:23], v22, v[18:19]
	v_dual_sub_nc_u32 v19, 30, v24 :: v_dual_bitop2_b32 v22, 3, v22 bitop3:0x40
; %bb.1233:                             ;   in Loop: Header=BB4_129 Depth=2
	s_or_b32 exec_lo, exec_lo, s43
	v_lshlrev_b32_e32 v23, 16, v10
	s_delay_alu instid0(VALU_DEP_1) | instskip(NEXT) | instid1(VALU_DEP_1)
	v_and_b32_e32 v23, 0x80000000, v23
	v_lshl_add_u32 v19, v19, 23, v23
	s_delay_alu instid0(VALU_DEP_1) | instskip(NEXT) | instid1(VALU_DEP_1)
	v_lshl_or_b32 v19, v22, 21, v19
                                        ; implicit-def: $vgpr22
	v_add_nc_u32_e32 v19, 0x38000000, v19
.LBB4_1234:                             ;   in Loop: Header=BB4_129 Depth=2
	s_and_not1_saveexec_b32 s42, s42
; %bb.1235:                             ;   in Loop: Header=BB4_129 Depth=2
	v_cmp_lt_i16_e32 vcc_lo, -1, v10
	v_cndmask_b32_e32 v19, 0xff800000, v126, vcc_lo
	v_cmp_eq_u32_e32 vcc_lo, 0, v22
	s_delay_alu instid0(VALU_DEP_2)
	v_cndmask_b32_e32 v19, 0x7f800001, v19, vcc_lo
; %bb.1236:                             ;   in Loop: Header=BB4_129 Depth=2
	s_or_b32 exec_lo, exec_lo, s42
.LBB4_1237:                             ;   in Loop: Header=BB4_129 Depth=2
	s_delay_alu instid0(SALU_CYCLE_1)
	s_or_b32 exec_lo, exec_lo, s15
.LBB4_1238:                             ;   in Loop: Header=BB4_129 Depth=2
	s_delay_alu instid0(SALU_CYCLE_1) | instskip(NEXT) | instid1(VALU_DEP_1)
	s_or_b32 exec_lo, exec_lo, s14
	v_dual_max_num_f32 v19, v19, v19 :: v_dual_max_num_f32 v21, v21, v21
	s_mov_b32 s14, 0
	s_delay_alu instid0(VALU_DEP_1)
	v_max_num_f32_e32 v19, v21, v19
.LBB4_1239:                             ;   in Loop: Header=BB4_129 Depth=2
	s_and_b32 vcc_lo, exec_lo, s14
	s_cbranch_vccz .LBB4_1261
; %bb.1240:                             ;   in Loop: Header=BB4_129 Depth=2
	v_dual_mov_b32 v19, 0 :: v_dual_mov_b32 v21, 0
	s_and_saveexec_b32 s14, s10
	s_cbranch_execz .LBB4_1250
; %bb.1241:                             ;   in Loop: Header=BB4_129 Depth=2
	v_bfrev_b32_e32 v21, 1
	s_mov_b32 s10, exec_lo
	v_cmpx_ne_u16_e32 0x80, v54
	s_cbranch_execz .LBB4_1249
; %bb.1242:                             ;   in Loop: Header=BB4_129 Depth=2
	v_and_b32_e32 v21, 0x7c, v20
	v_and_b32_e32 v22, 3, v20
	s_delay_alu instid0(VALU_DEP_2) | instskip(SKIP_1) | instid1(SALU_CYCLE_1)
	v_cmp_ne_u32_e32 vcc_lo, 0x7c, v21
                                        ; implicit-def: $vgpr21
	s_and_saveexec_b32 s15, vcc_lo
	s_xor_b32 s15, exec_lo, s15
	s_cbranch_execz .LBB4_1246
; %bb.1243:                             ;   in Loop: Header=BB4_129 Depth=2
	v_bfe_u32 v20, v20, 2, 5
	s_mov_b32 s42, exec_lo
	s_delay_alu instid0(VALU_DEP_1)
	v_cmpx_eq_u32_e32 0, v20
; %bb.1244:                             ;   in Loop: Header=BB4_129 Depth=2
	v_clz_i32_u32_e32 v20, v22
	s_delay_alu instid0(VALU_DEP_1) | instskip(NEXT) | instid1(VALU_DEP_1)
	v_min_u32_e32 v20, 32, v20
	v_subrev_nc_u32_e32 v21, 29, v20
	s_delay_alu instid0(VALU_DEP_1) | instskip(NEXT) | instid1(VALU_DEP_1)
	v_lshlrev_b64_e32 v[22:23], v21, v[54:55]
	v_dual_sub_nc_u32 v20, 30, v20 :: v_dual_bitop2_b32 v22, 3, v22 bitop3:0x40
; %bb.1245:                             ;   in Loop: Header=BB4_129 Depth=2
	s_or_b32 exec_lo, exec_lo, s42
	v_lshlrev_b32_e32 v21, 16, v14
	s_delay_alu instid0(VALU_DEP_1) | instskip(NEXT) | instid1(VALU_DEP_1)
	v_and_b32_e32 v21, 0x80000000, v21
	v_lshl_add_u32 v20, v20, 23, v21
	s_delay_alu instid0(VALU_DEP_1) | instskip(NEXT) | instid1(VALU_DEP_1)
	v_lshl_or_b32 v20, v22, 21, v20
                                        ; implicit-def: $vgpr22
	v_add_nc_u32_e32 v21, 0x38000000, v20
.LBB4_1246:                             ;   in Loop: Header=BB4_129 Depth=2
	s_and_not1_saveexec_b32 s15, s15
; %bb.1247:                             ;   in Loop: Header=BB4_129 Depth=2
	v_cmp_lt_i16_e32 vcc_lo, -1, v14
	v_cndmask_b32_e32 v20, 0xff800000, v126, vcc_lo
	v_cmp_eq_u32_e32 vcc_lo, 0, v22
	s_delay_alu instid0(VALU_DEP_2)
	v_cndmask_b32_e32 v21, 0x7f800001, v20, vcc_lo
; %bb.1248:                             ;   in Loop: Header=BB4_129 Depth=2
	s_or_b32 exec_lo, exec_lo, s15
.LBB4_1249:                             ;   in Loop: Header=BB4_129 Depth=2
	s_delay_alu instid0(SALU_CYCLE_1)
	s_or_b32 exec_lo, exec_lo, s10
.LBB4_1250:                             ;   in Loop: Header=BB4_129 Depth=2
	s_delay_alu instid0(SALU_CYCLE_1) | instskip(NEXT) | instid1(SALU_CYCLE_1)
	s_or_b32 exec_lo, exec_lo, s14
	s_mov_b32 s10, exec_lo
	v_cmpx_ne_u16_e32 0, v18
	s_cbranch_execz .LBB4_1260
; %bb.1251:                             ;   in Loop: Header=BB4_129 Depth=2
	v_bfrev_b32_e32 v19, 1
	s_mov_b32 s14, exec_lo
	v_cmpx_ne_u16_e32 0x80, v18
	s_cbranch_execz .LBB4_1259
; %bb.1252:                             ;   in Loop: Header=BB4_129 Depth=2
	v_and_b32_e32 v22, 0xffff, v18
	s_delay_alu instid0(VALU_DEP_1) | instskip(SKIP_1) | instid1(VALU_DEP_2)
	v_and_b32_e32 v19, 0x7c, v22
	v_and_b32_e32 v20, 3, v22
	v_cmp_ne_u32_e32 vcc_lo, 0x7c, v19
                                        ; implicit-def: $vgpr19
	s_and_saveexec_b32 s15, vcc_lo
	s_delay_alu instid0(SALU_CYCLE_1)
	s_xor_b32 s15, exec_lo, s15
	s_cbranch_execz .LBB4_1256
; %bb.1253:                             ;   in Loop: Header=BB4_129 Depth=2
	v_bfe_u32 v19, v22, 2, 5
	s_mov_b32 s42, exec_lo
	s_delay_alu instid0(VALU_DEP_1)
	v_cmpx_eq_u32_e32 0, v19
; %bb.1254:                             ;   in Loop: Header=BB4_129 Depth=2
	v_clz_i32_u32_e32 v19, v20
	s_delay_alu instid0(VALU_DEP_1) | instskip(SKIP_1) | instid1(VALU_DEP_2)
	v_min_u32_e32 v20, 32, v19
	v_mov_b32_e32 v19, v55
	v_subrev_nc_u32_e32 v22, 29, v20
	s_delay_alu instid0(VALU_DEP_1) | instskip(NEXT) | instid1(VALU_DEP_1)
	v_lshlrev_b64_e32 v[18:19], v22, v[18:19]
	v_dual_sub_nc_u32 v19, 30, v20 :: v_dual_bitop2_b32 v20, 3, v18 bitop3:0x40
; %bb.1255:                             ;   in Loop: Header=BB4_129 Depth=2
	s_or_b32 exec_lo, exec_lo, s42
	v_lshlrev_b32_e32 v18, 16, v10
	s_delay_alu instid0(VALU_DEP_1) | instskip(NEXT) | instid1(VALU_DEP_1)
	v_and_b32_e32 v18, 0x80000000, v18
	v_lshl_add_u32 v18, v19, 23, v18
	s_delay_alu instid0(VALU_DEP_1) | instskip(NEXT) | instid1(VALU_DEP_1)
	v_lshl_or_b32 v18, v20, 21, v18
                                        ; implicit-def: $vgpr20
	v_add_nc_u32_e32 v19, 0x38000000, v18
.LBB4_1256:                             ;   in Loop: Header=BB4_129 Depth=2
	s_and_not1_saveexec_b32 s15, s15
; %bb.1257:                             ;   in Loop: Header=BB4_129 Depth=2
	v_cmp_lt_i16_e32 vcc_lo, -1, v10
	v_cndmask_b32_e32 v18, 0xff800000, v126, vcc_lo
	v_cmp_eq_u32_e32 vcc_lo, 0, v20
	s_delay_alu instid0(VALU_DEP_2)
	v_cndmask_b32_e32 v19, 0x7f800001, v18, vcc_lo
; %bb.1258:                             ;   in Loop: Header=BB4_129 Depth=2
	s_or_b32 exec_lo, exec_lo, s15
.LBB4_1259:                             ;   in Loop: Header=BB4_129 Depth=2
	s_delay_alu instid0(SALU_CYCLE_1)
	s_or_b32 exec_lo, exec_lo, s14
.LBB4_1260:                             ;   in Loop: Header=BB4_129 Depth=2
	s_delay_alu instid0(SALU_CYCLE_1) | instskip(NEXT) | instid1(VALU_DEP_1)
	s_or_b32 exec_lo, exec_lo, s10
	v_dual_max_num_f32 v18, v19, v19 :: v_dual_max_num_f32 v19, v21, v21
	s_delay_alu instid0(VALU_DEP_1)
	v_min_num_f32_e32 v19, v19, v18
.LBB4_1261:                             ;   in Loop: Header=BB4_129 Depth=2
	s_delay_alu instid0(VALU_DEP_1) | instskip(SKIP_3) | instid1(VALU_DEP_2)
	v_and_b32_e32 v20, 0x7f800000, v19
	v_dual_mov_b32 v21, v55 :: v_dual_lshrrev_b32 v18, 24, v19
	v_and_b32_e32 v54, 0x7fffff, v19
                                        ; implicit-def: $vgpr24
	s_mov_b32 s10, exec_lo
	v_cmpx_ne_u64_e32 0x7f800000, v[20:21]
	s_xor_b32 s14, exec_lo, s10
	s_cbranch_execz .LBB4_1275
; %bb.1262:                             ;   in Loop: Header=BB4_129 Depth=2
	v_and_b32_e32 v20, 0x7fffffff, v19
	v_mov_b32_e32 v21, v55
	v_and_b32_e32 v22, 0x80, v18
                                        ; implicit-def: $vgpr24
	s_mov_b32 s10, exec_lo
	s_delay_alu instid0(VALU_DEP_2)
	v_cmpx_gt_u64_e32 0x47600001, v[20:21]
	s_xor_b32 s15, exec_lo, s10
	s_cbranch_execz .LBB4_1272
; %bb.1263:                             ;   in Loop: Header=BB4_129 Depth=2
	v_mov_b32_e32 v24, 0
	s_mov_b32 s42, exec_lo
	v_cmpx_ne_u32_e32 0, v19
	s_cbranch_execz .LBB4_1271
; %bb.1264:                             ;   in Loop: Header=BB4_129 Depth=2
	v_bfe_u32 v23, v19, 23, 8
	v_or_b32_e32 v20, 0x800000, v54
	s_delay_alu instid0(VALU_DEP_2) | instskip(SKIP_1) | instid1(VALU_DEP_2)
	v_sub_nc_u32_e32 v18, 0x71, v23
	v_cmp_gt_u32_e32 vcc_lo, 0x72, v23
	v_cndmask_b32_e32 v18, 0, v18, vcc_lo
	v_cmp_eq_u32_e32 vcc_lo, 0, v23
	s_delay_alu instid0(VALU_DEP_2) | instskip(NEXT) | instid1(VALU_DEP_1)
	v_cndmask_b32_e64 v24, v18, 0x70, vcc_lo
	v_dual_cndmask_b32 v54, v20, v54, vcc_lo :: v_dual_add_nc_u32 v18, 21, v24
	v_add_nc_u32_e32 v21, 20, v24
	s_delay_alu instid0(VALU_DEP_2) | instskip(NEXT) | instid1(VALU_DEP_2)
	v_lshlrev_b64_e64 v[18:19], v18, -1
	v_lshlrev_b64_e64 v[20:21], v21, 1
	s_delay_alu instid0(VALU_DEP_2) | instskip(NEXT) | instid1(VALU_DEP_3)
	v_bfi_b32 v59, v19, 0, 0
	v_bfi_b32 v58, v18, 0, v54
	v_lshrrev_b64 v[18:19], v24, v[54:55]
	s_delay_alu instid0(VALU_DEP_2) | instskip(NEXT) | instid1(VALU_DEP_2)
	v_cmp_eq_u64_e64 s10, v[58:59], v[20:21]
	v_mov_b64_e32 v[20:21], v[18:19]
	s_and_saveexec_b32 s43, s10
; %bb.1265:                             ;   in Loop: Header=BB4_129 Depth=2
	v_bfe_u32 v54, v18, 21, 1
	s_delay_alu instid0(VALU_DEP_1) | instskip(NEXT) | instid1(VALU_DEP_1)
	v_add_nc_u64_e32 v[20:21], v[18:19], v[54:55]
	v_add_nc_u64_e32 v[20:21], -1, v[20:21]
; %bb.1266:                             ;   in Loop: Header=BB4_129 Depth=2
	s_or_b32 exec_lo, exec_lo, s43
	v_add_nc_u32_e32 v19, 0xffffff81, v23
	v_lshrrev_b32_e32 v21, 23, v18
	s_mov_b32 s10, exec_lo
	s_delay_alu instid0(VALU_DEP_2) | instskip(NEXT) | instid1(VALU_DEP_1)
	v_cndmask_b32_e64 v19, v19, 0xffffff82, vcc_lo
	v_add3_u32 v21, v24, v19, v21
	v_and_b32_e32 v19, 0x1fffff, v20
                                        ; implicit-def: $vgpr20
	s_delay_alu instid0(VALU_DEP_1) | instskip(NEXT) | instid1(VALU_DEP_1)
	v_dual_add_nc_u32 v23, 14, v21 :: v_dual_add_nc_u32 v54, v19, v18
                                        ; implicit-def: $vgpr18_vgpr19
	v_cmpx_ne_u32_e32 0, v23
	s_xor_b32 s10, exec_lo, s10
; %bb.1267:                             ;   in Loop: Header=BB4_129 Depth=2
	s_delay_alu instid0(VALU_DEP_2) | instskip(SKIP_1) | instid1(VALU_DEP_1)
	v_cmp_lt_u64_e32 vcc_lo, 0xffffff, v[54:55]
	v_add_nc_u32_e32 v18, 15, v21
	v_cndmask_b32_e32 v20, v23, v18, vcc_lo
	v_cndmask_b32_e64 v18, 0, 1, vcc_lo
	s_delay_alu instid0(VALU_DEP_1)
	v_lshrrev_b64 v[18:19], v18, v[54:55]
; %bb.1268:                             ;   in Loop: Header=BB4_129 Depth=2
	s_and_not1_saveexec_b32 s10, s10
; %bb.1269:                             ;   in Loop: Header=BB4_129 Depth=2
	v_mov_b64_e32 v[18:19], v[54:55]
	v_bfe_u32 v20, v54, 23, 1
; %bb.1270:                             ;   in Loop: Header=BB4_129 Depth=2
	s_or_b32 exec_lo, exec_lo, s10
	s_delay_alu instid0(VALU_DEP_2) | instskip(NEXT) | instid1(VALU_DEP_2)
	v_lshrrev_b64 v[18:19], 21, v[18:19]
	v_cmp_gt_i32_e32 vcc_lo, 32, v20
	v_min_i32_e32 v21, 31, v20
	v_cmp_eq_u32_e64 s10, 0, v20
	s_delay_alu instid0(VALU_DEP_2) | instskip(SKIP_1) | instid1(VALU_DEP_2)
	v_dual_cndmask_b32 v19, 0, v19, vcc_lo :: v_dual_lshlrev_b32 v21, 2, v21
	v_cndmask_b32_e32 v18, 3, v18, vcc_lo
	v_and_b32_e32 v21, 0xfc, v21
	s_delay_alu instid0(VALU_DEP_2) | instskip(NEXT) | instid1(VALU_DEP_2)
	v_cmp_eq_u64_e32 vcc_lo, 0, v[18:19]
	v_and_or_b32 v18, v18, 3, v21
	s_and_b32 s10, s10, vcc_lo
	s_delay_alu instid0(VALU_DEP_1) | instid1(SALU_CYCLE_1)
	v_cndmask_b32_e64 v18, v18, 0, s10
	s_delay_alu instid0(VALU_DEP_1)
	v_or_b32_e32 v24, v18, v22
.LBB4_1271:                             ;   in Loop: Header=BB4_129 Depth=2
	s_or_b32 exec_lo, exec_lo, s42
                                        ; implicit-def: $vgpr22
.LBB4_1272:                             ;   in Loop: Header=BB4_129 Depth=2
	s_and_not1_saveexec_b32 s10, s15
; %bb.1273:                             ;   in Loop: Header=BB4_129 Depth=2
	v_or_b32_e32 v24, 0x7b, v22
; %bb.1274:                             ;   in Loop: Header=BB4_129 Depth=2
	s_or_b32 exec_lo, exec_lo, s10
                                        ; implicit-def: $vgpr19
                                        ; implicit-def: $vgpr18
.LBB4_1275:                             ;   in Loop: Header=BB4_129 Depth=2
	s_and_not1_saveexec_b32 s10, s14
	s_cbranch_execz .LBB4_1281
; %bb.1276:                             ;   in Loop: Header=BB4_129 Depth=2
	s_mov_b32 s14, exec_lo
                                        ; implicit-def: $vgpr24
	v_cmpx_ne_u64_e32 0, v[54:55]
	s_xor_b32 s14, exec_lo, s14
; %bb.1277:                             ;   in Loop: Header=BB4_129 Depth=2
	v_or_b32_e32 v24, 0x7f, v18
                                        ; implicit-def: $vgpr19
; %bb.1278:                             ;   in Loop: Header=BB4_129 Depth=2
	s_and_not1_saveexec_b32 s14, s14
; %bb.1279:                             ;   in Loop: Header=BB4_129 Depth=2
	v_cmp_lt_i32_e32 vcc_lo, -1, v19
	v_cndmask_b32_e32 v24, 0xfc, v122, vcc_lo
; %bb.1280:                             ;   in Loop: Header=BB4_129 Depth=2
	s_or_b32 exec_lo, exec_lo, s14
.LBB4_1281:                             ;   in Loop: Header=BB4_129 Depth=2
	s_delay_alu instid0(SALU_CYCLE_1) | instskip(SKIP_4) | instid1(VALU_DEP_2)
	s_or_b32 exec_lo, exec_lo, s10
	v_lshrrev_b32_e32 v20, 16, v14
	v_lshrrev_b32_e32 v18, 16, v10
	s_and_not1_b32 vcc_lo, exec_lo, s13
	s_mov_b32 s14, -1
                                        ; implicit-def: $vgpr21
	v_and_b32_e32 v19, 0xff, v20
	s_delay_alu instid0(VALU_DEP_1)
	v_cmp_ne_u16_e64 s10, 0, v19
	s_cbranch_vccnz .LBB4_1303
; %bb.1282:                             ;   in Loop: Header=BB4_129 Depth=2
	v_dual_mov_b32 v22, 0 :: v_dual_mov_b32 v21, 0
	s_and_saveexec_b32 s14, s10
	s_cbranch_execz .LBB4_1292
; %bb.1283:                             ;   in Loop: Header=BB4_129 Depth=2
	v_bfrev_b32_e32 v21, 1
	s_mov_b32 s15, exec_lo
	v_cmpx_ne_u16_e32 0x80, v19
	s_cbranch_execz .LBB4_1291
; %bb.1284:                             ;   in Loop: Header=BB4_129 Depth=2
	v_and_b32_e32 v21, 0x7c0000, v14
	v_bfe_u32 v23, v14, 16, 2
	s_delay_alu instid0(VALU_DEP_2) | instskip(SKIP_1) | instid1(SALU_CYCLE_1)
	v_cmp_ne_u32_e32 vcc_lo, 0x7c0000, v21
                                        ; implicit-def: $vgpr21
	s_and_saveexec_b32 s42, vcc_lo
	s_xor_b32 s42, exec_lo, s42
	s_cbranch_execz .LBB4_1288
; %bb.1285:                             ;   in Loop: Header=BB4_129 Depth=2
	v_bfe_u32 v21, v14, 18, 5
	s_mov_b32 s43, exec_lo
	s_delay_alu instid0(VALU_DEP_1)
	v_cmpx_eq_u32_e32 0, v21
; %bb.1286:                             ;   in Loop: Header=BB4_129 Depth=2
	v_clz_i32_u32_e32 v21, v23
	s_delay_alu instid0(VALU_DEP_1) | instskip(NEXT) | instid1(VALU_DEP_1)
	v_min_u32_e32 v21, 32, v21
	v_subrev_nc_u32_e32 v23, 29, v21
	s_delay_alu instid0(VALU_DEP_1) | instskip(NEXT) | instid1(VALU_DEP_1)
	v_lshlrev_b64_e32 v[58:59], v23, v[20:21]
	v_dual_sub_nc_u32 v21, 30, v21 :: v_dual_bitop2_b32 v23, 3, v58 bitop3:0x40
; %bb.1287:                             ;   in Loop: Header=BB4_129 Depth=2
	s_or_b32 exec_lo, exec_lo, s43
	v_lshlrev_b32_e32 v25, 24, v20
	s_delay_alu instid0(VALU_DEP_1) | instskip(NEXT) | instid1(VALU_DEP_1)
	v_and_b32_e32 v25, 0x80000000, v25
	v_lshl_add_u32 v21, v21, 23, v25
	s_delay_alu instid0(VALU_DEP_1) | instskip(NEXT) | instid1(VALU_DEP_1)
	v_lshl_or_b32 v21, v23, 21, v21
                                        ; implicit-def: $vgpr23
	v_add_nc_u32_e32 v21, 0x38000000, v21
.LBB4_1288:                             ;   in Loop: Header=BB4_129 Depth=2
	s_and_not1_saveexec_b32 s42, s42
; %bb.1289:                             ;   in Loop: Header=BB4_129 Depth=2
	v_bfe_i32 v21, v20, 0, 8
	s_delay_alu instid0(VALU_DEP_1) | instskip(SKIP_2) | instid1(VALU_DEP_2)
	v_cmp_lt_i16_e32 vcc_lo, -1, v21
	v_cndmask_b32_e32 v21, 0xff800000, v126, vcc_lo
	v_cmp_eq_u32_e32 vcc_lo, 0, v23
	v_cndmask_b32_e32 v21, 0x7f800001, v21, vcc_lo
; %bb.1290:                             ;   in Loop: Header=BB4_129 Depth=2
	s_or_b32 exec_lo, exec_lo, s42
.LBB4_1291:                             ;   in Loop: Header=BB4_129 Depth=2
	s_delay_alu instid0(SALU_CYCLE_1)
	s_or_b32 exec_lo, exec_lo, s15
.LBB4_1292:                             ;   in Loop: Header=BB4_129 Depth=2
	s_delay_alu instid0(SALU_CYCLE_1) | instskip(SKIP_2) | instid1(VALU_DEP_1)
	s_or_b32 exec_lo, exec_lo, s14
	v_and_b32_e32 v23, 0xff, v18
	s_mov_b32 s14, exec_lo
	v_cmpx_ne_u16_e32 0, v23
	s_cbranch_execz .LBB4_1302
; %bb.1293:                             ;   in Loop: Header=BB4_129 Depth=2
	v_bfrev_b32_e32 v22, 1
	s_mov_b32 s15, exec_lo
	v_cmpx_ne_u16_e32 0x80, v23
	s_cbranch_execz .LBB4_1301
; %bb.1294:                             ;   in Loop: Header=BB4_129 Depth=2
	v_and_b32_e32 v22, 0x7c0000, v10
	v_bfe_u32 v23, v10, 16, 2
	s_delay_alu instid0(VALU_DEP_2) | instskip(SKIP_1) | instid1(SALU_CYCLE_1)
	v_cmp_ne_u32_e32 vcc_lo, 0x7c0000, v22
                                        ; implicit-def: $vgpr22
	s_and_saveexec_b32 s42, vcc_lo
	s_xor_b32 s42, exec_lo, s42
	s_cbranch_execz .LBB4_1298
; %bb.1295:                             ;   in Loop: Header=BB4_129 Depth=2
	v_bfe_u32 v22, v10, 18, 5
	s_mov_b32 s43, exec_lo
	s_delay_alu instid0(VALU_DEP_1)
	v_cmpx_eq_u32_e32 0, v22
; %bb.1296:                             ;   in Loop: Header=BB4_129 Depth=2
	v_clz_i32_u32_e32 v22, v23
	s_delay_alu instid0(VALU_DEP_1) | instskip(NEXT) | instid1(VALU_DEP_1)
	v_min_u32_e32 v22, 32, v22
	v_subrev_nc_u32_e32 v23, 29, v22
	v_sub_nc_u32_e32 v22, 30, v22
	s_delay_alu instid0(VALU_DEP_2) | instskip(NEXT) | instid1(VALU_DEP_1)
	v_lshlrev_b64_e32 v[58:59], v23, v[18:19]
	v_and_b32_e32 v23, 3, v58
; %bb.1297:                             ;   in Loop: Header=BB4_129 Depth=2
	s_or_b32 exec_lo, exec_lo, s43
	v_lshlrev_b32_e32 v25, 24, v18
	s_delay_alu instid0(VALU_DEP_1) | instskip(NEXT) | instid1(VALU_DEP_1)
	v_and_b32_e32 v25, 0x80000000, v25
	v_lshl_add_u32 v22, v22, 23, v25
	s_delay_alu instid0(VALU_DEP_1) | instskip(NEXT) | instid1(VALU_DEP_1)
	v_lshl_or_b32 v22, v23, 21, v22
                                        ; implicit-def: $vgpr23
	v_add_nc_u32_e32 v22, 0x38000000, v22
.LBB4_1298:                             ;   in Loop: Header=BB4_129 Depth=2
	s_and_not1_saveexec_b32 s42, s42
; %bb.1299:                             ;   in Loop: Header=BB4_129 Depth=2
	v_bfe_i32 v22, v18, 0, 8
	s_delay_alu instid0(VALU_DEP_1) | instskip(SKIP_2) | instid1(VALU_DEP_2)
	v_cmp_lt_i16_e32 vcc_lo, -1, v22
	v_cndmask_b32_e32 v22, 0xff800000, v126, vcc_lo
	v_cmp_eq_u32_e32 vcc_lo, 0, v23
	v_cndmask_b32_e32 v22, 0x7f800001, v22, vcc_lo
; %bb.1300:                             ;   in Loop: Header=BB4_129 Depth=2
	s_or_b32 exec_lo, exec_lo, s42
.LBB4_1301:                             ;   in Loop: Header=BB4_129 Depth=2
	s_delay_alu instid0(SALU_CYCLE_1)
	s_or_b32 exec_lo, exec_lo, s15
.LBB4_1302:                             ;   in Loop: Header=BB4_129 Depth=2
	s_delay_alu instid0(SALU_CYCLE_1) | instskip(NEXT) | instid1(VALU_DEP_1)
	s_or_b32 exec_lo, exec_lo, s14
	v_dual_max_num_f32 v22, v22, v22 :: v_dual_max_num_f32 v21, v21, v21
	s_mov_b32 s14, 0
	s_delay_alu instid0(VALU_DEP_1)
	v_max_num_f32_e32 v21, v21, v22
.LBB4_1303:                             ;   in Loop: Header=BB4_129 Depth=2
	s_and_b32 vcc_lo, exec_lo, s14
	s_cbranch_vccz .LBB4_1325
; %bb.1304:                             ;   in Loop: Header=BB4_129 Depth=2
	v_dual_mov_b32 v22, 0 :: v_dual_mov_b32 v21, 0
	s_and_saveexec_b32 s14, s10
	s_cbranch_execz .LBB4_1314
; %bb.1305:                             ;   in Loop: Header=BB4_129 Depth=2
	v_bfrev_b32_e32 v21, 1
	s_mov_b32 s10, exec_lo
	v_cmpx_ne_u16_e32 0x80, v19
	s_cbranch_execz .LBB4_1313
; %bb.1306:                             ;   in Loop: Header=BB4_129 Depth=2
	v_and_b32_e32 v21, 0x7c0000, v14
	v_bfe_u32 v19, v14, 16, 2
	s_delay_alu instid0(VALU_DEP_2) | instskip(SKIP_1) | instid1(SALU_CYCLE_1)
	v_cmp_ne_u32_e32 vcc_lo, 0x7c0000, v21
                                        ; implicit-def: $vgpr21
	s_and_saveexec_b32 s15, vcc_lo
	s_xor_b32 s15, exec_lo, s15
	s_cbranch_execz .LBB4_1310
; %bb.1307:                             ;   in Loop: Header=BB4_129 Depth=2
	v_bfe_u32 v21, v14, 18, 5
	s_mov_b32 s42, exec_lo
	s_delay_alu instid0(VALU_DEP_1)
	v_cmpx_eq_u32_e32 0, v21
; %bb.1308:                             ;   in Loop: Header=BB4_129 Depth=2
	v_clz_i32_u32_e32 v19, v19
	s_delay_alu instid0(VALU_DEP_1) | instskip(NEXT) | instid1(VALU_DEP_1)
	v_min_u32_e32 v19, 32, v19
	v_subrev_nc_u32_e32 v21, 29, v19
	s_delay_alu instid0(VALU_DEP_1) | instskip(NEXT) | instid1(VALU_DEP_1)
	v_lshlrev_b64_e32 v[58:59], v21, v[20:21]
	v_dual_sub_nc_u32 v21, 30, v19 :: v_dual_bitop2_b32 v19, 3, v58 bitop3:0x40
; %bb.1309:                             ;   in Loop: Header=BB4_129 Depth=2
	s_or_b32 exec_lo, exec_lo, s42
	v_lshlrev_b32_e32 v20, 24, v20
	s_delay_alu instid0(VALU_DEP_1) | instskip(NEXT) | instid1(VALU_DEP_1)
	v_and_b32_e32 v20, 0x80000000, v20
	v_lshl_add_u32 v20, v21, 23, v20
	s_delay_alu instid0(VALU_DEP_1) | instskip(NEXT) | instid1(VALU_DEP_1)
	v_lshl_or_b32 v19, v19, 21, v20
                                        ; implicit-def: $vgpr20
	v_add_nc_u32_e32 v21, 0x38000000, v19
                                        ; implicit-def: $vgpr19
.LBB4_1310:                             ;   in Loop: Header=BB4_129 Depth=2
	s_and_not1_saveexec_b32 s15, s15
; %bb.1311:                             ;   in Loop: Header=BB4_129 Depth=2
	v_bfe_i32 v20, v20, 0, 8
	s_delay_alu instid0(VALU_DEP_1) | instskip(SKIP_2) | instid1(VALU_DEP_2)
	v_cmp_lt_i16_e32 vcc_lo, -1, v20
	v_cndmask_b32_e32 v20, 0xff800000, v126, vcc_lo
	v_cmp_eq_u32_e32 vcc_lo, 0, v19
	v_cndmask_b32_e32 v21, 0x7f800001, v20, vcc_lo
; %bb.1312:                             ;   in Loop: Header=BB4_129 Depth=2
	s_or_b32 exec_lo, exec_lo, s15
.LBB4_1313:                             ;   in Loop: Header=BB4_129 Depth=2
	s_delay_alu instid0(SALU_CYCLE_1)
	s_or_b32 exec_lo, exec_lo, s10
.LBB4_1314:                             ;   in Loop: Header=BB4_129 Depth=2
	s_delay_alu instid0(SALU_CYCLE_1) | instskip(SKIP_2) | instid1(VALU_DEP_1)
	s_or_b32 exec_lo, exec_lo, s14
	v_and_b32_e32 v19, 0xff, v18
	s_mov_b32 s10, exec_lo
	v_cmpx_ne_u16_e32 0, v19
	s_cbranch_execz .LBB4_1324
; %bb.1315:                             ;   in Loop: Header=BB4_129 Depth=2
	v_bfrev_b32_e32 v22, 1
	s_mov_b32 s14, exec_lo
	v_cmpx_ne_u16_e32 0x80, v19
	s_cbranch_execz .LBB4_1323
; %bb.1316:                             ;   in Loop: Header=BB4_129 Depth=2
	v_and_b32_e32 v20, 0x7c0000, v10
	v_bfe_u32 v19, v10, 16, 2
	s_mov_b32 s15, exec_lo
                                        ; implicit-def: $vgpr22
	s_delay_alu instid0(VALU_DEP_2)
	v_cmpx_ne_u32_e32 0x7c0000, v20
	s_xor_b32 s15, exec_lo, s15
	s_cbranch_execz .LBB4_1320
; %bb.1317:                             ;   in Loop: Header=BB4_129 Depth=2
	v_bfe_u32 v20, v10, 18, 5
	s_mov_b32 s42, exec_lo
	s_delay_alu instid0(VALU_DEP_1)
	v_cmpx_eq_u32_e32 0, v20
; %bb.1318:                             ;   in Loop: Header=BB4_129 Depth=2
	v_clz_i32_u32_e32 v19, v19
	s_delay_alu instid0(VALU_DEP_1) | instskip(NEXT) | instid1(VALU_DEP_1)
	v_min_u32_e32 v19, 32, v19
	v_subrev_nc_u32_e32 v20, 29, v19
	s_delay_alu instid0(VALU_DEP_1) | instskip(NEXT) | instid1(VALU_DEP_1)
	v_lshlrev_b64_e32 v[22:23], v20, v[18:19]
	v_dual_sub_nc_u32 v20, 30, v19 :: v_dual_bitop2_b32 v19, 3, v22 bitop3:0x40
; %bb.1319:                             ;   in Loop: Header=BB4_129 Depth=2
	s_or_b32 exec_lo, exec_lo, s42
	v_lshlrev_b32_e32 v18, 24, v18
	s_delay_alu instid0(VALU_DEP_1) | instskip(NEXT) | instid1(VALU_DEP_1)
	v_and_b32_e32 v18, 0x80000000, v18
	v_lshl_add_u32 v18, v20, 23, v18
	s_delay_alu instid0(VALU_DEP_1) | instskip(NEXT) | instid1(VALU_DEP_1)
	v_lshl_or_b32 v18, v19, 21, v18
                                        ; implicit-def: $vgpr19
	v_add_nc_u32_e32 v22, 0x38000000, v18
                                        ; implicit-def: $vgpr18
.LBB4_1320:                             ;   in Loop: Header=BB4_129 Depth=2
	s_and_not1_saveexec_b32 s15, s15
; %bb.1321:                             ;   in Loop: Header=BB4_129 Depth=2
	v_bfe_i32 v18, v18, 0, 8
	s_delay_alu instid0(VALU_DEP_1) | instskip(SKIP_2) | instid1(VALU_DEP_2)
	v_cmp_lt_i16_e32 vcc_lo, -1, v18
	v_cndmask_b32_e32 v18, 0xff800000, v126, vcc_lo
	v_cmp_eq_u32_e32 vcc_lo, 0, v19
	v_cndmask_b32_e32 v22, 0x7f800001, v18, vcc_lo
; %bb.1322:                             ;   in Loop: Header=BB4_129 Depth=2
	s_or_b32 exec_lo, exec_lo, s15
.LBB4_1323:                             ;   in Loop: Header=BB4_129 Depth=2
	s_delay_alu instid0(SALU_CYCLE_1)
	s_or_b32 exec_lo, exec_lo, s14
.LBB4_1324:                             ;   in Loop: Header=BB4_129 Depth=2
	s_delay_alu instid0(SALU_CYCLE_1) | instskip(NEXT) | instid1(VALU_DEP_1)
	s_or_b32 exec_lo, exec_lo, s10
	v_dual_max_num_f32 v18, v22, v22 :: v_dual_max_num_f32 v19, v21, v21
	s_delay_alu instid0(VALU_DEP_1)
	v_min_num_f32_e32 v21, v19, v18
.LBB4_1325:                             ;   in Loop: Header=BB4_129 Depth=2
	s_delay_alu instid0(VALU_DEP_1) | instskip(SKIP_2) | instid1(VALU_DEP_2)
	v_and_b32_e32 v18, 0x7f800000, v21
	v_mov_b32_e32 v19, v55
	v_and_b32_e32 v54, 0x7fffff, v21
                                        ; implicit-def: $vgpr25
	v_cmp_ne_u64_e32 vcc_lo, 0x7f800000, v[18:19]
	v_lshrrev_b32_e32 v18, 24, v21
	s_and_saveexec_b32 s10, vcc_lo
	s_delay_alu instid0(SALU_CYCLE_1)
	s_xor_b32 s14, exec_lo, s10
	s_cbranch_execz .LBB4_1339
; %bb.1326:                             ;   in Loop: Header=BB4_129 Depth=2
	v_and_b32_e32 v22, 0x7fffffff, v21
	v_mov_b32_e32 v23, v55
                                        ; implicit-def: $vgpr25
	s_delay_alu instid0(VALU_DEP_1) | instskip(SKIP_2) | instid1(SALU_CYCLE_1)
	v_cmp_gt_u64_e32 vcc_lo, 0x47600001, v[22:23]
	v_and_b32_e32 v22, 0x80, v18
	s_and_saveexec_b32 s10, vcc_lo
	s_xor_b32 s15, exec_lo, s10
	s_cbranch_execz .LBB4_1336
; %bb.1327:                             ;   in Loop: Header=BB4_129 Depth=2
	v_mov_b32_e32 v25, 0
	s_mov_b32 s42, exec_lo
	v_cmpx_ne_u32_e32 0, v21
	s_cbranch_execz .LBB4_1335
; %bb.1328:                             ;   in Loop: Header=BB4_129 Depth=2
	v_bfe_u32 v23, v21, 23, 8
	v_or_b32_e32 v20, 0x800000, v54
	s_delay_alu instid0(VALU_DEP_2) | instskip(SKIP_1) | instid1(VALU_DEP_2)
	v_sub_nc_u32_e32 v18, 0x71, v23
	v_cmp_gt_u32_e32 vcc_lo, 0x72, v23
	v_cndmask_b32_e32 v18, 0, v18, vcc_lo
	v_cmp_eq_u32_e32 vcc_lo, 0, v23
	s_delay_alu instid0(VALU_DEP_2) | instskip(NEXT) | instid1(VALU_DEP_1)
	v_cndmask_b32_e64 v25, v18, 0x70, vcc_lo
	v_dual_cndmask_b32 v54, v20, v54, vcc_lo :: v_dual_add_nc_u32 v18, 21, v25
	v_add_nc_u32_e32 v21, 20, v25
	s_delay_alu instid0(VALU_DEP_2) | instskip(NEXT) | instid1(VALU_DEP_2)
	v_lshlrev_b64_e64 v[18:19], v18, -1
	v_lshlrev_b64_e64 v[20:21], v21, 1
	s_delay_alu instid0(VALU_DEP_2) | instskip(NEXT) | instid1(VALU_DEP_3)
	v_bfi_b32 v59, v19, 0, 0
	v_bfi_b32 v58, v18, 0, v54
	v_lshrrev_b64 v[18:19], v25, v[54:55]
	s_delay_alu instid0(VALU_DEP_2) | instskip(NEXT) | instid1(VALU_DEP_2)
	v_cmp_eq_u64_e64 s10, v[58:59], v[20:21]
	v_mov_b64_e32 v[20:21], v[18:19]
	s_and_saveexec_b32 s43, s10
; %bb.1329:                             ;   in Loop: Header=BB4_129 Depth=2
	v_bfe_u32 v54, v18, 21, 1
	s_delay_alu instid0(VALU_DEP_1) | instskip(NEXT) | instid1(VALU_DEP_1)
	v_add_nc_u64_e32 v[20:21], v[18:19], v[54:55]
	v_add_nc_u64_e32 v[20:21], -1, v[20:21]
; %bb.1330:                             ;   in Loop: Header=BB4_129 Depth=2
	s_or_b32 exec_lo, exec_lo, s43
	v_add_nc_u32_e32 v19, 0xffffff81, v23
	v_lshrrev_b32_e32 v21, 23, v18
	s_mov_b32 s10, exec_lo
	s_delay_alu instid0(VALU_DEP_2) | instskip(NEXT) | instid1(VALU_DEP_1)
	v_cndmask_b32_e64 v19, v19, 0xffffff82, vcc_lo
	v_add3_u32 v21, v25, v19, v21
	v_and_b32_e32 v19, 0x1fffff, v20
                                        ; implicit-def: $vgpr20
	s_delay_alu instid0(VALU_DEP_1) | instskip(NEXT) | instid1(VALU_DEP_1)
	v_dual_add_nc_u32 v23, 14, v21 :: v_dual_add_nc_u32 v54, v19, v18
                                        ; implicit-def: $vgpr18_vgpr19
	v_cmpx_ne_u32_e32 0, v23
	s_xor_b32 s10, exec_lo, s10
; %bb.1331:                             ;   in Loop: Header=BB4_129 Depth=2
	s_delay_alu instid0(VALU_DEP_2) | instskip(SKIP_1) | instid1(VALU_DEP_1)
	v_cmp_lt_u64_e32 vcc_lo, 0xffffff, v[54:55]
	v_add_nc_u32_e32 v18, 15, v21
	v_cndmask_b32_e32 v20, v23, v18, vcc_lo
	v_cndmask_b32_e64 v18, 0, 1, vcc_lo
	s_delay_alu instid0(VALU_DEP_1)
	v_lshrrev_b64 v[18:19], v18, v[54:55]
; %bb.1332:                             ;   in Loop: Header=BB4_129 Depth=2
	s_and_not1_saveexec_b32 s10, s10
; %bb.1333:                             ;   in Loop: Header=BB4_129 Depth=2
	v_mov_b64_e32 v[18:19], v[54:55]
	v_bfe_u32 v20, v54, 23, 1
; %bb.1334:                             ;   in Loop: Header=BB4_129 Depth=2
	s_or_b32 exec_lo, exec_lo, s10
	s_delay_alu instid0(VALU_DEP_2) | instskip(NEXT) | instid1(VALU_DEP_2)
	v_lshrrev_b64 v[18:19], 21, v[18:19]
	v_cmp_gt_i32_e32 vcc_lo, 32, v20
	v_min_i32_e32 v21, 31, v20
	v_cmp_eq_u32_e64 s10, 0, v20
	s_delay_alu instid0(VALU_DEP_2) | instskip(SKIP_1) | instid1(VALU_DEP_2)
	v_dual_cndmask_b32 v19, 0, v19, vcc_lo :: v_dual_lshlrev_b32 v21, 2, v21
	v_cndmask_b32_e32 v18, 3, v18, vcc_lo
	v_and_b32_e32 v21, 0xfc, v21
	s_delay_alu instid0(VALU_DEP_2) | instskip(NEXT) | instid1(VALU_DEP_2)
	v_cmp_eq_u64_e32 vcc_lo, 0, v[18:19]
	v_and_or_b32 v18, v18, 3, v21
	s_and_b32 s10, s10, vcc_lo
	s_delay_alu instid0(VALU_DEP_1) | instid1(SALU_CYCLE_1)
	v_cndmask_b32_e64 v18, v18, 0, s10
	s_delay_alu instid0(VALU_DEP_1)
	v_or_b32_e32 v25, v18, v22
.LBB4_1335:                             ;   in Loop: Header=BB4_129 Depth=2
	s_or_b32 exec_lo, exec_lo, s42
                                        ; implicit-def: $vgpr22
.LBB4_1336:                             ;   in Loop: Header=BB4_129 Depth=2
	s_and_not1_saveexec_b32 s10, s15
; %bb.1337:                             ;   in Loop: Header=BB4_129 Depth=2
	v_or_b32_e32 v25, 0x7b, v22
; %bb.1338:                             ;   in Loop: Header=BB4_129 Depth=2
	s_or_b32 exec_lo, exec_lo, s10
                                        ; implicit-def: $vgpr21
                                        ; implicit-def: $vgpr18
.LBB4_1339:                             ;   in Loop: Header=BB4_129 Depth=2
	s_and_not1_saveexec_b32 s10, s14
	s_cbranch_execz .LBB4_1345
; %bb.1340:                             ;   in Loop: Header=BB4_129 Depth=2
	s_mov_b32 s14, exec_lo
                                        ; implicit-def: $vgpr25
	v_cmpx_ne_u64_e32 0, v[54:55]
	s_xor_b32 s14, exec_lo, s14
; %bb.1341:                             ;   in Loop: Header=BB4_129 Depth=2
	v_or_b32_e32 v25, 0x7f, v18
                                        ; implicit-def: $vgpr21
; %bb.1342:                             ;   in Loop: Header=BB4_129 Depth=2
	s_and_not1_saveexec_b32 s14, s14
; %bb.1343:                             ;   in Loop: Header=BB4_129 Depth=2
	v_cmp_lt_i32_e32 vcc_lo, -1, v21
	v_cndmask_b32_e32 v25, 0xfc, v122, vcc_lo
; %bb.1344:                             ;   in Loop: Header=BB4_129 Depth=2
	s_or_b32 exec_lo, exec_lo, s14
.LBB4_1345:                             ;   in Loop: Header=BB4_129 Depth=2
	s_delay_alu instid0(SALU_CYCLE_1)
	s_or_b32 exec_lo, exec_lo, s10
	v_lshrrev_b32_e32 v20, 24, v14
	v_lshrrev_b32_e32 v18, 24, v10
	v_cmp_lt_u32_e64 s10, 0xffffff, v14
	s_and_not1_b32 vcc_lo, exec_lo, s13
	s_mov_b32 s14, -1
                                        ; implicit-def: $vgpr19
	s_cbranch_vccnz .LBB4_1367
; %bb.1346:                             ;   in Loop: Header=BB4_129 Depth=2
	v_dual_mov_b32 v21, 0 :: v_dual_mov_b32 v19, 0
	s_and_saveexec_b32 s14, s10
	s_cbranch_execz .LBB4_1356
; %bb.1347:                             ;   in Loop: Header=BB4_129 Depth=2
	v_bfrev_b32_e32 v19, 1
	s_mov_b32 s15, exec_lo
	v_cmpx_ne_u32_e32 0x80, v20
	s_cbranch_execz .LBB4_1355
; %bb.1348:                             ;   in Loop: Header=BB4_129 Depth=2
	v_and_b32_e32 v19, 0x7c000000, v14
	v_bfe_u32 v22, v14, 24, 2
	s_delay_alu instid0(VALU_DEP_2) | instskip(SKIP_1) | instid1(SALU_CYCLE_1)
	v_cmp_ne_u32_e32 vcc_lo, 0x7c000000, v19
                                        ; implicit-def: $vgpr19
	s_and_saveexec_b32 s42, vcc_lo
	s_xor_b32 s42, exec_lo, s42
	s_cbranch_execz .LBB4_1352
; %bb.1349:                             ;   in Loop: Header=BB4_129 Depth=2
	v_bfe_u32 v19, v14, 26, 5
	s_mov_b32 s43, exec_lo
	s_delay_alu instid0(VALU_DEP_1)
	v_cmpx_eq_u32_e32 0, v19
; %bb.1350:                             ;   in Loop: Header=BB4_129 Depth=2
	v_clz_i32_u32_e32 v19, v22
	s_delay_alu instid0(VALU_DEP_1) | instskip(NEXT) | instid1(VALU_DEP_1)
	v_min_u32_e32 v19, 32, v19
	v_subrev_nc_u32_e32 v22, 29, v19
	s_delay_alu instid0(VALU_DEP_1) | instskip(NEXT) | instid1(VALU_DEP_1)
	v_lshlrev_b64_e32 v[22:23], v22, v[20:21]
	v_dual_sub_nc_u32 v19, 30, v19 :: v_dual_bitop2_b32 v22, 3, v22 bitop3:0x40
; %bb.1351:                             ;   in Loop: Header=BB4_129 Depth=2
	s_or_b32 exec_lo, exec_lo, s43
	v_and_b32_e32 v23, 0x80000000, v14
	s_delay_alu instid0(VALU_DEP_1) | instskip(NEXT) | instid1(VALU_DEP_1)
	v_lshl_add_u32 v19, v19, 23, v23
	v_lshl_or_b32 v19, v22, 21, v19
                                        ; implicit-def: $vgpr22
	s_delay_alu instid0(VALU_DEP_1)
	v_add_nc_u32_e32 v19, 0x38000000, v19
.LBB4_1352:                             ;   in Loop: Header=BB4_129 Depth=2
	s_and_not1_saveexec_b32 s42, s42
; %bb.1353:                             ;   in Loop: Header=BB4_129 Depth=2
	v_cmp_lt_i32_e32 vcc_lo, -1, v14
	v_cndmask_b32_e32 v19, 0xff800000, v126, vcc_lo
	v_cmp_eq_u32_e32 vcc_lo, 0, v22
	s_delay_alu instid0(VALU_DEP_2)
	v_cndmask_b32_e32 v19, 0x7f800001, v19, vcc_lo
; %bb.1354:                             ;   in Loop: Header=BB4_129 Depth=2
	s_or_b32 exec_lo, exec_lo, s42
.LBB4_1355:                             ;   in Loop: Header=BB4_129 Depth=2
	s_delay_alu instid0(SALU_CYCLE_1)
	s_or_b32 exec_lo, exec_lo, s15
.LBB4_1356:                             ;   in Loop: Header=BB4_129 Depth=2
	s_delay_alu instid0(SALU_CYCLE_1) | instskip(NEXT) | instid1(SALU_CYCLE_1)
	s_or_b32 exec_lo, exec_lo, s14
	s_mov_b32 s14, exec_lo
	v_cmpx_lt_u32_e32 0xffffff, v10
	s_cbranch_execz .LBB4_1366
; %bb.1357:                             ;   in Loop: Header=BB4_129 Depth=2
	v_bfrev_b32_e32 v21, 1
	s_mov_b32 s15, exec_lo
	v_cmpx_ne_u32_e32 0x80, v18
	s_cbranch_execz .LBB4_1365
; %bb.1358:                             ;   in Loop: Header=BB4_129 Depth=2
	v_and_b32_e32 v21, 0x7c000000, v10
	v_bfe_u32 v22, v10, 24, 2
	s_delay_alu instid0(VALU_DEP_2) | instskip(SKIP_1) | instid1(SALU_CYCLE_1)
	v_cmp_ne_u32_e32 vcc_lo, 0x7c000000, v21
                                        ; implicit-def: $vgpr21
	s_and_saveexec_b32 s42, vcc_lo
	s_xor_b32 s42, exec_lo, s42
	s_cbranch_execz .LBB4_1362
; %bb.1359:                             ;   in Loop: Header=BB4_129 Depth=2
	v_bfe_u32 v21, v10, 26, 5
	s_mov_b32 s43, exec_lo
	s_delay_alu instid0(VALU_DEP_1)
	v_cmpx_eq_u32_e32 0, v21
; %bb.1360:                             ;   in Loop: Header=BB4_129 Depth=2
	v_clz_i32_u32_e32 v21, v22
	s_delay_alu instid0(VALU_DEP_1) | instskip(NEXT) | instid1(VALU_DEP_1)
	v_min_u32_e32 v21, 32, v21
	v_subrev_nc_u32_e32 v22, 29, v21
	s_delay_alu instid0(VALU_DEP_1) | instskip(NEXT) | instid1(VALU_DEP_1)
	v_lshlrev_b64_e32 v[22:23], v22, v[18:19]
	v_dual_sub_nc_u32 v21, 30, v21 :: v_dual_bitop2_b32 v22, 3, v22 bitop3:0x40
; %bb.1361:                             ;   in Loop: Header=BB4_129 Depth=2
	s_or_b32 exec_lo, exec_lo, s43
	v_and_b32_e32 v23, 0x80000000, v10
	s_delay_alu instid0(VALU_DEP_1) | instskip(NEXT) | instid1(VALU_DEP_1)
	v_lshl_add_u32 v21, v21, 23, v23
	v_lshl_or_b32 v21, v22, 21, v21
                                        ; implicit-def: $vgpr22
	s_delay_alu instid0(VALU_DEP_1)
	v_add_nc_u32_e32 v21, 0x38000000, v21
.LBB4_1362:                             ;   in Loop: Header=BB4_129 Depth=2
	s_and_not1_saveexec_b32 s42, s42
; %bb.1363:                             ;   in Loop: Header=BB4_129 Depth=2
	v_cmp_lt_i32_e32 vcc_lo, -1, v10
	v_cndmask_b32_e32 v21, 0xff800000, v126, vcc_lo
	v_cmp_eq_u32_e32 vcc_lo, 0, v22
	s_delay_alu instid0(VALU_DEP_2)
	v_cndmask_b32_e32 v21, 0x7f800001, v21, vcc_lo
; %bb.1364:                             ;   in Loop: Header=BB4_129 Depth=2
	s_or_b32 exec_lo, exec_lo, s42
.LBB4_1365:                             ;   in Loop: Header=BB4_129 Depth=2
	s_delay_alu instid0(SALU_CYCLE_1)
	s_or_b32 exec_lo, exec_lo, s15
.LBB4_1366:                             ;   in Loop: Header=BB4_129 Depth=2
	s_delay_alu instid0(SALU_CYCLE_1) | instskip(NEXT) | instid1(VALU_DEP_1)
	s_or_b32 exec_lo, exec_lo, s14
	v_dual_max_num_f32 v21, v21, v21 :: v_dual_max_num_f32 v19, v19, v19
	s_mov_b32 s14, 0
	s_delay_alu instid0(VALU_DEP_1)
	v_max_num_f32_e32 v19, v19, v21
.LBB4_1367:                             ;   in Loop: Header=BB4_129 Depth=2
	s_and_b32 vcc_lo, exec_lo, s14
	s_cbranch_vccz .LBB4_1389
; %bb.1368:                             ;   in Loop: Header=BB4_129 Depth=2
	v_dual_mov_b32 v21, 0 :: v_dual_mov_b32 v19, 0
	s_and_saveexec_b32 s14, s10
	s_cbranch_execz .LBB4_1378
; %bb.1369:                             ;   in Loop: Header=BB4_129 Depth=2
	v_bfrev_b32_e32 v19, 1
	s_mov_b32 s10, exec_lo
	v_cmpx_ne_u32_e32 0x80, v20
	s_cbranch_execz .LBB4_1377
; %bb.1370:                             ;   in Loop: Header=BB4_129 Depth=2
	v_and_b32_e32 v19, 0x7c000000, v14
	v_bfe_u32 v22, v14, 24, 2
	s_delay_alu instid0(VALU_DEP_2) | instskip(SKIP_1) | instid1(SALU_CYCLE_1)
	v_cmp_ne_u32_e32 vcc_lo, 0x7c000000, v19
                                        ; implicit-def: $vgpr19
	s_and_saveexec_b32 s15, vcc_lo
	s_xor_b32 s15, exec_lo, s15
	s_cbranch_execz .LBB4_1374
; %bb.1371:                             ;   in Loop: Header=BB4_129 Depth=2
	v_bfe_u32 v19, v14, 26, 5
	s_mov_b32 s42, exec_lo
	s_delay_alu instid0(VALU_DEP_1)
	v_cmpx_eq_u32_e32 0, v19
; %bb.1372:                             ;   in Loop: Header=BB4_129 Depth=2
	v_clz_i32_u32_e32 v19, v22
	s_delay_alu instid0(VALU_DEP_1) | instskip(NEXT) | instid1(VALU_DEP_1)
	v_min_u32_e32 v19, 32, v19
	v_subrev_nc_u32_e32 v22, 29, v19
	s_delay_alu instid0(VALU_DEP_1) | instskip(NEXT) | instid1(VALU_DEP_1)
	v_lshlrev_b64_e32 v[22:23], v22, v[20:21]
	v_dual_sub_nc_u32 v19, 30, v19 :: v_dual_bitop2_b32 v22, 3, v22 bitop3:0x40
; %bb.1373:                             ;   in Loop: Header=BB4_129 Depth=2
	s_or_b32 exec_lo, exec_lo, s42
	v_and_b32_e32 v20, 0x80000000, v14
	s_delay_alu instid0(VALU_DEP_1) | instskip(NEXT) | instid1(VALU_DEP_1)
	v_lshl_add_u32 v19, v19, 23, v20
	v_lshl_or_b32 v19, v22, 21, v19
                                        ; implicit-def: $vgpr22
	s_delay_alu instid0(VALU_DEP_1)
	v_add_nc_u32_e32 v19, 0x38000000, v19
.LBB4_1374:                             ;   in Loop: Header=BB4_129 Depth=2
	s_and_not1_saveexec_b32 s15, s15
; %bb.1375:                             ;   in Loop: Header=BB4_129 Depth=2
	v_cmp_lt_i32_e32 vcc_lo, -1, v14
	v_cndmask_b32_e32 v19, 0xff800000, v126, vcc_lo
	v_cmp_eq_u32_e32 vcc_lo, 0, v22
	s_delay_alu instid0(VALU_DEP_2)
	v_cndmask_b32_e32 v19, 0x7f800001, v19, vcc_lo
; %bb.1376:                             ;   in Loop: Header=BB4_129 Depth=2
	s_or_b32 exec_lo, exec_lo, s15
.LBB4_1377:                             ;   in Loop: Header=BB4_129 Depth=2
	s_delay_alu instid0(SALU_CYCLE_1)
	s_or_b32 exec_lo, exec_lo, s10
.LBB4_1378:                             ;   in Loop: Header=BB4_129 Depth=2
	s_delay_alu instid0(SALU_CYCLE_1) | instskip(NEXT) | instid1(SALU_CYCLE_1)
	s_or_b32 exec_lo, exec_lo, s14
	s_mov_b32 s10, exec_lo
	v_cmpx_lt_u32_e32 0xffffff, v10
	s_cbranch_execz .LBB4_1388
; %bb.1379:                             ;   in Loop: Header=BB4_129 Depth=2
	v_bfrev_b32_e32 v21, 1
	s_mov_b32 s14, exec_lo
	v_cmpx_ne_u32_e32 0x80, v18
	s_cbranch_execz .LBB4_1387
; %bb.1380:                             ;   in Loop: Header=BB4_129 Depth=2
	v_and_b32_e32 v21, 0x7c000000, v10
	v_bfe_u32 v20, v10, 24, 2
	s_delay_alu instid0(VALU_DEP_2) | instskip(SKIP_1) | instid1(SALU_CYCLE_1)
	v_cmp_ne_u32_e32 vcc_lo, 0x7c000000, v21
                                        ; implicit-def: $vgpr21
	s_and_saveexec_b32 s15, vcc_lo
	s_xor_b32 s15, exec_lo, s15
	s_cbranch_execz .LBB4_1384
; %bb.1381:                             ;   in Loop: Header=BB4_129 Depth=2
	v_bfe_u32 v21, v10, 26, 5
	s_mov_b32 s42, exec_lo
	s_delay_alu instid0(VALU_DEP_1)
	v_cmpx_eq_u32_e32 0, v21
; %bb.1382:                             ;   in Loop: Header=BB4_129 Depth=2
	v_clz_i32_u32_e32 v20, v20
	s_delay_alu instid0(VALU_DEP_1) | instskip(NEXT) | instid1(VALU_DEP_1)
	v_min_u32_e32 v22, 32, v20
	v_subrev_nc_u32_e32 v20, 29, v22
	s_delay_alu instid0(VALU_DEP_1) | instskip(NEXT) | instid1(VALU_DEP_1)
	v_lshlrev_b64_e32 v[20:21], v20, v[18:19]
	v_dual_sub_nc_u32 v21, 30, v22 :: v_dual_bitop2_b32 v20, 3, v20 bitop3:0x40
; %bb.1383:                             ;   in Loop: Header=BB4_129 Depth=2
	s_or_b32 exec_lo, exec_lo, s42
	v_and_b32_e32 v18, 0x80000000, v10
	s_delay_alu instid0(VALU_DEP_1) | instskip(NEXT) | instid1(VALU_DEP_1)
	v_lshl_add_u32 v18, v21, 23, v18
	v_lshl_or_b32 v18, v20, 21, v18
                                        ; implicit-def: $vgpr20
	s_delay_alu instid0(VALU_DEP_1)
	v_add_nc_u32_e32 v21, 0x38000000, v18
.LBB4_1384:                             ;   in Loop: Header=BB4_129 Depth=2
	s_and_not1_saveexec_b32 s15, s15
; %bb.1385:                             ;   in Loop: Header=BB4_129 Depth=2
	v_cmp_lt_i32_e32 vcc_lo, -1, v10
	v_cndmask_b32_e32 v18, 0xff800000, v126, vcc_lo
	v_cmp_eq_u32_e32 vcc_lo, 0, v20
	s_delay_alu instid0(VALU_DEP_2)
	v_cndmask_b32_e32 v21, 0x7f800001, v18, vcc_lo
; %bb.1386:                             ;   in Loop: Header=BB4_129 Depth=2
	s_or_b32 exec_lo, exec_lo, s15
.LBB4_1387:                             ;   in Loop: Header=BB4_129 Depth=2
	s_delay_alu instid0(SALU_CYCLE_1)
	s_or_b32 exec_lo, exec_lo, s14
.LBB4_1388:                             ;   in Loop: Header=BB4_129 Depth=2
	s_delay_alu instid0(SALU_CYCLE_1) | instskip(NEXT) | instid1(VALU_DEP_1)
	s_or_b32 exec_lo, exec_lo, s10
	v_dual_max_num_f32 v18, v21, v21 :: v_dual_max_num_f32 v19, v19, v19
	s_delay_alu instid0(VALU_DEP_1)
	v_min_num_f32_e32 v19, v19, v18
.LBB4_1389:                             ;   in Loop: Header=BB4_129 Depth=2
	s_delay_alu instid0(VALU_DEP_1) | instskip(SKIP_3) | instid1(VALU_DEP_2)
	v_and_b32_e32 v20, 0x7f800000, v19
	v_dual_mov_b32 v21, v55 :: v_dual_lshrrev_b32 v18, 24, v19
	v_and_b32_e32 v54, 0x7fffff, v19
                                        ; implicit-def: $vgpr87
	s_mov_b32 s10, exec_lo
	v_cmpx_ne_u64_e32 0x7f800000, v[20:21]
	s_xor_b32 s14, exec_lo, s10
	s_cbranch_execz .LBB4_1403
; %bb.1390:                             ;   in Loop: Header=BB4_129 Depth=2
	v_and_b32_e32 v20, 0x7fffffff, v19
	v_mov_b32_e32 v21, v55
	v_and_b32_e32 v22, 0x80, v18
                                        ; implicit-def: $vgpr87
	s_mov_b32 s10, exec_lo
	s_delay_alu instid0(VALU_DEP_2)
	v_cmpx_gt_u64_e32 0x47600001, v[20:21]
	s_xor_b32 s15, exec_lo, s10
	s_cbranch_execz .LBB4_1400
; %bb.1391:                             ;   in Loop: Header=BB4_129 Depth=2
	v_mov_b32_e32 v87, 0
	s_mov_b32 s42, exec_lo
	v_cmpx_ne_u32_e32 0, v19
	s_cbranch_execz .LBB4_1399
; %bb.1392:                             ;   in Loop: Header=BB4_129 Depth=2
	v_bfe_u32 v23, v19, 23, 8
	v_or_b32_e32 v20, 0x800000, v54
	s_delay_alu instid0(VALU_DEP_2) | instskip(SKIP_1) | instid1(VALU_DEP_2)
	v_sub_nc_u32_e32 v18, 0x71, v23
	v_cmp_gt_u32_e32 vcc_lo, 0x72, v23
	v_cndmask_b32_e32 v18, 0, v18, vcc_lo
	v_cmp_eq_u32_e32 vcc_lo, 0, v23
	s_delay_alu instid0(VALU_DEP_2) | instskip(NEXT) | instid1(VALU_DEP_1)
	v_cndmask_b32_e64 v87, v18, 0x70, vcc_lo
	v_dual_cndmask_b32 v54, v20, v54, vcc_lo :: v_dual_add_nc_u32 v18, 21, v87
	v_add_nc_u32_e32 v21, 20, v87
	s_delay_alu instid0(VALU_DEP_2) | instskip(NEXT) | instid1(VALU_DEP_2)
	v_lshlrev_b64_e64 v[18:19], v18, -1
	v_lshlrev_b64_e64 v[20:21], v21, 1
	s_delay_alu instid0(VALU_DEP_2) | instskip(NEXT) | instid1(VALU_DEP_3)
	v_bfi_b32 v59, v19, 0, 0
	v_bfi_b32 v58, v18, 0, v54
	v_lshrrev_b64 v[18:19], v87, v[54:55]
	s_delay_alu instid0(VALU_DEP_2) | instskip(NEXT) | instid1(VALU_DEP_2)
	v_cmp_eq_u64_e64 s10, v[58:59], v[20:21]
	v_mov_b64_e32 v[20:21], v[18:19]
	s_and_saveexec_b32 s43, s10
; %bb.1393:                             ;   in Loop: Header=BB4_129 Depth=2
	v_bfe_u32 v54, v18, 21, 1
	s_delay_alu instid0(VALU_DEP_1) | instskip(NEXT) | instid1(VALU_DEP_1)
	v_add_nc_u64_e32 v[20:21], v[18:19], v[54:55]
	v_add_nc_u64_e32 v[20:21], -1, v[20:21]
; %bb.1394:                             ;   in Loop: Header=BB4_129 Depth=2
	s_or_b32 exec_lo, exec_lo, s43
	v_add_nc_u32_e32 v19, 0xffffff81, v23
	v_lshrrev_b32_e32 v21, 23, v18
	s_mov_b32 s10, exec_lo
	s_delay_alu instid0(VALU_DEP_2) | instskip(NEXT) | instid1(VALU_DEP_1)
	v_cndmask_b32_e64 v19, v19, 0xffffff82, vcc_lo
	v_add3_u32 v21, v87, v19, v21
	v_and_b32_e32 v19, 0x1fffff, v20
                                        ; implicit-def: $vgpr20
	s_delay_alu instid0(VALU_DEP_1) | instskip(NEXT) | instid1(VALU_DEP_1)
	v_dual_add_nc_u32 v23, 14, v21 :: v_dual_add_nc_u32 v54, v19, v18
                                        ; implicit-def: $vgpr18_vgpr19
	v_cmpx_ne_u32_e32 0, v23
	s_xor_b32 s10, exec_lo, s10
; %bb.1395:                             ;   in Loop: Header=BB4_129 Depth=2
	s_delay_alu instid0(VALU_DEP_2) | instskip(SKIP_1) | instid1(VALU_DEP_1)
	v_cmp_lt_u64_e32 vcc_lo, 0xffffff, v[54:55]
	v_add_nc_u32_e32 v18, 15, v21
	v_cndmask_b32_e32 v20, v23, v18, vcc_lo
	v_cndmask_b32_e64 v18, 0, 1, vcc_lo
	s_delay_alu instid0(VALU_DEP_1)
	v_lshrrev_b64 v[18:19], v18, v[54:55]
; %bb.1396:                             ;   in Loop: Header=BB4_129 Depth=2
	s_and_not1_saveexec_b32 s10, s10
; %bb.1397:                             ;   in Loop: Header=BB4_129 Depth=2
	v_mov_b64_e32 v[18:19], v[54:55]
	v_bfe_u32 v20, v54, 23, 1
; %bb.1398:                             ;   in Loop: Header=BB4_129 Depth=2
	s_or_b32 exec_lo, exec_lo, s10
	s_delay_alu instid0(VALU_DEP_2) | instskip(NEXT) | instid1(VALU_DEP_2)
	v_lshrrev_b64 v[18:19], 21, v[18:19]
	v_cmp_gt_i32_e32 vcc_lo, 32, v20
	v_min_i32_e32 v21, 31, v20
	v_cmp_eq_u32_e64 s10, 0, v20
	s_delay_alu instid0(VALU_DEP_2) | instskip(SKIP_1) | instid1(VALU_DEP_2)
	v_dual_cndmask_b32 v19, 0, v19, vcc_lo :: v_dual_lshlrev_b32 v21, 2, v21
	v_cndmask_b32_e32 v18, 3, v18, vcc_lo
	v_and_b32_e32 v21, 0xfc, v21
	s_delay_alu instid0(VALU_DEP_2) | instskip(NEXT) | instid1(VALU_DEP_2)
	v_cmp_eq_u64_e32 vcc_lo, 0, v[18:19]
	v_and_or_b32 v18, v18, 3, v21
	s_and_b32 s10, s10, vcc_lo
	s_delay_alu instid0(VALU_DEP_1) | instid1(SALU_CYCLE_1)
	v_cndmask_b32_e64 v18, v18, 0, s10
	s_delay_alu instid0(VALU_DEP_1)
	v_or_b32_e32 v87, v18, v22
.LBB4_1399:                             ;   in Loop: Header=BB4_129 Depth=2
	s_or_b32 exec_lo, exec_lo, s42
                                        ; implicit-def: $vgpr22
.LBB4_1400:                             ;   in Loop: Header=BB4_129 Depth=2
	s_and_not1_saveexec_b32 s10, s15
; %bb.1401:                             ;   in Loop: Header=BB4_129 Depth=2
	v_or_b32_e32 v87, 0x7b, v22
; %bb.1402:                             ;   in Loop: Header=BB4_129 Depth=2
	s_or_b32 exec_lo, exec_lo, s10
                                        ; implicit-def: $vgpr19
                                        ; implicit-def: $vgpr18
.LBB4_1403:                             ;   in Loop: Header=BB4_129 Depth=2
	s_and_not1_saveexec_b32 s10, s14
	s_cbranch_execz .LBB4_1409
; %bb.1404:                             ;   in Loop: Header=BB4_129 Depth=2
	s_mov_b32 s14, exec_lo
                                        ; implicit-def: $vgpr87
	v_cmpx_ne_u64_e32 0, v[54:55]
	s_xor_b32 s14, exec_lo, s14
; %bb.1405:                             ;   in Loop: Header=BB4_129 Depth=2
	v_or_b32_e32 v87, 0x7f, v18
                                        ; implicit-def: $vgpr19
; %bb.1406:                             ;   in Loop: Header=BB4_129 Depth=2
	s_and_not1_saveexec_b32 s14, s14
; %bb.1407:                             ;   in Loop: Header=BB4_129 Depth=2
	v_cmp_lt_i32_e32 vcc_lo, -1, v19
	v_cndmask_b32_e32 v87, 0xfc, v122, vcc_lo
; %bb.1408:                             ;   in Loop: Header=BB4_129 Depth=2
	s_or_b32 exec_lo, exec_lo, s14
.LBB4_1409:                             ;   in Loop: Header=BB4_129 Depth=2
	s_delay_alu instid0(SALU_CYCLE_1) | instskip(SKIP_4) | instid1(VALU_DEP_3)
	s_or_b32 exec_lo, exec_lo, s10
	v_and_b32_e32 v20, 0xff, v15
	v_dual_mov_b32 v54, v15 :: v_dual_mov_b32 v18, v11
	v_mov_b32_e32 v19, v55
	s_and_not1_b32 vcc_lo, exec_lo, s13
	v_cmp_ne_u16_e64 s10, 0, v20
	s_mov_b32 s14, -1
                                        ; implicit-def: $vgpr22
	s_cbranch_vccnz .LBB4_1431
; %bb.1410:                             ;   in Loop: Header=BB4_129 Depth=2
	v_dual_mov_b32 v22, 0 :: v_dual_mov_b32 v21, 0
	s_and_saveexec_b32 s14, s10
	s_cbranch_execz .LBB4_1420
; %bb.1411:                             ;   in Loop: Header=BB4_129 Depth=2
	v_bfrev_b32_e32 v21, 1
	s_mov_b32 s15, exec_lo
	v_cmpx_ne_u16_e32 0x80, v20
	s_cbranch_execz .LBB4_1419
; %bb.1412:                             ;   in Loop: Header=BB4_129 Depth=2
	v_and_b32_e32 v21, 0x7c, v15
	v_and_b32_e32 v23, 3, v15
	s_delay_alu instid0(VALU_DEP_2) | instskip(SKIP_1) | instid1(SALU_CYCLE_1)
	v_cmp_ne_u32_e32 vcc_lo, 0x7c, v21
                                        ; implicit-def: $vgpr21
	s_and_saveexec_b32 s42, vcc_lo
	s_xor_b32 s42, exec_lo, s42
	s_cbranch_execz .LBB4_1416
; %bb.1413:                             ;   in Loop: Header=BB4_129 Depth=2
	v_bfe_u32 v21, v15, 2, 5
	s_mov_b32 s43, exec_lo
	s_delay_alu instid0(VALU_DEP_1)
	v_cmpx_eq_u32_e32 0, v21
; %bb.1414:                             ;   in Loop: Header=BB4_129 Depth=2
	v_clz_i32_u32_e32 v21, v23
	s_delay_alu instid0(VALU_DEP_1) | instskip(NEXT) | instid1(VALU_DEP_1)
	v_min_u32_e32 v21, 32, v21
	v_subrev_nc_u32_e32 v23, 29, v21
	s_delay_alu instid0(VALU_DEP_1) | instskip(NEXT) | instid1(VALU_DEP_1)
	v_lshlrev_b64_e32 v[58:59], v23, v[54:55]
	v_dual_sub_nc_u32 v21, 30, v21 :: v_dual_bitop2_b32 v23, 3, v58 bitop3:0x40
; %bb.1415:                             ;   in Loop: Header=BB4_129 Depth=2
	s_or_b32 exec_lo, exec_lo, s43
	v_lshlrev_b32_e32 v82, 24, v15
	s_delay_alu instid0(VALU_DEP_1) | instskip(NEXT) | instid1(VALU_DEP_1)
	v_and_b32_e32 v82, 0x80000000, v82
	v_lshl_add_u32 v21, v21, 23, v82
	s_delay_alu instid0(VALU_DEP_1) | instskip(NEXT) | instid1(VALU_DEP_1)
	v_lshl_or_b32 v21, v23, 21, v21
                                        ; implicit-def: $vgpr23
	v_add_nc_u32_e32 v21, 0x38000000, v21
.LBB4_1416:                             ;   in Loop: Header=BB4_129 Depth=2
	s_and_not1_saveexec_b32 s42, s42
; %bb.1417:                             ;   in Loop: Header=BB4_129 Depth=2
	v_bfe_i32 v21, v15, 0, 8
	s_delay_alu instid0(VALU_DEP_1) | instskip(SKIP_2) | instid1(VALU_DEP_2)
	v_cmp_lt_i16_e32 vcc_lo, -1, v21
	v_cndmask_b32_e32 v21, 0xff800000, v126, vcc_lo
	v_cmp_eq_u32_e32 vcc_lo, 0, v23
	v_cndmask_b32_e32 v21, 0x7f800001, v21, vcc_lo
; %bb.1418:                             ;   in Loop: Header=BB4_129 Depth=2
	s_or_b32 exec_lo, exec_lo, s42
.LBB4_1419:                             ;   in Loop: Header=BB4_129 Depth=2
	s_delay_alu instid0(SALU_CYCLE_1)
	s_or_b32 exec_lo, exec_lo, s15
.LBB4_1420:                             ;   in Loop: Header=BB4_129 Depth=2
	s_delay_alu instid0(SALU_CYCLE_1) | instskip(SKIP_2) | instid1(VALU_DEP_1)
	s_or_b32 exec_lo, exec_lo, s14
	v_and_b32_e32 v23, 0xff, v11
	s_mov_b32 s14, exec_lo
	v_cmpx_ne_u16_e32 0, v23
	s_cbranch_execz .LBB4_1430
; %bb.1421:                             ;   in Loop: Header=BB4_129 Depth=2
	v_bfrev_b32_e32 v22, 1
	s_mov_b32 s15, exec_lo
	v_cmpx_ne_u16_e32 0x80, v23
	s_cbranch_execz .LBB4_1429
; %bb.1422:                             ;   in Loop: Header=BB4_129 Depth=2
	v_and_b32_e32 v22, 0x7c, v11
	v_and_b32_e32 v23, 3, v11
	s_delay_alu instid0(VALU_DEP_2) | instskip(SKIP_1) | instid1(SALU_CYCLE_1)
	v_cmp_ne_u32_e32 vcc_lo, 0x7c, v22
                                        ; implicit-def: $vgpr22
	s_and_saveexec_b32 s42, vcc_lo
	s_xor_b32 s42, exec_lo, s42
	s_cbranch_execz .LBB4_1426
; %bb.1423:                             ;   in Loop: Header=BB4_129 Depth=2
	v_bfe_u32 v22, v11, 2, 5
	s_mov_b32 s43, exec_lo
	s_delay_alu instid0(VALU_DEP_1)
	v_cmpx_eq_u32_e32 0, v22
; %bb.1424:                             ;   in Loop: Header=BB4_129 Depth=2
	v_clz_i32_u32_e32 v22, v23
	s_delay_alu instid0(VALU_DEP_1) | instskip(NEXT) | instid1(VALU_DEP_1)
	v_min_u32_e32 v22, 32, v22
	v_subrev_nc_u32_e32 v23, 29, v22
	v_sub_nc_u32_e32 v22, 30, v22
	s_delay_alu instid0(VALU_DEP_2) | instskip(NEXT) | instid1(VALU_DEP_1)
	v_lshlrev_b64_e32 v[58:59], v23, v[18:19]
	v_and_b32_e32 v23, 3, v58
; %bb.1425:                             ;   in Loop: Header=BB4_129 Depth=2
	s_or_b32 exec_lo, exec_lo, s43
	v_lshlrev_b32_e32 v82, 24, v11
	s_delay_alu instid0(VALU_DEP_1) | instskip(NEXT) | instid1(VALU_DEP_1)
	v_and_b32_e32 v82, 0x80000000, v82
	v_lshl_add_u32 v22, v22, 23, v82
	s_delay_alu instid0(VALU_DEP_1) | instskip(NEXT) | instid1(VALU_DEP_1)
	v_lshl_or_b32 v22, v23, 21, v22
                                        ; implicit-def: $vgpr23
	v_add_nc_u32_e32 v22, 0x38000000, v22
.LBB4_1426:                             ;   in Loop: Header=BB4_129 Depth=2
	s_and_not1_saveexec_b32 s42, s42
; %bb.1427:                             ;   in Loop: Header=BB4_129 Depth=2
	v_bfe_i32 v22, v11, 0, 8
	s_delay_alu instid0(VALU_DEP_1) | instskip(SKIP_2) | instid1(VALU_DEP_2)
	v_cmp_lt_i16_e32 vcc_lo, -1, v22
	v_cndmask_b32_e32 v22, 0xff800000, v126, vcc_lo
	v_cmp_eq_u32_e32 vcc_lo, 0, v23
	v_cndmask_b32_e32 v22, 0x7f800001, v22, vcc_lo
; %bb.1428:                             ;   in Loop: Header=BB4_129 Depth=2
	s_or_b32 exec_lo, exec_lo, s42
.LBB4_1429:                             ;   in Loop: Header=BB4_129 Depth=2
	s_delay_alu instid0(SALU_CYCLE_1)
	s_or_b32 exec_lo, exec_lo, s15
.LBB4_1430:                             ;   in Loop: Header=BB4_129 Depth=2
	s_delay_alu instid0(SALU_CYCLE_1) | instskip(NEXT) | instid1(VALU_DEP_1)
	s_or_b32 exec_lo, exec_lo, s14
	v_dual_max_num_f32 v22, v22, v22 :: v_dual_max_num_f32 v21, v21, v21
	s_mov_b32 s14, 0
	s_delay_alu instid0(VALU_DEP_1)
	v_max_num_f32_e32 v22, v21, v22
.LBB4_1431:                             ;   in Loop: Header=BB4_129 Depth=2
	s_and_b32 vcc_lo, exec_lo, s14
	s_cbranch_vccz .LBB4_1453
; %bb.1432:                             ;   in Loop: Header=BB4_129 Depth=2
	v_dual_mov_b32 v22, 0 :: v_dual_mov_b32 v21, 0
	s_and_saveexec_b32 s14, s10
	s_cbranch_execz .LBB4_1442
; %bb.1433:                             ;   in Loop: Header=BB4_129 Depth=2
	v_bfrev_b32_e32 v21, 1
	s_mov_b32 s10, exec_lo
	v_cmpx_ne_u16_e32 0x80, v20
	s_cbranch_execz .LBB4_1441
; %bb.1434:                             ;   in Loop: Header=BB4_129 Depth=2
	v_and_b32_e32 v21, 0x7c, v15
	v_and_b32_e32 v20, 3, v15
	s_delay_alu instid0(VALU_DEP_2) | instskip(SKIP_1) | instid1(SALU_CYCLE_1)
	v_cmp_ne_u32_e32 vcc_lo, 0x7c, v21
                                        ; implicit-def: $vgpr21
	s_and_saveexec_b32 s15, vcc_lo
	s_xor_b32 s15, exec_lo, s15
	s_cbranch_execz .LBB4_1438
; %bb.1435:                             ;   in Loop: Header=BB4_129 Depth=2
	v_bfe_u32 v21, v15, 2, 5
	s_mov_b32 s42, exec_lo
	s_delay_alu instid0(VALU_DEP_1)
	v_cmpx_eq_u32_e32 0, v21
; %bb.1436:                             ;   in Loop: Header=BB4_129 Depth=2
	v_clz_i32_u32_e32 v20, v20
	s_delay_alu instid0(VALU_DEP_1) | instskip(NEXT) | instid1(VALU_DEP_1)
	v_min_u32_e32 v23, 32, v20
	v_subrev_nc_u32_e32 v20, 29, v23
	s_delay_alu instid0(VALU_DEP_1) | instskip(NEXT) | instid1(VALU_DEP_1)
	v_lshlrev_b64_e32 v[20:21], v20, v[54:55]
	v_dual_sub_nc_u32 v21, 30, v23 :: v_dual_bitop2_b32 v20, 3, v20 bitop3:0x40
; %bb.1437:                             ;   in Loop: Header=BB4_129 Depth=2
	s_or_b32 exec_lo, exec_lo, s42
	v_lshlrev_b32_e32 v23, 24, v15
	s_delay_alu instid0(VALU_DEP_1) | instskip(NEXT) | instid1(VALU_DEP_1)
	v_and_b32_e32 v23, 0x80000000, v23
	v_lshl_add_u32 v21, v21, 23, v23
	s_delay_alu instid0(VALU_DEP_1) | instskip(NEXT) | instid1(VALU_DEP_1)
	v_lshl_or_b32 v20, v20, 21, v21
	v_add_nc_u32_e32 v21, 0x38000000, v20
                                        ; implicit-def: $vgpr20
.LBB4_1438:                             ;   in Loop: Header=BB4_129 Depth=2
	s_and_not1_saveexec_b32 s15, s15
; %bb.1439:                             ;   in Loop: Header=BB4_129 Depth=2
	v_bfe_i32 v21, v15, 0, 8
	s_delay_alu instid0(VALU_DEP_1) | instskip(SKIP_2) | instid1(VALU_DEP_2)
	v_cmp_lt_i16_e32 vcc_lo, -1, v21
	v_cndmask_b32_e32 v21, 0xff800000, v126, vcc_lo
	v_cmp_eq_u32_e32 vcc_lo, 0, v20
	v_cndmask_b32_e32 v21, 0x7f800001, v21, vcc_lo
; %bb.1440:                             ;   in Loop: Header=BB4_129 Depth=2
	s_or_b32 exec_lo, exec_lo, s15
.LBB4_1441:                             ;   in Loop: Header=BB4_129 Depth=2
	s_delay_alu instid0(SALU_CYCLE_1)
	s_or_b32 exec_lo, exec_lo, s10
.LBB4_1442:                             ;   in Loop: Header=BB4_129 Depth=2
	s_delay_alu instid0(SALU_CYCLE_1) | instskip(SKIP_2) | instid1(VALU_DEP_1)
	s_or_b32 exec_lo, exec_lo, s14
	v_and_b32_e32 v20, 0xff, v11
	s_mov_b32 s10, exec_lo
	v_cmpx_ne_u16_e32 0, v20
	s_cbranch_execz .LBB4_1452
; %bb.1443:                             ;   in Loop: Header=BB4_129 Depth=2
	v_bfrev_b32_e32 v22, 1
	s_mov_b32 s14, exec_lo
	v_cmpx_ne_u16_e32 0x80, v20
	s_cbranch_execz .LBB4_1451
; %bb.1444:                             ;   in Loop: Header=BB4_129 Depth=2
	v_and_b32_e32 v22, 0x7c, v11
	v_and_b32_e32 v20, 3, v11
	s_delay_alu instid0(VALU_DEP_2) | instskip(SKIP_1) | instid1(SALU_CYCLE_1)
	v_cmp_ne_u32_e32 vcc_lo, 0x7c, v22
                                        ; implicit-def: $vgpr22
	s_and_saveexec_b32 s15, vcc_lo
	s_xor_b32 s15, exec_lo, s15
	s_cbranch_execz .LBB4_1448
; %bb.1445:                             ;   in Loop: Header=BB4_129 Depth=2
	v_bfe_u32 v22, v11, 2, 5
	s_mov_b32 s42, exec_lo
	s_delay_alu instid0(VALU_DEP_1)
	v_cmpx_eq_u32_e32 0, v22
; %bb.1446:                             ;   in Loop: Header=BB4_129 Depth=2
	v_clz_i32_u32_e32 v20, v20
	s_delay_alu instid0(VALU_DEP_1) | instskip(NEXT) | instid1(VALU_DEP_1)
	v_min_u32_e32 v20, 32, v20
	v_subrev_nc_u32_e32 v22, 29, v20
	s_delay_alu instid0(VALU_DEP_1) | instskip(NEXT) | instid1(VALU_DEP_1)
	v_lshlrev_b64_e32 v[58:59], v22, v[18:19]
	v_dual_sub_nc_u32 v22, 30, v20 :: v_dual_bitop2_b32 v20, 3, v58 bitop3:0x40
; %bb.1447:                             ;   in Loop: Header=BB4_129 Depth=2
	s_or_b32 exec_lo, exec_lo, s42
	v_lshlrev_b32_e32 v19, 24, v11
	s_delay_alu instid0(VALU_DEP_1) | instskip(NEXT) | instid1(VALU_DEP_1)
	v_and_b32_e32 v19, 0x80000000, v19
	v_lshl_add_u32 v19, v22, 23, v19
	s_delay_alu instid0(VALU_DEP_1) | instskip(NEXT) | instid1(VALU_DEP_1)
	v_lshl_or_b32 v19, v20, 21, v19
                                        ; implicit-def: $vgpr20
	v_add_nc_u32_e32 v22, 0x38000000, v19
.LBB4_1448:                             ;   in Loop: Header=BB4_129 Depth=2
	s_and_not1_saveexec_b32 s15, s15
; %bb.1449:                             ;   in Loop: Header=BB4_129 Depth=2
	v_bfe_i32 v19, v11, 0, 8
	s_delay_alu instid0(VALU_DEP_1) | instskip(SKIP_2) | instid1(VALU_DEP_2)
	v_cmp_lt_i16_e32 vcc_lo, -1, v19
	v_cndmask_b32_e32 v19, 0xff800000, v126, vcc_lo
	v_cmp_eq_u32_e32 vcc_lo, 0, v20
	v_cndmask_b32_e32 v22, 0x7f800001, v19, vcc_lo
; %bb.1450:                             ;   in Loop: Header=BB4_129 Depth=2
	s_or_b32 exec_lo, exec_lo, s15
.LBB4_1451:                             ;   in Loop: Header=BB4_129 Depth=2
	s_delay_alu instid0(SALU_CYCLE_1)
	s_or_b32 exec_lo, exec_lo, s14
.LBB4_1452:                             ;   in Loop: Header=BB4_129 Depth=2
	s_delay_alu instid0(SALU_CYCLE_1) | instskip(NEXT) | instid1(VALU_DEP_1)
	s_or_b32 exec_lo, exec_lo, s10
	v_dual_max_num_f32 v19, v22, v22 :: v_dual_max_num_f32 v20, v21, v21
	s_delay_alu instid0(VALU_DEP_1)
	v_min_num_f32_e32 v22, v20, v19
.LBB4_1453:                             ;   in Loop: Header=BB4_129 Depth=2
	s_delay_alu instid0(VALU_DEP_1) | instskip(SKIP_3) | instid1(VALU_DEP_3)
	v_and_b32_e32 v58, 0x7f800000, v22
	v_dual_mov_b32 v59, v55 :: v_dual_mov_b32 v21, v55
	v_and_b32_e32 v20, 0x7fffff, v22
	v_lshrrev_b32_e32 v19, 24, v22
	v_cmp_ne_u64_e32 vcc_lo, 0x7f800000, v[58:59]
                                        ; implicit-def: $vgpr58
	s_and_saveexec_b32 s10, vcc_lo
	s_delay_alu instid0(SALU_CYCLE_1)
	s_xor_b32 s14, exec_lo, s10
	s_cbranch_execz .LBB4_1467
; %bb.1454:                             ;   in Loop: Header=BB4_129 Depth=2
	v_and_b32_e32 v58, 0x7fffffff, v22
	v_mov_b32_e32 v59, v55
	v_and_b32_e32 v19, 0x80, v19
	s_delay_alu instid0(VALU_DEP_2) | instskip(SKIP_1) | instid1(SALU_CYCLE_1)
	v_cmp_gt_u64_e32 vcc_lo, 0x47600001, v[58:59]
                                        ; implicit-def: $vgpr58
	s_and_saveexec_b32 s10, vcc_lo
	s_xor_b32 s15, exec_lo, s10
	s_cbranch_execz .LBB4_1464
; %bb.1455:                             ;   in Loop: Header=BB4_129 Depth=2
	v_mov_b32_e32 v58, 0
	s_mov_b32 s42, exec_lo
	v_cmpx_ne_u32_e32 0, v22
	s_cbranch_execz .LBB4_1463
; %bb.1456:                             ;   in Loop: Header=BB4_129 Depth=2
	v_bfe_u32 v58, v22, 23, 8
	v_or_b32_e32 v82, 0x800000, v20
	s_delay_alu instid0(VALU_DEP_2) | instskip(SKIP_1) | instid1(VALU_DEP_2)
	v_sub_nc_u32_e32 v22, 0x71, v58
	v_cmp_gt_u32_e32 vcc_lo, 0x72, v58
	v_cndmask_b32_e32 v22, 0, v22, vcc_lo
	v_cmp_eq_u32_e32 vcc_lo, 0, v58
	s_delay_alu instid0(VALU_DEP_2) | instskip(NEXT) | instid1(VALU_DEP_1)
	v_cndmask_b32_e64 v59, v22, 0x70, vcc_lo
	v_dual_cndmask_b32 v20, v82, v20, vcc_lo :: v_dual_add_nc_u32 v22, 21, v59
	v_add_nc_u32_e32 v83, 20, v59
	s_delay_alu instid0(VALU_DEP_2) | instskip(NEXT) | instid1(VALU_DEP_2)
	v_lshlrev_b64_e64 v[22:23], v22, -1
	v_lshlrev_b64_e64 v[60:61], v83, 1
	s_delay_alu instid0(VALU_DEP_2) | instskip(SKIP_1) | instid1(VALU_DEP_4)
	v_bfi_b32 v22, v22, 0, v20
	v_lshrrev_b64 v[20:21], v59, v[20:21]
	v_bfi_b32 v23, v23, 0, 0
	s_delay_alu instid0(VALU_DEP_1) | instskip(NEXT) | instid1(VALU_DEP_3)
	v_cmp_eq_u64_e64 s10, v[22:23], v[60:61]
	v_mov_b64_e32 v[22:23], v[20:21]
	s_and_saveexec_b32 s43, s10
; %bb.1457:                             ;   in Loop: Header=BB4_129 Depth=2
	v_bfe_u32 v22, v20, 21, 1
	v_mov_b32_e32 v23, v55
	s_delay_alu instid0(VALU_DEP_1) | instskip(NEXT) | instid1(VALU_DEP_1)
	v_add_nc_u64_e32 v[22:23], v[20:21], v[22:23]
	v_add_nc_u64_e32 v[22:23], -1, v[22:23]
; %bb.1458:                             ;   in Loop: Header=BB4_129 Depth=2
	s_or_b32 exec_lo, exec_lo, s43
	v_add_nc_u32_e32 v21, 0xffffff81, v58
	v_lshrrev_b32_e32 v23, 23, v20
	s_mov_b32 s10, exec_lo
	s_delay_alu instid0(VALU_DEP_2) | instskip(NEXT) | instid1(VALU_DEP_1)
	v_cndmask_b32_e64 v21, v21, 0xffffff82, vcc_lo
	v_add3_u32 v23, v59, v21, v23
	v_and_b32_e32 v21, 0x1fffff, v22
                                        ; implicit-def: $vgpr22
	s_delay_alu instid0(VALU_DEP_1) | instskip(SKIP_1) | instid1(VALU_DEP_2)
	v_dual_add_nc_u32 v58, 14, v23 :: v_dual_add_nc_u32 v20, v21, v20
	v_mov_b32_e32 v21, v55
	v_cmpx_ne_u32_e32 0, v58
	s_xor_b32 s10, exec_lo, s10
; %bb.1459:                             ;   in Loop: Header=BB4_129 Depth=2
	s_delay_alu instid0(VALU_DEP_2) | instskip(SKIP_2) | instid1(VALU_DEP_2)
	v_cmp_lt_u64_e32 vcc_lo, 0xffffff, v[20:21]
	v_add_nc_u32_e32 v22, 15, v23
	v_cndmask_b32_e64 v23, 0, 1, vcc_lo
	v_cndmask_b32_e32 v22, v58, v22, vcc_lo
	s_delay_alu instid0(VALU_DEP_2)
	v_lshrrev_b64 v[20:21], v23, v[20:21]
; %bb.1460:                             ;   in Loop: Header=BB4_129 Depth=2
	s_and_not1_saveexec_b32 s10, s10
; %bb.1461:                             ;   in Loop: Header=BB4_129 Depth=2
	s_delay_alu instid0(VALU_DEP_1)
	v_bfe_u32 v22, v20, 23, 1
; %bb.1462:                             ;   in Loop: Header=BB4_129 Depth=2
	s_or_b32 exec_lo, exec_lo, s10
	s_delay_alu instid0(VALU_DEP_2) | instskip(NEXT) | instid1(VALU_DEP_2)
	v_lshrrev_b64 v[20:21], 21, v[20:21]
	v_cmp_gt_i32_e32 vcc_lo, 32, v22
	v_min_i32_e32 v23, 31, v22
	v_cmp_eq_u32_e64 s10, 0, v22
	s_delay_alu instid0(VALU_DEP_2) | instskip(SKIP_1) | instid1(VALU_DEP_2)
	v_dual_cndmask_b32 v21, 0, v21, vcc_lo :: v_dual_lshlrev_b32 v23, 2, v23
	v_cndmask_b32_e32 v20, 3, v20, vcc_lo
	v_and_b32_e32 v23, 0xfc, v23
	s_delay_alu instid0(VALU_DEP_2) | instskip(NEXT) | instid1(VALU_DEP_2)
	v_cmp_eq_u64_e32 vcc_lo, 0, v[20:21]
	v_and_or_b32 v20, v20, 3, v23
	s_and_b32 s10, s10, vcc_lo
	s_delay_alu instid0(VALU_DEP_1) | instid1(SALU_CYCLE_1)
	v_cndmask_b32_e64 v20, v20, 0, s10
	s_delay_alu instid0(VALU_DEP_1)
	v_or_b32_e32 v58, v20, v19
.LBB4_1463:                             ;   in Loop: Header=BB4_129 Depth=2
	s_or_b32 exec_lo, exec_lo, s42
                                        ; implicit-def: $vgpr19
.LBB4_1464:                             ;   in Loop: Header=BB4_129 Depth=2
	s_and_not1_saveexec_b32 s10, s15
; %bb.1465:                             ;   in Loop: Header=BB4_129 Depth=2
	v_or_b32_e32 v58, 0x7b, v19
; %bb.1466:                             ;   in Loop: Header=BB4_129 Depth=2
	s_or_b32 exec_lo, exec_lo, s10
                                        ; implicit-def: $vgpr22
                                        ; implicit-def: $vgpr20_vgpr21
                                        ; implicit-def: $vgpr19
.LBB4_1467:                             ;   in Loop: Header=BB4_129 Depth=2
	s_and_not1_saveexec_b32 s10, s14
	s_cbranch_execz .LBB4_1473
; %bb.1468:                             ;   in Loop: Header=BB4_129 Depth=2
	s_mov_b32 s14, exec_lo
                                        ; implicit-def: $vgpr58
	v_cmpx_ne_u64_e32 0, v[20:21]
	s_xor_b32 s14, exec_lo, s14
; %bb.1469:                             ;   in Loop: Header=BB4_129 Depth=2
	v_or_b32_e32 v58, 0x7f, v19
                                        ; implicit-def: $vgpr22
; %bb.1470:                             ;   in Loop: Header=BB4_129 Depth=2
	s_and_not1_saveexec_b32 s14, s14
; %bb.1471:                             ;   in Loop: Header=BB4_129 Depth=2
	v_cmp_lt_i32_e32 vcc_lo, -1, v22
	v_cndmask_b32_e32 v58, 0xfc, v122, vcc_lo
; %bb.1472:                             ;   in Loop: Header=BB4_129 Depth=2
	s_or_b32 exec_lo, exec_lo, s14
.LBB4_1473:                             ;   in Loop: Header=BB4_129 Depth=2
	s_delay_alu instid0(SALU_CYCLE_1) | instskip(SKIP_4) | instid1(VALU_DEP_2)
	s_or_b32 exec_lo, exec_lo, s10
	v_lshrrev_b16 v22, 8, v54
	v_lshrrev_b16 v20, 8, v18
	s_and_not1_b32 vcc_lo, exec_lo, s13
	s_mov_b32 s14, -1
                                        ; implicit-def: $vgpr21
	v_and_b32_e32 v19, 0xffff, v22
	v_cmp_ne_u16_e64 s10, 0, v22
	s_cbranch_vccnz .LBB4_1495
; %bb.1474:                             ;   in Loop: Header=BB4_129 Depth=2
	v_dual_mov_b32 v21, 0 :: v_dual_mov_b32 v23, 0
	s_and_saveexec_b32 s14, s10
	s_cbranch_execz .LBB4_1484
; %bb.1475:                             ;   in Loop: Header=BB4_129 Depth=2
	v_bfrev_b32_e32 v23, 1
	s_mov_b32 s15, exec_lo
	v_cmpx_ne_u16_e32 0x80, v22
	s_cbranch_execz .LBB4_1483
; %bb.1476:                             ;   in Loop: Header=BB4_129 Depth=2
	v_and_b32_e32 v23, 0x7c, v19
	v_and_b32_e32 v59, 3, v19
	s_delay_alu instid0(VALU_DEP_2) | instskip(SKIP_1) | instid1(SALU_CYCLE_1)
	v_cmp_ne_u32_e32 vcc_lo, 0x7c, v23
                                        ; implicit-def: $vgpr23
	s_and_saveexec_b32 s42, vcc_lo
	s_xor_b32 s42, exec_lo, s42
	s_cbranch_execz .LBB4_1480
; %bb.1477:                             ;   in Loop: Header=BB4_129 Depth=2
	v_bfe_u32 v23, v19, 2, 5
	s_mov_b32 s43, exec_lo
	s_delay_alu instid0(VALU_DEP_1)
	v_cmpx_eq_u32_e32 0, v23
; %bb.1478:                             ;   in Loop: Header=BB4_129 Depth=2
	v_clz_i32_u32_e32 v23, v59
	s_delay_alu instid0(VALU_DEP_1) | instskip(SKIP_1) | instid1(VALU_DEP_2)
	v_min_u32_e32 v82, 32, v23
	v_mov_b32_e32 v23, v55
	v_subrev_nc_u32_e32 v83, 29, v82
	s_delay_alu instid0(VALU_DEP_1) | instskip(NEXT) | instid1(VALU_DEP_1)
	v_lshlrev_b64_e32 v[60:61], v83, v[22:23]
	v_dual_sub_nc_u32 v23, 30, v82 :: v_dual_bitop2_b32 v59, 3, v60 bitop3:0x40
; %bb.1479:                             ;   in Loop: Header=BB4_129 Depth=2
	s_or_b32 exec_lo, exec_lo, s43
	v_lshlrev_b32_e32 v82, 16, v54
	s_delay_alu instid0(VALU_DEP_1) | instskip(NEXT) | instid1(VALU_DEP_1)
	v_and_b32_e32 v82, 0x80000000, v82
	v_lshl_add_u32 v23, v23, 23, v82
	s_delay_alu instid0(VALU_DEP_1) | instskip(NEXT) | instid1(VALU_DEP_1)
	v_lshl_or_b32 v23, v59, 21, v23
                                        ; implicit-def: $vgpr59
	v_add_nc_u32_e32 v23, 0x38000000, v23
.LBB4_1480:                             ;   in Loop: Header=BB4_129 Depth=2
	s_and_not1_saveexec_b32 s42, s42
; %bb.1481:                             ;   in Loop: Header=BB4_129 Depth=2
	v_cmp_lt_i16_e32 vcc_lo, -1, v54
	v_cndmask_b32_e32 v23, 0xff800000, v126, vcc_lo
	v_cmp_eq_u32_e32 vcc_lo, 0, v59
	s_delay_alu instid0(VALU_DEP_2)
	v_cndmask_b32_e32 v23, 0x7f800001, v23, vcc_lo
; %bb.1482:                             ;   in Loop: Header=BB4_129 Depth=2
	s_or_b32 exec_lo, exec_lo, s42
.LBB4_1483:                             ;   in Loop: Header=BB4_129 Depth=2
	s_delay_alu instid0(SALU_CYCLE_1)
	s_or_b32 exec_lo, exec_lo, s15
.LBB4_1484:                             ;   in Loop: Header=BB4_129 Depth=2
	s_delay_alu instid0(SALU_CYCLE_1) | instskip(NEXT) | instid1(SALU_CYCLE_1)
	s_or_b32 exec_lo, exec_lo, s14
	s_mov_b32 s14, exec_lo
	v_cmpx_ne_u16_e32 0, v20
	s_cbranch_execz .LBB4_1494
; %bb.1485:                             ;   in Loop: Header=BB4_129 Depth=2
	v_bfrev_b32_e32 v21, 1
	s_mov_b32 s15, exec_lo
	v_cmpx_ne_u16_e32 0x80, v20
	s_cbranch_execz .LBB4_1493
; %bb.1486:                             ;   in Loop: Header=BB4_129 Depth=2
	v_and_b32_e32 v60, 0xffff, v20
	s_delay_alu instid0(VALU_DEP_1) | instskip(SKIP_1) | instid1(VALU_DEP_2)
	v_and_b32_e32 v21, 0x7c, v60
	v_and_b32_e32 v59, 3, v60
	v_cmp_ne_u32_e32 vcc_lo, 0x7c, v21
                                        ; implicit-def: $vgpr21
	s_and_saveexec_b32 s42, vcc_lo
	s_delay_alu instid0(SALU_CYCLE_1)
	s_xor_b32 s42, exec_lo, s42
	s_cbranch_execz .LBB4_1490
; %bb.1487:                             ;   in Loop: Header=BB4_129 Depth=2
	v_bfe_u32 v21, v60, 2, 5
	s_mov_b32 s43, exec_lo
	s_delay_alu instid0(VALU_DEP_1)
	v_cmpx_eq_u32_e32 0, v21
; %bb.1488:                             ;   in Loop: Header=BB4_129 Depth=2
	v_clz_i32_u32_e32 v21, v59
	s_delay_alu instid0(VALU_DEP_1) | instskip(SKIP_1) | instid1(VALU_DEP_2)
	v_min_u32_e32 v82, 32, v21
	v_mov_b32_e32 v21, v55
	v_subrev_nc_u32_e32 v83, 29, v82
	s_delay_alu instid0(VALU_DEP_1) | instskip(NEXT) | instid1(VALU_DEP_1)
	v_lshlrev_b64_e32 v[60:61], v83, v[20:21]
	v_dual_sub_nc_u32 v21, 30, v82 :: v_dual_bitop2_b32 v59, 3, v60 bitop3:0x40
; %bb.1489:                             ;   in Loop: Header=BB4_129 Depth=2
	s_or_b32 exec_lo, exec_lo, s43
	v_lshlrev_b32_e32 v82, 16, v18
	s_delay_alu instid0(VALU_DEP_1) | instskip(NEXT) | instid1(VALU_DEP_1)
	v_and_b32_e32 v82, 0x80000000, v82
	v_lshl_add_u32 v21, v21, 23, v82
	s_delay_alu instid0(VALU_DEP_1) | instskip(NEXT) | instid1(VALU_DEP_1)
	v_lshl_or_b32 v21, v59, 21, v21
                                        ; implicit-def: $vgpr59
	v_add_nc_u32_e32 v21, 0x38000000, v21
.LBB4_1490:                             ;   in Loop: Header=BB4_129 Depth=2
	s_and_not1_saveexec_b32 s42, s42
; %bb.1491:                             ;   in Loop: Header=BB4_129 Depth=2
	v_cmp_lt_i16_e32 vcc_lo, -1, v18
	v_cndmask_b32_e32 v21, 0xff800000, v126, vcc_lo
	v_cmp_eq_u32_e32 vcc_lo, 0, v59
	s_delay_alu instid0(VALU_DEP_2)
	v_cndmask_b32_e32 v21, 0x7f800001, v21, vcc_lo
; %bb.1492:                             ;   in Loop: Header=BB4_129 Depth=2
	s_or_b32 exec_lo, exec_lo, s42
.LBB4_1493:                             ;   in Loop: Header=BB4_129 Depth=2
	s_delay_alu instid0(SALU_CYCLE_1)
	s_or_b32 exec_lo, exec_lo, s15
.LBB4_1494:                             ;   in Loop: Header=BB4_129 Depth=2
	s_delay_alu instid0(SALU_CYCLE_1) | instskip(NEXT) | instid1(VALU_DEP_1)
	s_or_b32 exec_lo, exec_lo, s14
	v_dual_max_num_f32 v21, v21, v21 :: v_dual_max_num_f32 v23, v23, v23
	s_mov_b32 s14, 0
	s_delay_alu instid0(VALU_DEP_1)
	v_max_num_f32_e32 v21, v23, v21
.LBB4_1495:                             ;   in Loop: Header=BB4_129 Depth=2
	s_and_b32 vcc_lo, exec_lo, s14
	s_cbranch_vccz .LBB4_1517
; %bb.1496:                             ;   in Loop: Header=BB4_129 Depth=2
	v_dual_mov_b32 v21, 0 :: v_dual_mov_b32 v23, 0
	s_and_saveexec_b32 s14, s10
	s_cbranch_execz .LBB4_1506
; %bb.1497:                             ;   in Loop: Header=BB4_129 Depth=2
	v_bfrev_b32_e32 v23, 1
	s_mov_b32 s10, exec_lo
	v_cmpx_ne_u16_e32 0x80, v22
	s_cbranch_execz .LBB4_1505
; %bb.1498:                             ;   in Loop: Header=BB4_129 Depth=2
	v_and_b32_e32 v23, 0x7c, v19
	v_and_b32_e32 v59, 3, v19
	s_delay_alu instid0(VALU_DEP_2) | instskip(SKIP_1) | instid1(SALU_CYCLE_1)
	v_cmp_ne_u32_e32 vcc_lo, 0x7c, v23
                                        ; implicit-def: $vgpr23
	s_and_saveexec_b32 s15, vcc_lo
	s_xor_b32 s15, exec_lo, s15
	s_cbranch_execz .LBB4_1502
; %bb.1499:                             ;   in Loop: Header=BB4_129 Depth=2
	v_bfe_u32 v19, v19, 2, 5
	s_mov_b32 s42, exec_lo
	s_delay_alu instid0(VALU_DEP_1)
	v_cmpx_eq_u32_e32 0, v19
	s_cbranch_execz .LBB4_1501
; %bb.1500:                             ;   in Loop: Header=BB4_129 Depth=2
	v_clz_i32_u32_e32 v19, v59
	s_delay_alu instid0(VALU_DEP_1) | instskip(SKIP_1) | instid1(VALU_DEP_2)
	v_min_u32_e32 v19, 32, v19
	v_mov_b32_e32 v23, v55
	v_subrev_nc_u32_e32 v82, 29, v19
	v_sub_nc_u32_e32 v19, 30, v19
	s_delay_alu instid0(VALU_DEP_2) | instskip(NEXT) | instid1(VALU_DEP_1)
	v_lshlrev_b64_e32 v[22:23], v82, v[22:23]
	v_and_b32_e32 v59, 3, v22
.LBB4_1501:                             ;   in Loop: Header=BB4_129 Depth=2
	s_or_b32 exec_lo, exec_lo, s42
	v_lshlrev_b32_e32 v22, 16, v54
	s_delay_alu instid0(VALU_DEP_1) | instskip(NEXT) | instid1(VALU_DEP_1)
	v_and_b32_e32 v22, 0x80000000, v22
	v_lshl_add_u32 v19, v19, 23, v22
	s_delay_alu instid0(VALU_DEP_1) | instskip(NEXT) | instid1(VALU_DEP_1)
	v_lshl_or_b32 v19, v59, 21, v19
                                        ; implicit-def: $vgpr59
	v_add_nc_u32_e32 v23, 0x38000000, v19
.LBB4_1502:                             ;   in Loop: Header=BB4_129 Depth=2
	s_and_not1_saveexec_b32 s15, s15
; %bb.1503:                             ;   in Loop: Header=BB4_129 Depth=2
	v_cmp_lt_i16_e32 vcc_lo, -1, v54
	v_cndmask_b32_e32 v19, 0xff800000, v126, vcc_lo
	v_cmp_eq_u32_e32 vcc_lo, 0, v59
	s_delay_alu instid0(VALU_DEP_2)
	v_cndmask_b32_e32 v23, 0x7f800001, v19, vcc_lo
; %bb.1504:                             ;   in Loop: Header=BB4_129 Depth=2
	s_or_b32 exec_lo, exec_lo, s15
.LBB4_1505:                             ;   in Loop: Header=BB4_129 Depth=2
	s_delay_alu instid0(SALU_CYCLE_1)
	s_or_b32 exec_lo, exec_lo, s10
.LBB4_1506:                             ;   in Loop: Header=BB4_129 Depth=2
	s_delay_alu instid0(SALU_CYCLE_1) | instskip(NEXT) | instid1(SALU_CYCLE_1)
	s_or_b32 exec_lo, exec_lo, s14
	s_mov_b32 s10, exec_lo
	v_cmpx_ne_u16_e32 0, v20
	s_cbranch_execz .LBB4_1516
; %bb.1507:                             ;   in Loop: Header=BB4_129 Depth=2
	v_bfrev_b32_e32 v21, 1
	s_mov_b32 s14, exec_lo
	v_cmpx_ne_u16_e32 0x80, v20
	s_cbranch_execz .LBB4_1515
; %bb.1508:                             ;   in Loop: Header=BB4_129 Depth=2
	v_and_b32_e32 v19, 0xffff, v20
	s_delay_alu instid0(VALU_DEP_1) | instskip(SKIP_1) | instid1(VALU_DEP_2)
	v_and_b32_e32 v21, 0x7c, v19
	v_and_b32_e32 v22, 3, v19
	v_cmp_ne_u32_e32 vcc_lo, 0x7c, v21
                                        ; implicit-def: $vgpr21
	s_and_saveexec_b32 s15, vcc_lo
	s_delay_alu instid0(SALU_CYCLE_1)
	s_xor_b32 s15, exec_lo, s15
	s_cbranch_execz .LBB4_1512
; %bb.1509:                             ;   in Loop: Header=BB4_129 Depth=2
	v_bfe_u32 v19, v19, 2, 5
	s_mov_b32 s42, exec_lo
	s_delay_alu instid0(VALU_DEP_1)
	v_cmpx_eq_u32_e32 0, v19
	s_cbranch_execz .LBB4_1511
; %bb.1510:                             ;   in Loop: Header=BB4_129 Depth=2
	v_clz_i32_u32_e32 v19, v22
	s_delay_alu instid0(VALU_DEP_1) | instskip(SKIP_1) | instid1(VALU_DEP_2)
	v_min_u32_e32 v19, 32, v19
	v_mov_b32_e32 v21, v55
	v_subrev_nc_u32_e32 v22, 29, v19
	v_sub_nc_u32_e32 v19, 30, v19
	s_delay_alu instid0(VALU_DEP_2) | instskip(NEXT) | instid1(VALU_DEP_1)
	v_lshlrev_b64_e32 v[20:21], v22, v[20:21]
	v_and_b32_e32 v22, 3, v20
.LBB4_1511:                             ;   in Loop: Header=BB4_129 Depth=2
	s_or_b32 exec_lo, exec_lo, s42
	v_lshlrev_b32_e32 v18, 16, v18
	s_delay_alu instid0(VALU_DEP_1) | instskip(NEXT) | instid1(VALU_DEP_1)
	v_and_b32_e32 v18, 0x80000000, v18
	v_lshl_add_u32 v18, v19, 23, v18
	s_delay_alu instid0(VALU_DEP_1) | instskip(NEXT) | instid1(VALU_DEP_1)
	v_lshl_or_b32 v18, v22, 21, v18
                                        ; implicit-def: $vgpr22
	v_add_nc_u32_e32 v21, 0x38000000, v18
                                        ; implicit-def: $vgpr18_vgpr19
.LBB4_1512:                             ;   in Loop: Header=BB4_129 Depth=2
	s_and_not1_saveexec_b32 s15, s15
; %bb.1513:                             ;   in Loop: Header=BB4_129 Depth=2
	v_cmp_lt_i16_e32 vcc_lo, -1, v18
	v_cndmask_b32_e32 v18, 0xff800000, v126, vcc_lo
	v_cmp_eq_u32_e32 vcc_lo, 0, v22
	s_delay_alu instid0(VALU_DEP_2)
	v_cndmask_b32_e32 v21, 0x7f800001, v18, vcc_lo
; %bb.1514:                             ;   in Loop: Header=BB4_129 Depth=2
	s_or_b32 exec_lo, exec_lo, s15
.LBB4_1515:                             ;   in Loop: Header=BB4_129 Depth=2
	s_delay_alu instid0(SALU_CYCLE_1)
	s_or_b32 exec_lo, exec_lo, s14
.LBB4_1516:                             ;   in Loop: Header=BB4_129 Depth=2
	s_delay_alu instid0(SALU_CYCLE_1) | instskip(NEXT) | instid1(VALU_DEP_1)
	s_or_b32 exec_lo, exec_lo, s10
	v_dual_max_num_f32 v18, v21, v21 :: v_dual_max_num_f32 v19, v23, v23
	s_delay_alu instid0(VALU_DEP_1)
	v_min_num_f32_e32 v21, v19, v18
.LBB4_1517:                             ;   in Loop: Header=BB4_129 Depth=2
	s_delay_alu instid0(VALU_DEP_1) | instskip(SKIP_2) | instid1(VALU_DEP_2)
	v_and_b32_e32 v18, 0x7f800000, v21
	v_mov_b32_e32 v19, v55
	v_and_b32_e32 v54, 0x7fffff, v21
                                        ; implicit-def: $vgpr22
	v_cmp_ne_u64_e32 vcc_lo, 0x7f800000, v[18:19]
	v_lshrrev_b32_e32 v18, 24, v21
	s_and_saveexec_b32 s10, vcc_lo
	s_delay_alu instid0(SALU_CYCLE_1)
	s_xor_b32 s14, exec_lo, s10
	s_cbranch_execz .LBB4_1531
; %bb.1518:                             ;   in Loop: Header=BB4_129 Depth=2
	v_and_b32_e32 v22, 0x7fffffff, v21
	v_mov_b32_e32 v23, v55
	s_delay_alu instid0(VALU_DEP_1) | instskip(SKIP_2) | instid1(SALU_CYCLE_1)
	v_cmp_gt_u64_e32 vcc_lo, 0x47600001, v[22:23]
	v_and_b32_e32 v23, 0x80, v18
                                        ; implicit-def: $vgpr22
	s_and_saveexec_b32 s10, vcc_lo
	s_xor_b32 s15, exec_lo, s10
	s_cbranch_execz .LBB4_1528
; %bb.1519:                             ;   in Loop: Header=BB4_129 Depth=2
	v_mov_b32_e32 v22, 0
	s_mov_b32 s42, exec_lo
	v_cmpx_ne_u32_e32 0, v21
	s_cbranch_execz .LBB4_1527
; %bb.1520:                             ;   in Loop: Header=BB4_129 Depth=2
	v_bfe_u32 v22, v21, 23, 8
	v_or_b32_e32 v20, 0x800000, v54
	s_delay_alu instid0(VALU_DEP_2) | instskip(SKIP_1) | instid1(VALU_DEP_2)
	v_sub_nc_u32_e32 v18, 0x71, v22
	v_cmp_gt_u32_e32 vcc_lo, 0x72, v22
	v_cndmask_b32_e32 v18, 0, v18, vcc_lo
	v_cmp_eq_u32_e32 vcc_lo, 0, v22
	s_delay_alu instid0(VALU_DEP_2) | instskip(NEXT) | instid1(VALU_DEP_1)
	v_cndmask_b32_e64 v59, v18, 0x70, vcc_lo
	v_dual_cndmask_b32 v54, v20, v54, vcc_lo :: v_dual_add_nc_u32 v18, 21, v59
	v_add_nc_u32_e32 v21, 20, v59
	s_delay_alu instid0(VALU_DEP_2) | instskip(NEXT) | instid1(VALU_DEP_2)
	v_lshlrev_b64_e64 v[18:19], v18, -1
	v_lshlrev_b64_e64 v[20:21], v21, 1
	s_delay_alu instid0(VALU_DEP_2) | instskip(NEXT) | instid1(VALU_DEP_3)
	v_bfi_b32 v61, v19, 0, 0
	v_bfi_b32 v60, v18, 0, v54
	v_lshrrev_b64 v[18:19], v59, v[54:55]
	s_delay_alu instid0(VALU_DEP_2) | instskip(NEXT) | instid1(VALU_DEP_2)
	v_cmp_eq_u64_e64 s10, v[60:61], v[20:21]
	v_mov_b64_e32 v[20:21], v[18:19]
	s_and_saveexec_b32 s43, s10
; %bb.1521:                             ;   in Loop: Header=BB4_129 Depth=2
	v_bfe_u32 v54, v18, 21, 1
	s_delay_alu instid0(VALU_DEP_1) | instskip(NEXT) | instid1(VALU_DEP_1)
	v_add_nc_u64_e32 v[20:21], v[18:19], v[54:55]
	v_add_nc_u64_e32 v[20:21], -1, v[20:21]
; %bb.1522:                             ;   in Loop: Header=BB4_129 Depth=2
	s_or_b32 exec_lo, exec_lo, s43
	v_add_nc_u32_e32 v19, 0xffffff81, v22
	v_lshrrev_b32_e32 v21, 23, v18
	s_mov_b32 s10, exec_lo
	s_delay_alu instid0(VALU_DEP_2) | instskip(NEXT) | instid1(VALU_DEP_1)
	v_cndmask_b32_e64 v19, v19, 0xffffff82, vcc_lo
	v_add3_u32 v21, v59, v19, v21
	v_and_b32_e32 v19, 0x1fffff, v20
                                        ; implicit-def: $vgpr20
	s_delay_alu instid0(VALU_DEP_1) | instskip(NEXT) | instid1(VALU_DEP_1)
	v_dual_add_nc_u32 v22, 14, v21 :: v_dual_add_nc_u32 v54, v19, v18
                                        ; implicit-def: $vgpr18_vgpr19
	v_cmpx_ne_u32_e32 0, v22
	s_xor_b32 s10, exec_lo, s10
; %bb.1523:                             ;   in Loop: Header=BB4_129 Depth=2
	s_delay_alu instid0(VALU_DEP_2) | instskip(SKIP_1) | instid1(VALU_DEP_1)
	v_cmp_lt_u64_e32 vcc_lo, 0xffffff, v[54:55]
	v_add_nc_u32_e32 v18, 15, v21
	v_cndmask_b32_e32 v20, v22, v18, vcc_lo
	v_cndmask_b32_e64 v18, 0, 1, vcc_lo
	s_delay_alu instid0(VALU_DEP_1)
	v_lshrrev_b64 v[18:19], v18, v[54:55]
; %bb.1524:                             ;   in Loop: Header=BB4_129 Depth=2
	s_and_not1_saveexec_b32 s10, s10
; %bb.1525:                             ;   in Loop: Header=BB4_129 Depth=2
	v_mov_b64_e32 v[18:19], v[54:55]
	v_bfe_u32 v20, v54, 23, 1
; %bb.1526:                             ;   in Loop: Header=BB4_129 Depth=2
	s_or_b32 exec_lo, exec_lo, s10
	s_delay_alu instid0(VALU_DEP_2) | instskip(NEXT) | instid1(VALU_DEP_2)
	v_lshrrev_b64 v[18:19], 21, v[18:19]
	v_cmp_gt_i32_e32 vcc_lo, 32, v20
	v_min_i32_e32 v21, 31, v20
	v_cmp_eq_u32_e64 s10, 0, v20
	s_delay_alu instid0(VALU_DEP_2) | instskip(SKIP_1) | instid1(VALU_DEP_2)
	v_dual_cndmask_b32 v19, 0, v19, vcc_lo :: v_dual_lshlrev_b32 v21, 2, v21
	v_cndmask_b32_e32 v18, 3, v18, vcc_lo
	v_and_b32_e32 v21, 0xfc, v21
	s_delay_alu instid0(VALU_DEP_2) | instskip(NEXT) | instid1(VALU_DEP_2)
	v_cmp_eq_u64_e32 vcc_lo, 0, v[18:19]
	v_and_or_b32 v18, v18, 3, v21
	s_and_b32 s10, s10, vcc_lo
	s_delay_alu instid0(VALU_DEP_1) | instid1(SALU_CYCLE_1)
	v_cndmask_b32_e64 v18, v18, 0, s10
	s_delay_alu instid0(VALU_DEP_1)
	v_or_b32_e32 v22, v18, v23
.LBB4_1527:                             ;   in Loop: Header=BB4_129 Depth=2
	s_or_b32 exec_lo, exec_lo, s42
                                        ; implicit-def: $vgpr23
.LBB4_1528:                             ;   in Loop: Header=BB4_129 Depth=2
	s_and_not1_saveexec_b32 s10, s15
; %bb.1529:                             ;   in Loop: Header=BB4_129 Depth=2
	v_or_b32_e32 v22, 0x7b, v23
; %bb.1530:                             ;   in Loop: Header=BB4_129 Depth=2
	s_or_b32 exec_lo, exec_lo, s10
                                        ; implicit-def: $vgpr21
                                        ; implicit-def: $vgpr18
.LBB4_1531:                             ;   in Loop: Header=BB4_129 Depth=2
	s_and_not1_saveexec_b32 s10, s14
	s_cbranch_execz .LBB4_1537
; %bb.1532:                             ;   in Loop: Header=BB4_129 Depth=2
	s_mov_b32 s14, exec_lo
                                        ; implicit-def: $vgpr22
	v_cmpx_ne_u64_e32 0, v[54:55]
	s_xor_b32 s14, exec_lo, s14
; %bb.1533:                             ;   in Loop: Header=BB4_129 Depth=2
	v_or_b32_e32 v22, 0x7f, v18
                                        ; implicit-def: $vgpr21
; %bb.1534:                             ;   in Loop: Header=BB4_129 Depth=2
	s_and_not1_saveexec_b32 s14, s14
; %bb.1535:                             ;   in Loop: Header=BB4_129 Depth=2
	v_cmp_lt_i32_e32 vcc_lo, -1, v21
	v_cndmask_b32_e32 v22, 0xfc, v122, vcc_lo
; %bb.1536:                             ;   in Loop: Header=BB4_129 Depth=2
	s_or_b32 exec_lo, exec_lo, s14
.LBB4_1537:                             ;   in Loop: Header=BB4_129 Depth=2
	s_delay_alu instid0(SALU_CYCLE_1) | instskip(SKIP_4) | instid1(VALU_DEP_2)
	s_or_b32 exec_lo, exec_lo, s10
	v_lshrrev_b32_e32 v20, 16, v15
	v_lshrrev_b32_e32 v18, 16, v11
	s_and_not1_b32 vcc_lo, exec_lo, s13
	s_mov_b32 s14, -1
                                        ; implicit-def: $vgpr59
	v_and_b32_e32 v19, 0xff, v20
	s_delay_alu instid0(VALU_DEP_1)
	v_cmp_ne_u16_e64 s10, 0, v19
	s_cbranch_vccnz .LBB4_1559
; %bb.1538:                             ;   in Loop: Header=BB4_129 Depth=2
	v_dual_mov_b32 v23, 0 :: v_dual_mov_b32 v21, 0
	s_and_saveexec_b32 s14, s10
	s_cbranch_execz .LBB4_1548
; %bb.1539:                             ;   in Loop: Header=BB4_129 Depth=2
	v_bfrev_b32_e32 v21, 1
	s_mov_b32 s15, exec_lo
	v_cmpx_ne_u16_e32 0x80, v19
	s_cbranch_execz .LBB4_1547
; %bb.1540:                             ;   in Loop: Header=BB4_129 Depth=2
	v_and_b32_e32 v21, 0x7c0000, v15
	v_bfe_u32 v54, v15, 16, 2
	s_delay_alu instid0(VALU_DEP_2) | instskip(SKIP_1) | instid1(SALU_CYCLE_1)
	v_cmp_ne_u32_e32 vcc_lo, 0x7c0000, v21
                                        ; implicit-def: $vgpr21
	s_and_saveexec_b32 s42, vcc_lo
	s_xor_b32 s42, exec_lo, s42
	s_cbranch_execz .LBB4_1544
; %bb.1541:                             ;   in Loop: Header=BB4_129 Depth=2
	v_bfe_u32 v21, v15, 18, 5
	s_mov_b32 s43, exec_lo
	s_delay_alu instid0(VALU_DEP_1)
	v_cmpx_eq_u32_e32 0, v21
; %bb.1542:                             ;   in Loop: Header=BB4_129 Depth=2
	v_clz_i32_u32_e32 v21, v54
	s_delay_alu instid0(VALU_DEP_1) | instskip(NEXT) | instid1(VALU_DEP_1)
	v_min_u32_e32 v21, 32, v21
	v_subrev_nc_u32_e32 v54, 29, v21
	s_delay_alu instid0(VALU_DEP_1) | instskip(NEXT) | instid1(VALU_DEP_1)
	v_lshlrev_b64_e32 v[60:61], v54, v[20:21]
	v_dual_sub_nc_u32 v21, 30, v21 :: v_dual_bitop2_b32 v54, 3, v60 bitop3:0x40
; %bb.1543:                             ;   in Loop: Header=BB4_129 Depth=2
	s_or_b32 exec_lo, exec_lo, s43
	v_lshlrev_b32_e32 v82, 24, v20
	s_delay_alu instid0(VALU_DEP_1) | instskip(NEXT) | instid1(VALU_DEP_1)
	v_and_b32_e32 v82, 0x80000000, v82
	v_lshl_add_u32 v21, v21, 23, v82
	s_delay_alu instid0(VALU_DEP_1) | instskip(NEXT) | instid1(VALU_DEP_1)
	v_lshl_or_b32 v21, v54, 21, v21
                                        ; implicit-def: $vgpr54
	v_add_nc_u32_e32 v21, 0x38000000, v21
.LBB4_1544:                             ;   in Loop: Header=BB4_129 Depth=2
	s_and_not1_saveexec_b32 s42, s42
; %bb.1545:                             ;   in Loop: Header=BB4_129 Depth=2
	v_bfe_i32 v21, v20, 0, 8
	s_delay_alu instid0(VALU_DEP_1) | instskip(SKIP_2) | instid1(VALU_DEP_2)
	v_cmp_lt_i16_e32 vcc_lo, -1, v21
	v_cndmask_b32_e32 v21, 0xff800000, v126, vcc_lo
	v_cmp_eq_u32_e32 vcc_lo, 0, v54
	v_cndmask_b32_e32 v21, 0x7f800001, v21, vcc_lo
; %bb.1546:                             ;   in Loop: Header=BB4_129 Depth=2
	s_or_b32 exec_lo, exec_lo, s42
.LBB4_1547:                             ;   in Loop: Header=BB4_129 Depth=2
	s_delay_alu instid0(SALU_CYCLE_1)
	s_or_b32 exec_lo, exec_lo, s15
.LBB4_1548:                             ;   in Loop: Header=BB4_129 Depth=2
	s_delay_alu instid0(SALU_CYCLE_1) | instskip(SKIP_2) | instid1(VALU_DEP_1)
	s_or_b32 exec_lo, exec_lo, s14
	v_and_b32_e32 v54, 0xff, v18
	s_mov_b32 s14, exec_lo
	v_cmpx_ne_u16_e32 0, v54
	s_cbranch_execz .LBB4_1558
; %bb.1549:                             ;   in Loop: Header=BB4_129 Depth=2
	v_bfrev_b32_e32 v23, 1
	s_mov_b32 s15, exec_lo
	v_cmpx_ne_u16_e32 0x80, v54
	s_cbranch_execz .LBB4_1557
; %bb.1550:                             ;   in Loop: Header=BB4_129 Depth=2
	v_and_b32_e32 v23, 0x7c0000, v11
	v_bfe_u32 v54, v11, 16, 2
	s_delay_alu instid0(VALU_DEP_2) | instskip(SKIP_1) | instid1(SALU_CYCLE_1)
	v_cmp_ne_u32_e32 vcc_lo, 0x7c0000, v23
                                        ; implicit-def: $vgpr23
	s_and_saveexec_b32 s42, vcc_lo
	s_xor_b32 s42, exec_lo, s42
	s_cbranch_execz .LBB4_1554
; %bb.1551:                             ;   in Loop: Header=BB4_129 Depth=2
	v_bfe_u32 v23, v11, 18, 5
	s_mov_b32 s43, exec_lo
	s_delay_alu instid0(VALU_DEP_1)
	v_cmpx_eq_u32_e32 0, v23
; %bb.1552:                             ;   in Loop: Header=BB4_129 Depth=2
	v_clz_i32_u32_e32 v23, v54
	s_delay_alu instid0(VALU_DEP_1) | instskip(NEXT) | instid1(VALU_DEP_1)
	v_min_u32_e32 v23, 32, v23
	v_subrev_nc_u32_e32 v54, 29, v23
	s_delay_alu instid0(VALU_DEP_1) | instskip(NEXT) | instid1(VALU_DEP_1)
	v_lshlrev_b64_e32 v[60:61], v54, v[18:19]
	v_dual_sub_nc_u32 v23, 30, v23 :: v_dual_bitop2_b32 v54, 3, v60 bitop3:0x40
; %bb.1553:                             ;   in Loop: Header=BB4_129 Depth=2
	s_or_b32 exec_lo, exec_lo, s43
	v_lshlrev_b32_e32 v82, 24, v18
	s_delay_alu instid0(VALU_DEP_1) | instskip(NEXT) | instid1(VALU_DEP_1)
	v_and_b32_e32 v82, 0x80000000, v82
	v_lshl_add_u32 v23, v23, 23, v82
	s_delay_alu instid0(VALU_DEP_1) | instskip(NEXT) | instid1(VALU_DEP_1)
	v_lshl_or_b32 v23, v54, 21, v23
                                        ; implicit-def: $vgpr54
	v_add_nc_u32_e32 v23, 0x38000000, v23
.LBB4_1554:                             ;   in Loop: Header=BB4_129 Depth=2
	s_and_not1_saveexec_b32 s42, s42
; %bb.1555:                             ;   in Loop: Header=BB4_129 Depth=2
	v_bfe_i32 v23, v18, 0, 8
	s_delay_alu instid0(VALU_DEP_1) | instskip(SKIP_2) | instid1(VALU_DEP_2)
	v_cmp_lt_i16_e32 vcc_lo, -1, v23
	v_cndmask_b32_e32 v23, 0xff800000, v126, vcc_lo
	v_cmp_eq_u32_e32 vcc_lo, 0, v54
	v_cndmask_b32_e32 v23, 0x7f800001, v23, vcc_lo
; %bb.1556:                             ;   in Loop: Header=BB4_129 Depth=2
	s_or_b32 exec_lo, exec_lo, s42
.LBB4_1557:                             ;   in Loop: Header=BB4_129 Depth=2
	s_delay_alu instid0(SALU_CYCLE_1)
	s_or_b32 exec_lo, exec_lo, s15
.LBB4_1558:                             ;   in Loop: Header=BB4_129 Depth=2
	s_delay_alu instid0(SALU_CYCLE_1) | instskip(NEXT) | instid1(VALU_DEP_1)
	s_or_b32 exec_lo, exec_lo, s14
	v_dual_max_num_f32 v23, v23, v23 :: v_dual_max_num_f32 v21, v21, v21
	s_mov_b32 s14, 0
	s_delay_alu instid0(VALU_DEP_1)
	v_max_num_f32_e32 v59, v21, v23
.LBB4_1559:                             ;   in Loop: Header=BB4_129 Depth=2
	s_and_b32 vcc_lo, exec_lo, s14
	s_cbranch_vccz .LBB4_1581
; %bb.1560:                             ;   in Loop: Header=BB4_129 Depth=2
	v_dual_mov_b32 v23, 0 :: v_dual_mov_b32 v21, 0
	s_and_saveexec_b32 s14, s10
	s_cbranch_execz .LBB4_1570
; %bb.1561:                             ;   in Loop: Header=BB4_129 Depth=2
	v_bfrev_b32_e32 v21, 1
	s_mov_b32 s10, exec_lo
	v_cmpx_ne_u16_e32 0x80, v19
	s_cbranch_execz .LBB4_1569
; %bb.1562:                             ;   in Loop: Header=BB4_129 Depth=2
	v_and_b32_e32 v21, 0x7c0000, v15
	v_bfe_u32 v19, v15, 16, 2
	s_delay_alu instid0(VALU_DEP_2) | instskip(SKIP_1) | instid1(SALU_CYCLE_1)
	v_cmp_ne_u32_e32 vcc_lo, 0x7c0000, v21
                                        ; implicit-def: $vgpr21
	s_and_saveexec_b32 s15, vcc_lo
	s_xor_b32 s15, exec_lo, s15
	s_cbranch_execz .LBB4_1566
; %bb.1563:                             ;   in Loop: Header=BB4_129 Depth=2
	v_bfe_u32 v21, v15, 18, 5
	s_mov_b32 s42, exec_lo
	s_delay_alu instid0(VALU_DEP_1)
	v_cmpx_eq_u32_e32 0, v21
; %bb.1564:                             ;   in Loop: Header=BB4_129 Depth=2
	v_clz_i32_u32_e32 v19, v19
	s_delay_alu instid0(VALU_DEP_1) | instskip(NEXT) | instid1(VALU_DEP_1)
	v_min_u32_e32 v19, 32, v19
	v_subrev_nc_u32_e32 v21, 29, v19
	s_delay_alu instid0(VALU_DEP_1) | instskip(NEXT) | instid1(VALU_DEP_1)
	v_lshlrev_b64_e32 v[60:61], v21, v[20:21]
	v_dual_sub_nc_u32 v21, 30, v19 :: v_dual_bitop2_b32 v19, 3, v60 bitop3:0x40
; %bb.1565:                             ;   in Loop: Header=BB4_129 Depth=2
	s_or_b32 exec_lo, exec_lo, s42
	v_lshlrev_b32_e32 v20, 24, v20
	s_delay_alu instid0(VALU_DEP_1) | instskip(NEXT) | instid1(VALU_DEP_1)
	v_and_b32_e32 v20, 0x80000000, v20
	v_lshl_add_u32 v20, v21, 23, v20
	s_delay_alu instid0(VALU_DEP_1) | instskip(NEXT) | instid1(VALU_DEP_1)
	v_lshl_or_b32 v19, v19, 21, v20
                                        ; implicit-def: $vgpr20
	v_add_nc_u32_e32 v21, 0x38000000, v19
                                        ; implicit-def: $vgpr19
.LBB4_1566:                             ;   in Loop: Header=BB4_129 Depth=2
	s_and_not1_saveexec_b32 s15, s15
; %bb.1567:                             ;   in Loop: Header=BB4_129 Depth=2
	v_bfe_i32 v20, v20, 0, 8
	s_delay_alu instid0(VALU_DEP_1) | instskip(SKIP_2) | instid1(VALU_DEP_2)
	v_cmp_lt_i16_e32 vcc_lo, -1, v20
	v_cndmask_b32_e32 v20, 0xff800000, v126, vcc_lo
	v_cmp_eq_u32_e32 vcc_lo, 0, v19
	v_cndmask_b32_e32 v21, 0x7f800001, v20, vcc_lo
; %bb.1568:                             ;   in Loop: Header=BB4_129 Depth=2
	s_or_b32 exec_lo, exec_lo, s15
.LBB4_1569:                             ;   in Loop: Header=BB4_129 Depth=2
	s_delay_alu instid0(SALU_CYCLE_1)
	s_or_b32 exec_lo, exec_lo, s10
.LBB4_1570:                             ;   in Loop: Header=BB4_129 Depth=2
	s_delay_alu instid0(SALU_CYCLE_1) | instskip(SKIP_2) | instid1(VALU_DEP_1)
	s_or_b32 exec_lo, exec_lo, s14
	v_and_b32_e32 v19, 0xff, v18
	s_mov_b32 s10, exec_lo
	v_cmpx_ne_u16_e32 0, v19
	s_cbranch_execz .LBB4_1580
; %bb.1571:                             ;   in Loop: Header=BB4_129 Depth=2
	v_bfrev_b32_e32 v23, 1
	s_mov_b32 s14, exec_lo
	v_cmpx_ne_u16_e32 0x80, v19
	s_cbranch_execz .LBB4_1579
; %bb.1572:                             ;   in Loop: Header=BB4_129 Depth=2
	v_and_b32_e32 v20, 0x7c0000, v11
	v_bfe_u32 v19, v11, 16, 2
	s_mov_b32 s15, exec_lo
                                        ; implicit-def: $vgpr23
	s_delay_alu instid0(VALU_DEP_2)
	v_cmpx_ne_u32_e32 0x7c0000, v20
	s_xor_b32 s15, exec_lo, s15
	s_cbranch_execz .LBB4_1576
; %bb.1573:                             ;   in Loop: Header=BB4_129 Depth=2
	v_bfe_u32 v20, v11, 18, 5
	s_mov_b32 s42, exec_lo
	s_delay_alu instid0(VALU_DEP_1)
	v_cmpx_eq_u32_e32 0, v20
; %bb.1574:                             ;   in Loop: Header=BB4_129 Depth=2
	v_clz_i32_u32_e32 v19, v19
	s_delay_alu instid0(VALU_DEP_1) | instskip(NEXT) | instid1(VALU_DEP_1)
	v_min_u32_e32 v19, 32, v19
	v_subrev_nc_u32_e32 v20, 29, v19
	s_delay_alu instid0(VALU_DEP_1) | instskip(NEXT) | instid1(VALU_DEP_1)
	v_lshlrev_b64_e32 v[60:61], v20, v[18:19]
	v_dual_sub_nc_u32 v20, 30, v19 :: v_dual_bitop2_b32 v19, 3, v60 bitop3:0x40
; %bb.1575:                             ;   in Loop: Header=BB4_129 Depth=2
	s_or_b32 exec_lo, exec_lo, s42
	v_lshlrev_b32_e32 v18, 24, v18
	s_delay_alu instid0(VALU_DEP_1) | instskip(NEXT) | instid1(VALU_DEP_1)
	v_and_b32_e32 v18, 0x80000000, v18
	v_lshl_add_u32 v18, v20, 23, v18
	s_delay_alu instid0(VALU_DEP_1) | instskip(NEXT) | instid1(VALU_DEP_1)
	v_lshl_or_b32 v18, v19, 21, v18
                                        ; implicit-def: $vgpr19
	v_add_nc_u32_e32 v23, 0x38000000, v18
                                        ; implicit-def: $vgpr18
.LBB4_1576:                             ;   in Loop: Header=BB4_129 Depth=2
	s_and_not1_saveexec_b32 s15, s15
; %bb.1577:                             ;   in Loop: Header=BB4_129 Depth=2
	v_bfe_i32 v18, v18, 0, 8
	s_delay_alu instid0(VALU_DEP_1) | instskip(SKIP_2) | instid1(VALU_DEP_2)
	v_cmp_lt_i16_e32 vcc_lo, -1, v18
	v_cndmask_b32_e32 v18, 0xff800000, v126, vcc_lo
	v_cmp_eq_u32_e32 vcc_lo, 0, v19
	v_cndmask_b32_e32 v23, 0x7f800001, v18, vcc_lo
; %bb.1578:                             ;   in Loop: Header=BB4_129 Depth=2
	s_or_b32 exec_lo, exec_lo, s15
.LBB4_1579:                             ;   in Loop: Header=BB4_129 Depth=2
	s_delay_alu instid0(SALU_CYCLE_1)
	s_or_b32 exec_lo, exec_lo, s14
.LBB4_1580:                             ;   in Loop: Header=BB4_129 Depth=2
	s_delay_alu instid0(SALU_CYCLE_1) | instskip(NEXT) | instid1(VALU_DEP_1)
	s_or_b32 exec_lo, exec_lo, s10
	v_dual_max_num_f32 v18, v23, v23 :: v_dual_max_num_f32 v19, v21, v21
	s_delay_alu instid0(VALU_DEP_1)
	v_min_num_f32_e32 v59, v19, v18
.LBB4_1581:                             ;   in Loop: Header=BB4_129 Depth=2
	s_delay_alu instid0(VALU_DEP_1) | instskip(SKIP_2) | instid1(VALU_DEP_2)
	v_and_b32_e32 v18, 0x7f800000, v59
	v_mov_b32_e32 v19, v55
	v_and_b32_e32 v54, 0x7fffff, v59
                                        ; implicit-def: $vgpr21
	v_cmp_ne_u64_e32 vcc_lo, 0x7f800000, v[18:19]
	v_lshrrev_b32_e32 v18, 24, v59
	s_and_saveexec_b32 s10, vcc_lo
	s_delay_alu instid0(SALU_CYCLE_1)
	s_xor_b32 s14, exec_lo, s10
	s_cbranch_execz .LBB4_1595
; %bb.1582:                             ;   in Loop: Header=BB4_129 Depth=2
	v_and_b32_e32 v20, 0x7fffffff, v59
	v_mov_b32_e32 v21, v55
	v_and_b32_e32 v23, 0x80, v18
	s_delay_alu instid0(VALU_DEP_2) | instskip(SKIP_1) | instid1(SALU_CYCLE_1)
	v_cmp_gt_u64_e32 vcc_lo, 0x47600001, v[20:21]
                                        ; implicit-def: $vgpr21
	s_and_saveexec_b32 s10, vcc_lo
	s_xor_b32 s15, exec_lo, s10
	s_cbranch_execz .LBB4_1592
; %bb.1583:                             ;   in Loop: Header=BB4_129 Depth=2
	v_mov_b32_e32 v21, 0
	s_mov_b32 s42, exec_lo
	v_cmpx_ne_u32_e32 0, v59
	s_cbranch_execz .LBB4_1591
; %bb.1584:                             ;   in Loop: Header=BB4_129 Depth=2
	v_bfe_u32 v59, v59, 23, 8
	v_or_b32_e32 v20, 0x800000, v54
	s_delay_alu instid0(VALU_DEP_2) | instskip(SKIP_1) | instid1(VALU_DEP_2)
	v_sub_nc_u32_e32 v18, 0x71, v59
	v_cmp_gt_u32_e32 vcc_lo, 0x72, v59
	v_cndmask_b32_e32 v18, 0, v18, vcc_lo
	v_cmp_eq_u32_e32 vcc_lo, 0, v59
	s_delay_alu instid0(VALU_DEP_2) | instskip(NEXT) | instid1(VALU_DEP_1)
	v_cndmask_b32_e64 v60, v18, 0x70, vcc_lo
	v_dual_cndmask_b32 v54, v20, v54, vcc_lo :: v_dual_add_nc_u32 v18, 21, v60
	v_add_nc_u32_e32 v21, 20, v60
	s_delay_alu instid0(VALU_DEP_2) | instskip(NEXT) | instid1(VALU_DEP_2)
	v_lshlrev_b64_e64 v[18:19], v18, -1
	v_lshlrev_b64_e64 v[20:21], v21, 1
	s_delay_alu instid0(VALU_DEP_2) | instskip(NEXT) | instid1(VALU_DEP_3)
	v_bfi_b32 v63, v19, 0, 0
	v_bfi_b32 v62, v18, 0, v54
	v_lshrrev_b64 v[18:19], v60, v[54:55]
	s_delay_alu instid0(VALU_DEP_2) | instskip(NEXT) | instid1(VALU_DEP_2)
	v_cmp_eq_u64_e64 s10, v[62:63], v[20:21]
	v_mov_b64_e32 v[20:21], v[18:19]
	s_and_saveexec_b32 s43, s10
; %bb.1585:                             ;   in Loop: Header=BB4_129 Depth=2
	v_bfe_u32 v54, v18, 21, 1
	s_delay_alu instid0(VALU_DEP_1) | instskip(NEXT) | instid1(VALU_DEP_1)
	v_add_nc_u64_e32 v[20:21], v[18:19], v[54:55]
	v_add_nc_u64_e32 v[20:21], -1, v[20:21]
; %bb.1586:                             ;   in Loop: Header=BB4_129 Depth=2
	s_or_b32 exec_lo, exec_lo, s43
	v_add_nc_u32_e32 v19, 0xffffff81, v59
	v_lshrrev_b32_e32 v21, 23, v18
	s_mov_b32 s10, exec_lo
	s_delay_alu instid0(VALU_DEP_2) | instskip(NEXT) | instid1(VALU_DEP_1)
	v_cndmask_b32_e64 v19, v19, 0xffffff82, vcc_lo
	v_add3_u32 v21, v60, v19, v21
	v_and_b32_e32 v19, 0x1fffff, v20
                                        ; implicit-def: $vgpr20
	s_delay_alu instid0(VALU_DEP_1) | instskip(NEXT) | instid1(VALU_DEP_1)
	v_dual_add_nc_u32 v59, 14, v21 :: v_dual_add_nc_u32 v54, v19, v18
                                        ; implicit-def: $vgpr18_vgpr19
	v_cmpx_ne_u32_e32 0, v59
	s_xor_b32 s10, exec_lo, s10
; %bb.1587:                             ;   in Loop: Header=BB4_129 Depth=2
	s_delay_alu instid0(VALU_DEP_2) | instskip(SKIP_1) | instid1(VALU_DEP_1)
	v_cmp_lt_u64_e32 vcc_lo, 0xffffff, v[54:55]
	v_add_nc_u32_e32 v18, 15, v21
	v_cndmask_b32_e32 v20, v59, v18, vcc_lo
	v_cndmask_b32_e64 v18, 0, 1, vcc_lo
	s_delay_alu instid0(VALU_DEP_1)
	v_lshrrev_b64 v[18:19], v18, v[54:55]
; %bb.1588:                             ;   in Loop: Header=BB4_129 Depth=2
	s_and_not1_saveexec_b32 s10, s10
; %bb.1589:                             ;   in Loop: Header=BB4_129 Depth=2
	v_mov_b64_e32 v[18:19], v[54:55]
	v_bfe_u32 v20, v54, 23, 1
; %bb.1590:                             ;   in Loop: Header=BB4_129 Depth=2
	s_or_b32 exec_lo, exec_lo, s10
	s_delay_alu instid0(VALU_DEP_2) | instskip(NEXT) | instid1(VALU_DEP_2)
	v_lshrrev_b64 v[18:19], 21, v[18:19]
	v_cmp_gt_i32_e32 vcc_lo, 32, v20
	v_min_i32_e32 v21, 31, v20
	v_cmp_eq_u32_e64 s10, 0, v20
	s_delay_alu instid0(VALU_DEP_2) | instskip(SKIP_1) | instid1(VALU_DEP_2)
	v_dual_cndmask_b32 v19, 0, v19, vcc_lo :: v_dual_lshlrev_b32 v21, 2, v21
	v_cndmask_b32_e32 v18, 3, v18, vcc_lo
	v_and_b32_e32 v21, 0xfc, v21
	s_delay_alu instid0(VALU_DEP_2) | instskip(NEXT) | instid1(VALU_DEP_2)
	v_cmp_eq_u64_e32 vcc_lo, 0, v[18:19]
	v_and_or_b32 v18, v18, 3, v21
	s_and_b32 s10, s10, vcc_lo
	s_delay_alu instid0(VALU_DEP_1) | instid1(SALU_CYCLE_1)
	v_cndmask_b32_e64 v18, v18, 0, s10
	s_delay_alu instid0(VALU_DEP_1)
	v_or_b32_e32 v21, v18, v23
.LBB4_1591:                             ;   in Loop: Header=BB4_129 Depth=2
	s_or_b32 exec_lo, exec_lo, s42
                                        ; implicit-def: $vgpr23
.LBB4_1592:                             ;   in Loop: Header=BB4_129 Depth=2
	s_and_not1_saveexec_b32 s10, s15
; %bb.1593:                             ;   in Loop: Header=BB4_129 Depth=2
	v_or_b32_e32 v21, 0x7b, v23
; %bb.1594:                             ;   in Loop: Header=BB4_129 Depth=2
	s_or_b32 exec_lo, exec_lo, s10
                                        ; implicit-def: $vgpr59
                                        ; implicit-def: $vgpr18
.LBB4_1595:                             ;   in Loop: Header=BB4_129 Depth=2
	s_and_not1_saveexec_b32 s10, s14
	s_cbranch_execz .LBB4_1601
; %bb.1596:                             ;   in Loop: Header=BB4_129 Depth=2
	s_mov_b32 s14, exec_lo
                                        ; implicit-def: $vgpr21
	v_cmpx_ne_u64_e32 0, v[54:55]
	s_xor_b32 s14, exec_lo, s14
; %bb.1597:                             ;   in Loop: Header=BB4_129 Depth=2
	v_or_b32_e32 v21, 0x7f, v18
                                        ; implicit-def: $vgpr59
; %bb.1598:                             ;   in Loop: Header=BB4_129 Depth=2
	s_and_not1_saveexec_b32 s14, s14
; %bb.1599:                             ;   in Loop: Header=BB4_129 Depth=2
	v_cmp_lt_i32_e32 vcc_lo, -1, v59
	v_cndmask_b32_e32 v21, 0xfc, v122, vcc_lo
; %bb.1600:                             ;   in Loop: Header=BB4_129 Depth=2
	s_or_b32 exec_lo, exec_lo, s14
.LBB4_1601:                             ;   in Loop: Header=BB4_129 Depth=2
	s_delay_alu instid0(SALU_CYCLE_1)
	s_or_b32 exec_lo, exec_lo, s10
	v_cmp_lt_u64_e64 s10, s[16:17], v[14:15]
	v_lshrrev_b32_e32 v20, 24, v15
	v_lshrrev_b32_e32 v18, 24, v11
	s_and_not1_b32 vcc_lo, exec_lo, s13
	s_mov_b32 s14, -1
                                        ; implicit-def: $vgpr19
	s_cbranch_vccnz .LBB4_1623
; %bb.1602:                             ;   in Loop: Header=BB4_129 Depth=2
	v_dual_mov_b32 v23, 0 :: v_dual_mov_b32 v19, 0
	s_and_saveexec_b32 s14, s10
	s_cbranch_execz .LBB4_1612
; %bb.1603:                             ;   in Loop: Header=BB4_129 Depth=2
	v_bfrev_b32_e32 v19, 1
	s_mov_b32 s15, exec_lo
	v_cmpx_ne_u32_e32 0x80, v20
	s_cbranch_execz .LBB4_1611
; %bb.1604:                             ;   in Loop: Header=BB4_129 Depth=2
	v_and_b32_e32 v19, 0x7c000000, v15
	v_bfe_u32 v54, v15, 24, 2
	s_delay_alu instid0(VALU_DEP_2) | instskip(SKIP_1) | instid1(SALU_CYCLE_1)
	v_cmp_ne_u32_e32 vcc_lo, 0x7c000000, v19
                                        ; implicit-def: $vgpr19
	s_and_saveexec_b32 s42, vcc_lo
	s_xor_b32 s42, exec_lo, s42
	s_cbranch_execz .LBB4_1608
; %bb.1605:                             ;   in Loop: Header=BB4_129 Depth=2
	v_bfe_u32 v19, v15, 26, 5
	s_mov_b32 s43, exec_lo
	s_delay_alu instid0(VALU_DEP_1)
	v_cmpx_eq_u32_e32 0, v19
; %bb.1606:                             ;   in Loop: Header=BB4_129 Depth=2
	v_clz_i32_u32_e32 v19, v54
	s_delay_alu instid0(VALU_DEP_1) | instskip(NEXT) | instid1(VALU_DEP_1)
	v_min_u32_e32 v19, 32, v19
	v_subrev_nc_u32_e32 v54, 29, v19
	s_delay_alu instid0(VALU_DEP_1) | instskip(NEXT) | instid1(VALU_DEP_1)
	v_lshlrev_b64_e32 v[60:61], v54, v[20:21]
	v_dual_sub_nc_u32 v19, 30, v19 :: v_dual_bitop2_b32 v54, 3, v60 bitop3:0x40
; %bb.1607:                             ;   in Loop: Header=BB4_129 Depth=2
	s_or_b32 exec_lo, exec_lo, s43
	v_and_b32_e32 v82, 0x80000000, v15
	s_delay_alu instid0(VALU_DEP_1) | instskip(NEXT) | instid1(VALU_DEP_1)
	v_lshl_add_u32 v19, v19, 23, v82
	v_lshl_or_b32 v19, v54, 21, v19
                                        ; implicit-def: $vgpr54
	s_delay_alu instid0(VALU_DEP_1)
	v_add_nc_u32_e32 v19, 0x38000000, v19
.LBB4_1608:                             ;   in Loop: Header=BB4_129 Depth=2
	s_and_not1_saveexec_b32 s42, s42
; %bb.1609:                             ;   in Loop: Header=BB4_129 Depth=2
	v_cmp_lt_i64_e32 vcc_lo, -1, v[14:15]
	v_cndmask_b32_e32 v19, 0xff800000, v126, vcc_lo
	v_cmp_eq_u32_e32 vcc_lo, 0, v54
	s_delay_alu instid0(VALU_DEP_2)
	v_cndmask_b32_e32 v19, 0x7f800001, v19, vcc_lo
; %bb.1610:                             ;   in Loop: Header=BB4_129 Depth=2
	s_or_b32 exec_lo, exec_lo, s42
.LBB4_1611:                             ;   in Loop: Header=BB4_129 Depth=2
	s_delay_alu instid0(SALU_CYCLE_1)
	s_or_b32 exec_lo, exec_lo, s15
.LBB4_1612:                             ;   in Loop: Header=BB4_129 Depth=2
	s_delay_alu instid0(SALU_CYCLE_1) | instskip(NEXT) | instid1(SALU_CYCLE_1)
	s_or_b32 exec_lo, exec_lo, s14
	s_mov_b32 s14, exec_lo
	v_cmpx_lt_u64_e64 s[16:17], v[10:11]
	s_cbranch_execz .LBB4_1622
; %bb.1613:                             ;   in Loop: Header=BB4_129 Depth=2
	v_bfrev_b32_e32 v23, 1
	s_mov_b32 s15, exec_lo
	v_cmpx_ne_u32_e32 0x80, v18
	s_cbranch_execz .LBB4_1621
; %bb.1614:                             ;   in Loop: Header=BB4_129 Depth=2
	v_and_b32_e32 v23, 0x7c000000, v11
	v_bfe_u32 v54, v11, 24, 2
	s_delay_alu instid0(VALU_DEP_2) | instskip(SKIP_1) | instid1(SALU_CYCLE_1)
	v_cmp_ne_u32_e32 vcc_lo, 0x7c000000, v23
                                        ; implicit-def: $vgpr23
	s_and_saveexec_b32 s42, vcc_lo
	s_xor_b32 s42, exec_lo, s42
	s_cbranch_execz .LBB4_1618
; %bb.1615:                             ;   in Loop: Header=BB4_129 Depth=2
	v_bfe_u32 v23, v11, 26, 5
	s_mov_b32 s43, exec_lo
	s_delay_alu instid0(VALU_DEP_1)
	v_cmpx_eq_u32_e32 0, v23
; %bb.1616:                             ;   in Loop: Header=BB4_129 Depth=2
	v_clz_i32_u32_e32 v23, v54
	s_delay_alu instid0(VALU_DEP_1) | instskip(NEXT) | instid1(VALU_DEP_1)
	v_min_u32_e32 v23, 32, v23
	v_subrev_nc_u32_e32 v54, 29, v23
	s_delay_alu instid0(VALU_DEP_1) | instskip(NEXT) | instid1(VALU_DEP_1)
	v_lshlrev_b64_e32 v[60:61], v54, v[18:19]
	v_dual_sub_nc_u32 v23, 30, v23 :: v_dual_bitop2_b32 v54, 3, v60 bitop3:0x40
; %bb.1617:                             ;   in Loop: Header=BB4_129 Depth=2
	s_or_b32 exec_lo, exec_lo, s43
	v_and_b32_e32 v82, 0x80000000, v11
	s_delay_alu instid0(VALU_DEP_1) | instskip(NEXT) | instid1(VALU_DEP_1)
	v_lshl_add_u32 v23, v23, 23, v82
	v_lshl_or_b32 v23, v54, 21, v23
                                        ; implicit-def: $vgpr54
	s_delay_alu instid0(VALU_DEP_1)
	v_add_nc_u32_e32 v23, 0x38000000, v23
.LBB4_1618:                             ;   in Loop: Header=BB4_129 Depth=2
	s_and_not1_saveexec_b32 s42, s42
; %bb.1619:                             ;   in Loop: Header=BB4_129 Depth=2
	v_cmp_lt_i64_e32 vcc_lo, -1, v[10:11]
	v_cndmask_b32_e32 v23, 0xff800000, v126, vcc_lo
	v_cmp_eq_u32_e32 vcc_lo, 0, v54
	s_delay_alu instid0(VALU_DEP_2)
	v_cndmask_b32_e32 v23, 0x7f800001, v23, vcc_lo
; %bb.1620:                             ;   in Loop: Header=BB4_129 Depth=2
	s_or_b32 exec_lo, exec_lo, s42
.LBB4_1621:                             ;   in Loop: Header=BB4_129 Depth=2
	s_delay_alu instid0(SALU_CYCLE_1)
	s_or_b32 exec_lo, exec_lo, s15
.LBB4_1622:                             ;   in Loop: Header=BB4_129 Depth=2
	s_delay_alu instid0(SALU_CYCLE_1) | instskip(NEXT) | instid1(VALU_DEP_1)
	s_or_b32 exec_lo, exec_lo, s14
	v_max_num_f32_e32 v23, v23, v23
	v_max_num_f32_e32 v19, v19, v19
	s_mov_b32 s14, 0
	s_delay_alu instid0(VALU_DEP_1)
	v_max_num_f32_e32 v19, v19, v23
.LBB4_1623:                             ;   in Loop: Header=BB4_129 Depth=2
	s_and_b32 vcc_lo, exec_lo, s14
	s_cbranch_vccz .LBB4_1645
; %bb.1624:                             ;   in Loop: Header=BB4_129 Depth=2
	v_dual_mov_b32 v23, 0 :: v_dual_mov_b32 v19, 0
	s_and_saveexec_b32 s14, s10
	s_cbranch_execz .LBB4_1634
; %bb.1625:                             ;   in Loop: Header=BB4_129 Depth=2
	v_bfrev_b32_e32 v19, 1
	s_mov_b32 s10, exec_lo
	v_cmpx_ne_u32_e32 0x80, v20
	s_cbranch_execz .LBB4_1633
; %bb.1626:                             ;   in Loop: Header=BB4_129 Depth=2
	v_and_b32_e32 v19, 0x7c000000, v15
	v_bfe_u32 v54, v15, 24, 2
	s_delay_alu instid0(VALU_DEP_2) | instskip(SKIP_1) | instid1(SALU_CYCLE_1)
	v_cmp_ne_u32_e32 vcc_lo, 0x7c000000, v19
                                        ; implicit-def: $vgpr19
	s_and_saveexec_b32 s15, vcc_lo
	s_xor_b32 s15, exec_lo, s15
	s_cbranch_execz .LBB4_1630
; %bb.1627:                             ;   in Loop: Header=BB4_129 Depth=2
	v_bfe_u32 v19, v15, 26, 5
	s_mov_b32 s42, exec_lo
	s_delay_alu instid0(VALU_DEP_1)
	v_cmpx_eq_u32_e32 0, v19
; %bb.1628:                             ;   in Loop: Header=BB4_129 Depth=2
	v_clz_i32_u32_e32 v19, v54
	s_delay_alu instid0(VALU_DEP_1) | instskip(NEXT) | instid1(VALU_DEP_1)
	v_min_u32_e32 v19, 32, v19
	v_subrev_nc_u32_e32 v54, 29, v19
	s_delay_alu instid0(VALU_DEP_1) | instskip(NEXT) | instid1(VALU_DEP_1)
	v_lshlrev_b64_e32 v[60:61], v54, v[20:21]
	v_dual_sub_nc_u32 v19, 30, v19 :: v_dual_bitop2_b32 v54, 3, v60 bitop3:0x40
; %bb.1629:                             ;   in Loop: Header=BB4_129 Depth=2
	s_or_b32 exec_lo, exec_lo, s42
	v_and_b32_e32 v20, 0x80000000, v15
	s_delay_alu instid0(VALU_DEP_1) | instskip(NEXT) | instid1(VALU_DEP_1)
	v_lshl_add_u32 v19, v19, 23, v20
	v_lshl_or_b32 v19, v54, 21, v19
                                        ; implicit-def: $vgpr54
	s_delay_alu instid0(VALU_DEP_1)
	v_add_nc_u32_e32 v19, 0x38000000, v19
.LBB4_1630:                             ;   in Loop: Header=BB4_129 Depth=2
	s_and_not1_saveexec_b32 s15, s15
; %bb.1631:                             ;   in Loop: Header=BB4_129 Depth=2
	v_cmp_lt_i64_e32 vcc_lo, -1, v[14:15]
	v_cndmask_b32_e32 v14, 0xff800000, v126, vcc_lo
	v_cmp_eq_u32_e32 vcc_lo, 0, v54
	s_delay_alu instid0(VALU_DEP_2)
	v_cndmask_b32_e32 v19, 0x7f800001, v14, vcc_lo
; %bb.1632:                             ;   in Loop: Header=BB4_129 Depth=2
	s_or_b32 exec_lo, exec_lo, s15
.LBB4_1633:                             ;   in Loop: Header=BB4_129 Depth=2
	s_delay_alu instid0(SALU_CYCLE_1)
	s_or_b32 exec_lo, exec_lo, s10
.LBB4_1634:                             ;   in Loop: Header=BB4_129 Depth=2
	s_delay_alu instid0(SALU_CYCLE_1) | instskip(NEXT) | instid1(SALU_CYCLE_1)
	s_or_b32 exec_lo, exec_lo, s14
	s_mov_b32 s10, exec_lo
	v_cmpx_lt_u64_e64 s[16:17], v[10:11]
	s_cbranch_execz .LBB4_1644
; %bb.1635:                             ;   in Loop: Header=BB4_129 Depth=2
	v_bfrev_b32_e32 v23, 1
	s_mov_b32 s14, exec_lo
	v_cmpx_ne_u32_e32 0x80, v18
	s_cbranch_execz .LBB4_1643
; %bb.1636:                             ;   in Loop: Header=BB4_129 Depth=2
	v_and_b32_e32 v15, 0x7c000000, v11
	v_bfe_u32 v14, v11, 24, 2
	s_mov_b32 s15, exec_lo
                                        ; implicit-def: $vgpr23
	s_delay_alu instid0(VALU_DEP_2)
	v_cmpx_ne_u32_e32 0x7c000000, v15
	s_xor_b32 s15, exec_lo, s15
	s_cbranch_execz .LBB4_1640
; %bb.1637:                             ;   in Loop: Header=BB4_129 Depth=2
	v_bfe_u32 v15, v11, 26, 5
	s_mov_b32 s42, exec_lo
	s_delay_alu instid0(VALU_DEP_1)
	v_cmpx_eq_u32_e32 0, v15
; %bb.1638:                             ;   in Loop: Header=BB4_129 Depth=2
	v_clz_i32_u32_e32 v14, v14
	s_delay_alu instid0(VALU_DEP_1) | instskip(NEXT) | instid1(VALU_DEP_1)
	v_min_u32_e32 v20, 32, v14
	v_subrev_nc_u32_e32 v14, 29, v20
	s_delay_alu instid0(VALU_DEP_1) | instskip(NEXT) | instid1(VALU_DEP_1)
	v_lshlrev_b64_e32 v[14:15], v14, v[18:19]
	v_dual_sub_nc_u32 v15, 30, v20 :: v_dual_bitop2_b32 v14, 3, v14 bitop3:0x40
; %bb.1639:                             ;   in Loop: Header=BB4_129 Depth=2
	s_or_b32 exec_lo, exec_lo, s42
	v_and_b32_e32 v18, 0x80000000, v11
	s_delay_alu instid0(VALU_DEP_1) | instskip(NEXT) | instid1(VALU_DEP_1)
	v_lshl_add_u32 v15, v15, 23, v18
	v_lshl_or_b32 v14, v14, 21, v15
	s_delay_alu instid0(VALU_DEP_1)
	v_add_nc_u32_e32 v23, 0x38000000, v14
                                        ; implicit-def: $vgpr14
.LBB4_1640:                             ;   in Loop: Header=BB4_129 Depth=2
	s_and_not1_saveexec_b32 s15, s15
; %bb.1641:                             ;   in Loop: Header=BB4_129 Depth=2
	v_cmp_lt_i64_e32 vcc_lo, -1, v[10:11]
	v_cndmask_b32_e32 v10, 0xff800000, v126, vcc_lo
	v_cmp_eq_u32_e32 vcc_lo, 0, v14
	s_delay_alu instid0(VALU_DEP_2)
	v_cndmask_b32_e32 v23, 0x7f800001, v10, vcc_lo
; %bb.1642:                             ;   in Loop: Header=BB4_129 Depth=2
	s_or_b32 exec_lo, exec_lo, s15
.LBB4_1643:                             ;   in Loop: Header=BB4_129 Depth=2
	s_delay_alu instid0(SALU_CYCLE_1)
	s_or_b32 exec_lo, exec_lo, s14
.LBB4_1644:                             ;   in Loop: Header=BB4_129 Depth=2
	s_delay_alu instid0(SALU_CYCLE_1) | instskip(NEXT) | instid1(VALU_DEP_1)
	s_or_b32 exec_lo, exec_lo, s10
	v_max_num_f32_e32 v10, v23, v23
	v_max_num_f32_e32 v11, v19, v19
	s_delay_alu instid0(VALU_DEP_1)
	v_min_num_f32_e32 v19, v11, v10
.LBB4_1645:                             ;   in Loop: Header=BB4_129 Depth=2
	s_delay_alu instid0(VALU_DEP_1) | instskip(SKIP_2) | instid1(VALU_DEP_2)
	v_and_b32_e32 v10, 0x7f800000, v19
	v_mov_b32_e32 v11, v55
	v_and_b32_e32 v54, 0x7fffff, v19
                                        ; implicit-def: $vgpr20
	v_cmp_ne_u64_e32 vcc_lo, 0x7f800000, v[10:11]
	v_lshrrev_b32_e32 v10, 24, v19
	s_and_saveexec_b32 s10, vcc_lo
	s_delay_alu instid0(SALU_CYCLE_1)
	s_xor_b32 s14, exec_lo, s10
	s_cbranch_execz .LBB4_1659
; %bb.1646:                             ;   in Loop: Header=BB4_129 Depth=2
	v_and_b32_e32 v14, 0x7fffffff, v19
	v_mov_b32_e32 v15, v55
	v_and_b32_e32 v18, 0x80, v10
                                        ; implicit-def: $vgpr20
	s_mov_b32 s10, exec_lo
	s_delay_alu instid0(VALU_DEP_2)
	v_cmpx_gt_u64_e32 0x47600001, v[14:15]
	s_xor_b32 s15, exec_lo, s10
	s_cbranch_execz .LBB4_1656
; %bb.1647:                             ;   in Loop: Header=BB4_129 Depth=2
	v_mov_b32_e32 v20, 0
	s_mov_b32 s42, exec_lo
	v_cmpx_ne_u32_e32 0, v19
	s_cbranch_execz .LBB4_1655
; %bb.1648:                             ;   in Loop: Header=BB4_129 Depth=2
	v_bfe_u32 v19, v19, 23, 8
	v_or_b32_e32 v14, 0x800000, v54
	s_delay_alu instid0(VALU_DEP_2) | instskip(SKIP_1) | instid1(VALU_DEP_2)
	v_sub_nc_u32_e32 v10, 0x71, v19
	v_cmp_gt_u32_e32 vcc_lo, 0x72, v19
	v_cndmask_b32_e32 v10, 0, v10, vcc_lo
	v_cmp_eq_u32_e32 vcc_lo, 0, v19
	s_delay_alu instid0(VALU_DEP_2) | instskip(NEXT) | instid1(VALU_DEP_1)
	v_cndmask_b32_e64 v20, v10, 0x70, vcc_lo
	v_dual_cndmask_b32 v54, v14, v54, vcc_lo :: v_dual_add_nc_u32 v10, 21, v20
	v_add_nc_u32_e32 v15, 20, v20
	s_delay_alu instid0(VALU_DEP_2) | instskip(NEXT) | instid1(VALU_DEP_2)
	v_lshlrev_b64_e64 v[10:11], v10, -1
	v_lshlrev_b64_e64 v[14:15], v15, 1
	s_delay_alu instid0(VALU_DEP_2) | instskip(NEXT) | instid1(VALU_DEP_3)
	v_bfi_b32 v61, v11, 0, 0
	v_bfi_b32 v60, v10, 0, v54
	v_lshrrev_b64 v[10:11], v20, v[54:55]
	s_delay_alu instid0(VALU_DEP_2) | instskip(NEXT) | instid1(VALU_DEP_2)
	v_cmp_eq_u64_e64 s10, v[60:61], v[14:15]
	v_mov_b64_e32 v[14:15], v[10:11]
	s_and_saveexec_b32 s43, s10
; %bb.1649:                             ;   in Loop: Header=BB4_129 Depth=2
	v_bfe_u32 v54, v10, 21, 1
	s_delay_alu instid0(VALU_DEP_1) | instskip(NEXT) | instid1(VALU_DEP_1)
	v_add_nc_u64_e32 v[14:15], v[10:11], v[54:55]
	v_add_nc_u64_e32 v[14:15], -1, v[14:15]
; %bb.1650:                             ;   in Loop: Header=BB4_129 Depth=2
	s_or_b32 exec_lo, exec_lo, s43
	v_add_nc_u32_e32 v11, 0xffffff81, v19
	v_lshrrev_b32_e32 v15, 23, v10
	s_mov_b32 s10, exec_lo
	s_delay_alu instid0(VALU_DEP_2) | instskip(NEXT) | instid1(VALU_DEP_1)
	v_cndmask_b32_e64 v11, v11, 0xffffff82, vcc_lo
	v_add3_u32 v15, v20, v11, v15
	v_and_b32_e32 v11, 0x1fffff, v14
                                        ; implicit-def: $vgpr14
	s_delay_alu instid0(VALU_DEP_1) | instskip(NEXT) | instid1(VALU_DEP_1)
	v_dual_add_nc_u32 v19, 14, v15 :: v_dual_add_nc_u32 v54, v11, v10
                                        ; implicit-def: $vgpr10_vgpr11
	v_cmpx_ne_u32_e32 0, v19
	s_xor_b32 s10, exec_lo, s10
; %bb.1651:                             ;   in Loop: Header=BB4_129 Depth=2
	s_delay_alu instid0(VALU_DEP_2) | instskip(SKIP_1) | instid1(VALU_DEP_1)
	v_cmp_lt_u64_e32 vcc_lo, 0xffffff, v[54:55]
	v_add_nc_u32_e32 v10, 15, v15
	v_cndmask_b32_e32 v14, v19, v10, vcc_lo
	v_cndmask_b32_e64 v10, 0, 1, vcc_lo
	s_delay_alu instid0(VALU_DEP_1)
	v_lshrrev_b64 v[10:11], v10, v[54:55]
; %bb.1652:                             ;   in Loop: Header=BB4_129 Depth=2
	s_and_not1_saveexec_b32 s10, s10
; %bb.1653:                             ;   in Loop: Header=BB4_129 Depth=2
	v_mov_b64_e32 v[10:11], v[54:55]
	v_bfe_u32 v14, v54, 23, 1
; %bb.1654:                             ;   in Loop: Header=BB4_129 Depth=2
	s_or_b32 exec_lo, exec_lo, s10
	s_delay_alu instid0(VALU_DEP_2) | instskip(NEXT) | instid1(VALU_DEP_2)
	v_lshrrev_b64 v[10:11], 21, v[10:11]
	v_cmp_gt_i32_e32 vcc_lo, 32, v14
	v_min_i32_e32 v15, 31, v14
	v_cmp_eq_u32_e64 s10, 0, v14
	s_delay_alu instid0(VALU_DEP_4) | instskip(NEXT) | instid1(VALU_DEP_3)
	v_cndmask_b32_e32 v11, 0, v11, vcc_lo
	v_dual_cndmask_b32 v10, 3, v10 :: v_dual_lshlrev_b32 v15, 2, v15
	s_delay_alu instid0(VALU_DEP_1) | instskip(NEXT) | instid1(VALU_DEP_2)
	v_and_b32_e32 v15, 0xfc, v15
	v_cmp_eq_u64_e32 vcc_lo, 0, v[10:11]
	s_delay_alu instid0(VALU_DEP_2)
	v_and_or_b32 v10, v10, 3, v15
	s_and_b32 s10, s10, vcc_lo
	s_delay_alu instid0(VALU_DEP_1) | instid1(SALU_CYCLE_1)
	v_cndmask_b32_e64 v10, v10, 0, s10
	s_delay_alu instid0(VALU_DEP_1)
	v_or_b32_e32 v20, v10, v18
.LBB4_1655:                             ;   in Loop: Header=BB4_129 Depth=2
	s_or_b32 exec_lo, exec_lo, s42
                                        ; implicit-def: $vgpr18
.LBB4_1656:                             ;   in Loop: Header=BB4_129 Depth=2
	s_and_not1_saveexec_b32 s10, s15
; %bb.1657:                             ;   in Loop: Header=BB4_129 Depth=2
	v_or_b32_e32 v20, 0x7b, v18
; %bb.1658:                             ;   in Loop: Header=BB4_129 Depth=2
	s_or_b32 exec_lo, exec_lo, s10
                                        ; implicit-def: $vgpr19
                                        ; implicit-def: $vgpr10
.LBB4_1659:                             ;   in Loop: Header=BB4_129 Depth=2
	s_and_not1_saveexec_b32 s10, s14
	s_cbranch_execz .LBB4_1665
; %bb.1660:                             ;   in Loop: Header=BB4_129 Depth=2
	s_mov_b32 s14, exec_lo
                                        ; implicit-def: $vgpr20
	v_cmpx_ne_u64_e32 0, v[54:55]
	s_xor_b32 s14, exec_lo, s14
; %bb.1661:                             ;   in Loop: Header=BB4_129 Depth=2
	v_or_b32_e32 v20, 0x7f, v10
                                        ; implicit-def: $vgpr19
; %bb.1662:                             ;   in Loop: Header=BB4_129 Depth=2
	s_and_not1_saveexec_b32 s14, s14
; %bb.1663:                             ;   in Loop: Header=BB4_129 Depth=2
	v_cmp_lt_i32_e32 vcc_lo, -1, v19
	v_cndmask_b32_e32 v20, 0xfc, v122, vcc_lo
; %bb.1664:                             ;   in Loop: Header=BB4_129 Depth=2
	s_or_b32 exec_lo, exec_lo, s14
.LBB4_1665:                             ;   in Loop: Header=BB4_129 Depth=2
	s_delay_alu instid0(SALU_CYCLE_1)
	s_or_b32 exec_lo, exec_lo, s10
	v_and_b32_e32 v14, 0xff, v16
	v_bfe_i32 v11, v16, 0, 8
	v_bfe_i32 v10, v12, 0, 8
	s_and_not1_b32 vcc_lo, exec_lo, s13
	s_mov_b32 s14, -1
	v_cmp_ne_u16_e64 s10, 0, v14
                                        ; implicit-def: $vgpr14
	s_cbranch_vccnz .LBB4_1687
; %bb.1666:                             ;   in Loop: Header=BB4_129 Depth=2
	v_dual_mov_b32 v15, 0 :: v_dual_mov_b32 v14, 0
	s_and_saveexec_b32 s14, s10
	s_cbranch_execz .LBB4_1676
; %bb.1667:                             ;   in Loop: Header=BB4_129 Depth=2
	v_bfrev_b32_e32 v14, 1
	s_mov_b32 s15, exec_lo
	v_cmpx_ne_u16_e32 0xff80, v11
	s_cbranch_execz .LBB4_1675
; %bb.1668:                             ;   in Loop: Header=BB4_129 Depth=2
	v_and_b32_e32 v14, 0x7c, v16
	v_and_b32_e32 v18, 3, v16
	s_delay_alu instid0(VALU_DEP_2) | instskip(SKIP_1) | instid1(SALU_CYCLE_1)
	v_cmp_ne_u32_e32 vcc_lo, 0x7c, v14
                                        ; implicit-def: $vgpr14
	s_and_saveexec_b32 s42, vcc_lo
	s_xor_b32 s42, exec_lo, s42
	s_cbranch_execz .LBB4_1672
; %bb.1669:                             ;   in Loop: Header=BB4_129 Depth=2
	v_bfe_u32 v14, v16, 2, 5
	s_mov_b32 s43, exec_lo
	s_delay_alu instid0(VALU_DEP_1)
	v_cmpx_eq_u32_e32 0, v14
; %bb.1670:                             ;   in Loop: Header=BB4_129 Depth=2
	v_clz_i32_u32_e32 v14, v18
	s_delay_alu instid0(VALU_DEP_1) | instskip(NEXT) | instid1(VALU_DEP_1)
	v_min_u32_e32 v14, 32, v14
	v_subrev_nc_u32_e32 v18, 29, v14
	v_sub_nc_u32_e32 v14, 30, v14
	s_delay_alu instid0(VALU_DEP_2) | instskip(NEXT) | instid1(VALU_DEP_1)
	v_lshlrev_b64_e32 v[18:19], v18, v[16:17]
	v_and_b32_e32 v18, 3, v18
; %bb.1671:                             ;   in Loop: Header=BB4_129 Depth=2
	s_or_b32 exec_lo, exec_lo, s43
	v_lshlrev_b32_e32 v19, 24, v16
	s_delay_alu instid0(VALU_DEP_1) | instskip(NEXT) | instid1(VALU_DEP_1)
	v_and_b32_e32 v19, 0x80000000, v19
	v_lshl_add_u32 v14, v14, 23, v19
	s_delay_alu instid0(VALU_DEP_1) | instskip(NEXT) | instid1(VALU_DEP_1)
	v_lshl_or_b32 v14, v18, 21, v14
                                        ; implicit-def: $vgpr18
	v_add_nc_u32_e32 v14, 0x38000000, v14
.LBB4_1672:                             ;   in Loop: Header=BB4_129 Depth=2
	s_and_not1_saveexec_b32 s42, s42
; %bb.1673:                             ;   in Loop: Header=BB4_129 Depth=2
	v_cmp_lt_i16_e32 vcc_lo, -1, v11
	v_cndmask_b32_e32 v14, 0xff800000, v126, vcc_lo
	v_cmp_eq_u32_e32 vcc_lo, 0, v18
	s_delay_alu instid0(VALU_DEP_2)
	v_cndmask_b32_e32 v14, 0x7f800001, v14, vcc_lo
; %bb.1674:                             ;   in Loop: Header=BB4_129 Depth=2
	s_or_b32 exec_lo, exec_lo, s42
.LBB4_1675:                             ;   in Loop: Header=BB4_129 Depth=2
	s_delay_alu instid0(SALU_CYCLE_1)
	s_or_b32 exec_lo, exec_lo, s15
.LBB4_1676:                             ;   in Loop: Header=BB4_129 Depth=2
	s_delay_alu instid0(SALU_CYCLE_1) | instskip(NEXT) | instid1(SALU_CYCLE_1)
	s_or_b32 exec_lo, exec_lo, s14
	s_mov_b32 s14, exec_lo
	v_cmpx_ne_u16_e32 0, v10
	s_cbranch_execz .LBB4_1686
; %bb.1677:                             ;   in Loop: Header=BB4_129 Depth=2
	v_bfrev_b32_e32 v15, 1
	s_mov_b32 s15, exec_lo
	v_cmpx_ne_u16_e32 0xff80, v10
	s_cbranch_execz .LBB4_1685
; %bb.1678:                             ;   in Loop: Header=BB4_129 Depth=2
	v_and_b32_e32 v15, 0x7c, v12
	v_and_b32_e32 v18, 3, v12
	s_delay_alu instid0(VALU_DEP_2) | instskip(SKIP_1) | instid1(SALU_CYCLE_1)
	v_cmp_ne_u32_e32 vcc_lo, 0x7c, v15
                                        ; implicit-def: $vgpr15
	s_and_saveexec_b32 s42, vcc_lo
	s_xor_b32 s42, exec_lo, s42
	s_cbranch_execz .LBB4_1682
; %bb.1679:                             ;   in Loop: Header=BB4_129 Depth=2
	v_bfe_u32 v15, v12, 2, 5
	s_mov_b32 s43, exec_lo
	s_delay_alu instid0(VALU_DEP_1)
	v_cmpx_eq_u32_e32 0, v15
; %bb.1680:                             ;   in Loop: Header=BB4_129 Depth=2
	v_clz_i32_u32_e32 v15, v18
	s_delay_alu instid0(VALU_DEP_1) | instskip(NEXT) | instid1(VALU_DEP_1)
	v_min_u32_e32 v15, 32, v15
	v_subrev_nc_u32_e32 v18, 29, v15
	s_delay_alu instid0(VALU_DEP_1) | instskip(NEXT) | instid1(VALU_DEP_1)
	v_lshlrev_b64_e32 v[18:19], v18, v[12:13]
	v_dual_sub_nc_u32 v15, 30, v15 :: v_dual_bitop2_b32 v18, 3, v18 bitop3:0x40
; %bb.1681:                             ;   in Loop: Header=BB4_129 Depth=2
	s_or_b32 exec_lo, exec_lo, s43
	v_lshlrev_b32_e32 v19, 24, v12
	s_delay_alu instid0(VALU_DEP_1) | instskip(NEXT) | instid1(VALU_DEP_1)
	v_and_b32_e32 v19, 0x80000000, v19
	v_lshl_add_u32 v15, v15, 23, v19
	s_delay_alu instid0(VALU_DEP_1) | instskip(NEXT) | instid1(VALU_DEP_1)
	v_lshl_or_b32 v15, v18, 21, v15
                                        ; implicit-def: $vgpr18
	v_add_nc_u32_e32 v15, 0x38000000, v15
.LBB4_1682:                             ;   in Loop: Header=BB4_129 Depth=2
	s_and_not1_saveexec_b32 s42, s42
; %bb.1683:                             ;   in Loop: Header=BB4_129 Depth=2
	v_cmp_lt_i16_e32 vcc_lo, -1, v10
	v_cndmask_b32_e32 v15, 0xff800000, v126, vcc_lo
	v_cmp_eq_u32_e32 vcc_lo, 0, v18
	s_delay_alu instid0(VALU_DEP_2)
	v_cndmask_b32_e32 v15, 0x7f800001, v15, vcc_lo
; %bb.1684:                             ;   in Loop: Header=BB4_129 Depth=2
	s_or_b32 exec_lo, exec_lo, s42
.LBB4_1685:                             ;   in Loop: Header=BB4_129 Depth=2
	s_delay_alu instid0(SALU_CYCLE_1)
	s_or_b32 exec_lo, exec_lo, s15
.LBB4_1686:                             ;   in Loop: Header=BB4_129 Depth=2
	s_delay_alu instid0(SALU_CYCLE_1) | instskip(NEXT) | instid1(VALU_DEP_1)
	s_or_b32 exec_lo, exec_lo, s14
	v_dual_max_num_f32 v15, v15, v15 :: v_dual_max_num_f32 v14, v14, v14
	s_mov_b32 s14, 0
	s_delay_alu instid0(VALU_DEP_1)
	v_max_num_f32_e32 v14, v14, v15
.LBB4_1687:                             ;   in Loop: Header=BB4_129 Depth=2
	s_and_b32 vcc_lo, exec_lo, s14
	s_cbranch_vccz .LBB4_1709
; %bb.1688:                             ;   in Loop: Header=BB4_129 Depth=2
	v_dual_mov_b32 v15, 0 :: v_dual_mov_b32 v14, 0
	s_and_saveexec_b32 s14, s10
	s_cbranch_execz .LBB4_1698
; %bb.1689:                             ;   in Loop: Header=BB4_129 Depth=2
	v_bfrev_b32_e32 v14, 1
	s_mov_b32 s10, exec_lo
	v_cmpx_ne_u16_e32 0xff80, v11
	s_cbranch_execz .LBB4_1697
; %bb.1690:                             ;   in Loop: Header=BB4_129 Depth=2
	v_and_b32_e32 v14, 0x7c, v16
	v_and_b32_e32 v18, 3, v16
	s_delay_alu instid0(VALU_DEP_2) | instskip(SKIP_1) | instid1(SALU_CYCLE_1)
	v_cmp_ne_u32_e32 vcc_lo, 0x7c, v14
                                        ; implicit-def: $vgpr14
	s_and_saveexec_b32 s15, vcc_lo
	s_xor_b32 s15, exec_lo, s15
	s_cbranch_execz .LBB4_1694
; %bb.1691:                             ;   in Loop: Header=BB4_129 Depth=2
	v_bfe_u32 v11, v16, 2, 5
	s_mov_b32 s42, exec_lo
	s_delay_alu instid0(VALU_DEP_1)
	v_cmpx_eq_u32_e32 0, v11
; %bb.1692:                             ;   in Loop: Header=BB4_129 Depth=2
	v_clz_i32_u32_e32 v11, v18
	s_delay_alu instid0(VALU_DEP_1) | instskip(NEXT) | instid1(VALU_DEP_1)
	v_min_u32_e32 v11, 32, v11
	v_subrev_nc_u32_e32 v14, 29, v11
	s_delay_alu instid0(VALU_DEP_1) | instskip(NEXT) | instid1(VALU_DEP_1)
	v_lshlrev_b64_e32 v[18:19], v14, v[16:17]
	v_dual_sub_nc_u32 v11, 30, v11 :: v_dual_bitop2_b32 v18, 3, v18 bitop3:0x40
; %bb.1693:                             ;   in Loop: Header=BB4_129 Depth=2
	s_or_b32 exec_lo, exec_lo, s42
	v_lshlrev_b32_e32 v14, 24, v16
	s_delay_alu instid0(VALU_DEP_1) | instskip(NEXT) | instid1(VALU_DEP_1)
	v_and_b32_e32 v14, 0x80000000, v14
	v_lshl_add_u32 v11, v11, 23, v14
	s_delay_alu instid0(VALU_DEP_1) | instskip(NEXT) | instid1(VALU_DEP_1)
	v_lshl_or_b32 v11, v18, 21, v11
                                        ; implicit-def: $vgpr18
	v_add_nc_u32_e32 v14, 0x38000000, v11
                                        ; implicit-def: $vgpr11
.LBB4_1694:                             ;   in Loop: Header=BB4_129 Depth=2
	s_and_not1_saveexec_b32 s15, s15
; %bb.1695:                             ;   in Loop: Header=BB4_129 Depth=2
	v_cmp_lt_i16_e32 vcc_lo, -1, v11
	v_cndmask_b32_e32 v11, 0xff800000, v126, vcc_lo
	v_cmp_eq_u32_e32 vcc_lo, 0, v18
	s_delay_alu instid0(VALU_DEP_2)
	v_cndmask_b32_e32 v14, 0x7f800001, v11, vcc_lo
; %bb.1696:                             ;   in Loop: Header=BB4_129 Depth=2
	s_or_b32 exec_lo, exec_lo, s15
.LBB4_1697:                             ;   in Loop: Header=BB4_129 Depth=2
	s_delay_alu instid0(SALU_CYCLE_1)
	s_or_b32 exec_lo, exec_lo, s10
.LBB4_1698:                             ;   in Loop: Header=BB4_129 Depth=2
	s_delay_alu instid0(SALU_CYCLE_1) | instskip(NEXT) | instid1(SALU_CYCLE_1)
	s_or_b32 exec_lo, exec_lo, s14
	s_mov_b32 s10, exec_lo
	v_cmpx_ne_u16_e32 0, v10
	s_cbranch_execz .LBB4_1708
; %bb.1699:                             ;   in Loop: Header=BB4_129 Depth=2
	v_bfrev_b32_e32 v15, 1
	s_mov_b32 s14, exec_lo
	v_cmpx_ne_u16_e32 0xff80, v10
	s_cbranch_execz .LBB4_1707
; %bb.1700:                             ;   in Loop: Header=BB4_129 Depth=2
	v_and_b32_e32 v15, 0x7c, v12
	v_and_b32_e32 v11, 3, v12
	s_delay_alu instid0(VALU_DEP_2) | instskip(SKIP_1) | instid1(SALU_CYCLE_1)
	v_cmp_ne_u32_e32 vcc_lo, 0x7c, v15
                                        ; implicit-def: $vgpr15
	s_and_saveexec_b32 s15, vcc_lo
	s_xor_b32 s15, exec_lo, s15
	s_cbranch_execz .LBB4_1704
; %bb.1701:                             ;   in Loop: Header=BB4_129 Depth=2
	v_bfe_u32 v10, v12, 2, 5
	s_mov_b32 s42, exec_lo
	s_delay_alu instid0(VALU_DEP_1)
	v_cmpx_eq_u32_e32 0, v10
; %bb.1702:                             ;   in Loop: Header=BB4_129 Depth=2
	v_clz_i32_u32_e32 v10, v11
	s_delay_alu instid0(VALU_DEP_1) | instskip(NEXT) | instid1(VALU_DEP_1)
	v_min_u32_e32 v10, 32, v10
	v_subrev_nc_u32_e32 v11, 29, v10
	v_sub_nc_u32_e32 v10, 30, v10
	s_delay_alu instid0(VALU_DEP_2) | instskip(NEXT) | instid1(VALU_DEP_1)
	v_lshlrev_b64_e32 v[18:19], v11, v[12:13]
	v_and_b32_e32 v11, 3, v18
; %bb.1703:                             ;   in Loop: Header=BB4_129 Depth=2
	s_or_b32 exec_lo, exec_lo, s42
	v_lshlrev_b32_e32 v15, 24, v12
	s_delay_alu instid0(VALU_DEP_1) | instskip(NEXT) | instid1(VALU_DEP_1)
	v_and_b32_e32 v15, 0x80000000, v15
	v_lshl_add_u32 v10, v10, 23, v15
	s_delay_alu instid0(VALU_DEP_1) | instskip(NEXT) | instid1(VALU_DEP_1)
	v_lshl_or_b32 v10, v11, 21, v10
                                        ; implicit-def: $vgpr11
	v_add_nc_u32_e32 v15, 0x38000000, v10
                                        ; implicit-def: $vgpr10
.LBB4_1704:                             ;   in Loop: Header=BB4_129 Depth=2
	s_and_not1_saveexec_b32 s15, s15
; %bb.1705:                             ;   in Loop: Header=BB4_129 Depth=2
	v_cmp_lt_i16_e32 vcc_lo, -1, v10
	v_cndmask_b32_e32 v10, 0xff800000, v126, vcc_lo
	v_cmp_eq_u32_e32 vcc_lo, 0, v11
	s_delay_alu instid0(VALU_DEP_2)
	v_cndmask_b32_e32 v15, 0x7f800001, v10, vcc_lo
; %bb.1706:                             ;   in Loop: Header=BB4_129 Depth=2
	s_or_b32 exec_lo, exec_lo, s15
.LBB4_1707:                             ;   in Loop: Header=BB4_129 Depth=2
	s_delay_alu instid0(SALU_CYCLE_1)
	s_or_b32 exec_lo, exec_lo, s14
.LBB4_1708:                             ;   in Loop: Header=BB4_129 Depth=2
	s_delay_alu instid0(SALU_CYCLE_1) | instskip(NEXT) | instid1(VALU_DEP_1)
	s_or_b32 exec_lo, exec_lo, s10
	v_dual_max_num_f32 v10, v15, v15 :: v_dual_max_num_f32 v11, v14, v14
	s_delay_alu instid0(VALU_DEP_1)
	v_min_num_f32_e32 v14, v11, v10
.LBB4_1709:                             ;   in Loop: Header=BB4_129 Depth=2
	s_delay_alu instid0(VALU_DEP_1) | instskip(SKIP_2) | instid1(VALU_DEP_2)
	v_and_b32_e32 v10, 0x7f800000, v14
	v_mov_b32_e32 v11, v55
	v_and_b32_e32 v54, 0x7fffff, v14
                                        ; implicit-def: $vgpr23
	v_cmp_ne_u64_e32 vcc_lo, 0x7f800000, v[10:11]
	v_lshrrev_b32_e32 v10, 24, v14
	s_and_saveexec_b32 s10, vcc_lo
	s_delay_alu instid0(SALU_CYCLE_1)
	s_xor_b32 s14, exec_lo, s10
	s_cbranch_execz .LBB4_1723
; %bb.1710:                             ;   in Loop: Header=BB4_129 Depth=2
	v_and_b32_e32 v18, 0x7fffffff, v14
	v_mov_b32_e32 v19, v55
                                        ; implicit-def: $vgpr23
	s_delay_alu instid0(VALU_DEP_1) | instskip(SKIP_2) | instid1(SALU_CYCLE_1)
	v_cmp_gt_u64_e32 vcc_lo, 0x47600001, v[18:19]
	v_and_b32_e32 v18, 0x80, v10
	s_and_saveexec_b32 s10, vcc_lo
	s_xor_b32 s15, exec_lo, s10
	s_cbranch_execz .LBB4_1720
; %bb.1711:                             ;   in Loop: Header=BB4_129 Depth=2
	v_mov_b32_e32 v23, 0
	s_mov_b32 s42, exec_lo
	v_cmpx_ne_u32_e32 0, v14
	s_cbranch_execz .LBB4_1719
; %bb.1712:                             ;   in Loop: Header=BB4_129 Depth=2
	v_bfe_u32 v19, v14, 23, 8
	v_or_b32_e32 v14, 0x800000, v54
	s_delay_alu instid0(VALU_DEP_2) | instskip(SKIP_1) | instid1(VALU_DEP_2)
	v_sub_nc_u32_e32 v10, 0x71, v19
	v_cmp_gt_u32_e32 vcc_lo, 0x72, v19
	v_cndmask_b32_e32 v10, 0, v10, vcc_lo
	v_cmp_eq_u32_e32 vcc_lo, 0, v19
	s_delay_alu instid0(VALU_DEP_2) | instskip(NEXT) | instid1(VALU_DEP_1)
	v_cndmask_b32_e64 v23, v10, 0x70, vcc_lo
	v_dual_cndmask_b32 v54, v14, v54, vcc_lo :: v_dual_add_nc_u32 v10, 21, v23
	v_add_nc_u32_e32 v15, 20, v23
	s_delay_alu instid0(VALU_DEP_2) | instskip(NEXT) | instid1(VALU_DEP_2)
	v_lshlrev_b64_e64 v[10:11], v10, -1
	v_lshlrev_b64_e64 v[14:15], v15, 1
	s_delay_alu instid0(VALU_DEP_2) | instskip(NEXT) | instid1(VALU_DEP_3)
	v_bfi_b32 v61, v11, 0, 0
	v_bfi_b32 v60, v10, 0, v54
	v_lshrrev_b64 v[10:11], v23, v[54:55]
	s_delay_alu instid0(VALU_DEP_2) | instskip(NEXT) | instid1(VALU_DEP_2)
	v_cmp_eq_u64_e64 s10, v[60:61], v[14:15]
	v_mov_b64_e32 v[14:15], v[10:11]
	s_and_saveexec_b32 s43, s10
; %bb.1713:                             ;   in Loop: Header=BB4_129 Depth=2
	v_bfe_u32 v54, v10, 21, 1
	s_delay_alu instid0(VALU_DEP_1) | instskip(NEXT) | instid1(VALU_DEP_1)
	v_add_nc_u64_e32 v[14:15], v[10:11], v[54:55]
	v_add_nc_u64_e32 v[14:15], -1, v[14:15]
; %bb.1714:                             ;   in Loop: Header=BB4_129 Depth=2
	s_or_b32 exec_lo, exec_lo, s43
	v_add_nc_u32_e32 v11, 0xffffff81, v19
	v_lshrrev_b32_e32 v15, 23, v10
	s_mov_b32 s10, exec_lo
	s_delay_alu instid0(VALU_DEP_2) | instskip(NEXT) | instid1(VALU_DEP_1)
	v_cndmask_b32_e64 v11, v11, 0xffffff82, vcc_lo
	v_add3_u32 v15, v23, v11, v15
	v_and_b32_e32 v11, 0x1fffff, v14
                                        ; implicit-def: $vgpr14
	s_delay_alu instid0(VALU_DEP_1) | instskip(NEXT) | instid1(VALU_DEP_1)
	v_dual_add_nc_u32 v19, 14, v15 :: v_dual_add_nc_u32 v54, v11, v10
                                        ; implicit-def: $vgpr10_vgpr11
	v_cmpx_ne_u32_e32 0, v19
	s_xor_b32 s10, exec_lo, s10
; %bb.1715:                             ;   in Loop: Header=BB4_129 Depth=2
	s_delay_alu instid0(VALU_DEP_2) | instskip(SKIP_1) | instid1(VALU_DEP_1)
	v_cmp_lt_u64_e32 vcc_lo, 0xffffff, v[54:55]
	v_add_nc_u32_e32 v10, 15, v15
	v_cndmask_b32_e32 v14, v19, v10, vcc_lo
	v_cndmask_b32_e64 v10, 0, 1, vcc_lo
	s_delay_alu instid0(VALU_DEP_1)
	v_lshrrev_b64 v[10:11], v10, v[54:55]
; %bb.1716:                             ;   in Loop: Header=BB4_129 Depth=2
	s_and_not1_saveexec_b32 s10, s10
; %bb.1717:                             ;   in Loop: Header=BB4_129 Depth=2
	v_mov_b64_e32 v[10:11], v[54:55]
	v_bfe_u32 v14, v54, 23, 1
; %bb.1718:                             ;   in Loop: Header=BB4_129 Depth=2
	s_or_b32 exec_lo, exec_lo, s10
	s_delay_alu instid0(VALU_DEP_2) | instskip(NEXT) | instid1(VALU_DEP_2)
	v_lshrrev_b64 v[10:11], 21, v[10:11]
	v_cmp_gt_i32_e32 vcc_lo, 32, v14
	v_min_i32_e32 v15, 31, v14
	v_cmp_eq_u32_e64 s10, 0, v14
	s_delay_alu instid0(VALU_DEP_4) | instskip(NEXT) | instid1(VALU_DEP_3)
	v_cndmask_b32_e32 v11, 0, v11, vcc_lo
	v_dual_cndmask_b32 v10, 3, v10 :: v_dual_lshlrev_b32 v15, 2, v15
	s_delay_alu instid0(VALU_DEP_1) | instskip(NEXT) | instid1(VALU_DEP_2)
	v_and_b32_e32 v15, 0xfc, v15
	v_cmp_eq_u64_e32 vcc_lo, 0, v[10:11]
	s_delay_alu instid0(VALU_DEP_2)
	v_and_or_b32 v10, v10, 3, v15
	s_and_b32 s10, s10, vcc_lo
	s_delay_alu instid0(VALU_DEP_1) | instid1(SALU_CYCLE_1)
	v_cndmask_b32_e64 v10, v10, 0, s10
	s_delay_alu instid0(VALU_DEP_1)
	v_or_b32_e32 v23, v10, v18
.LBB4_1719:                             ;   in Loop: Header=BB4_129 Depth=2
	s_or_b32 exec_lo, exec_lo, s42
                                        ; implicit-def: $vgpr18
.LBB4_1720:                             ;   in Loop: Header=BB4_129 Depth=2
	s_and_not1_saveexec_b32 s10, s15
; %bb.1721:                             ;   in Loop: Header=BB4_129 Depth=2
	v_or_b32_e32 v23, 0x7b, v18
; %bb.1722:                             ;   in Loop: Header=BB4_129 Depth=2
	s_or_b32 exec_lo, exec_lo, s10
                                        ; implicit-def: $vgpr14
                                        ; implicit-def: $vgpr10
.LBB4_1723:                             ;   in Loop: Header=BB4_129 Depth=2
	s_and_not1_saveexec_b32 s10, s14
	s_cbranch_execz .LBB4_1729
; %bb.1724:                             ;   in Loop: Header=BB4_129 Depth=2
	s_mov_b32 s14, exec_lo
                                        ; implicit-def: $vgpr23
	v_cmpx_ne_u64_e32 0, v[54:55]
	s_xor_b32 s14, exec_lo, s14
; %bb.1725:                             ;   in Loop: Header=BB4_129 Depth=2
	v_or_b32_e32 v23, 0x7f, v10
                                        ; implicit-def: $vgpr14
; %bb.1726:                             ;   in Loop: Header=BB4_129 Depth=2
	s_and_not1_saveexec_b32 s14, s14
; %bb.1727:                             ;   in Loop: Header=BB4_129 Depth=2
	v_cmp_lt_i32_e32 vcc_lo, -1, v14
	v_cndmask_b32_e32 v23, 0xfc, v122, vcc_lo
; %bb.1728:                             ;   in Loop: Header=BB4_129 Depth=2
	s_or_b32 exec_lo, exec_lo, s14
.LBB4_1729:                             ;   in Loop: Header=BB4_129 Depth=2
	s_delay_alu instid0(SALU_CYCLE_1) | instskip(SKIP_4) | instid1(VALU_DEP_2)
	s_or_b32 exec_lo, exec_lo, s10
	v_lshrrev_b16 v54, 8, v16
	v_lshrrev_b16 v10, 8, v12
	s_and_not1_b32 vcc_lo, exec_lo, s13
	s_mov_b32 s14, -1
                                        ; implicit-def: $vgpr11
	v_and_b32_e32 v14, 0xffff, v54
	v_cmp_ne_u16_e64 s10, 0, v54
	s_cbranch_vccnz .LBB4_1751
; %bb.1730:                             ;   in Loop: Header=BB4_129 Depth=2
	v_dual_mov_b32 v11, 0 :: v_dual_mov_b32 v15, 0
	s_and_saveexec_b32 s14, s10
	s_cbranch_execz .LBB4_1740
; %bb.1731:                             ;   in Loop: Header=BB4_129 Depth=2
	v_bfrev_b32_e32 v15, 1
	s_mov_b32 s15, exec_lo
	v_cmpx_ne_u16_e32 0x80, v54
	s_cbranch_execz .LBB4_1739
; %bb.1732:                             ;   in Loop: Header=BB4_129 Depth=2
	v_and_b32_e32 v15, 0x7c, v14
	v_and_b32_e32 v18, 3, v14
	s_delay_alu instid0(VALU_DEP_2) | instskip(SKIP_1) | instid1(SALU_CYCLE_1)
	v_cmp_ne_u32_e32 vcc_lo, 0x7c, v15
                                        ; implicit-def: $vgpr15
	s_and_saveexec_b32 s42, vcc_lo
	s_xor_b32 s42, exec_lo, s42
	s_cbranch_execz .LBB4_1736
; %bb.1733:                             ;   in Loop: Header=BB4_129 Depth=2
	v_bfe_u32 v15, v14, 2, 5
	s_mov_b32 s43, exec_lo
	s_delay_alu instid0(VALU_DEP_1)
	v_cmpx_eq_u32_e32 0, v15
; %bb.1734:                             ;   in Loop: Header=BB4_129 Depth=2
	v_clz_i32_u32_e32 v15, v18
	s_delay_alu instid0(VALU_DEP_1) | instskip(NEXT) | instid1(VALU_DEP_1)
	v_min_u32_e32 v15, 32, v15
	v_subrev_nc_u32_e32 v18, 29, v15
	s_delay_alu instid0(VALU_DEP_1) | instskip(NEXT) | instid1(VALU_DEP_1)
	v_lshlrev_b64_e32 v[18:19], v18, v[54:55]
	v_dual_sub_nc_u32 v15, 30, v15 :: v_dual_bitop2_b32 v18, 3, v18 bitop3:0x40
; %bb.1735:                             ;   in Loop: Header=BB4_129 Depth=2
	s_or_b32 exec_lo, exec_lo, s43
	v_lshlrev_b32_e32 v19, 16, v16
	s_delay_alu instid0(VALU_DEP_1) | instskip(NEXT) | instid1(VALU_DEP_1)
	v_and_b32_e32 v19, 0x80000000, v19
	v_lshl_add_u32 v15, v15, 23, v19
	s_delay_alu instid0(VALU_DEP_1) | instskip(NEXT) | instid1(VALU_DEP_1)
	v_lshl_or_b32 v15, v18, 21, v15
                                        ; implicit-def: $vgpr18
	v_add_nc_u32_e32 v15, 0x38000000, v15
.LBB4_1736:                             ;   in Loop: Header=BB4_129 Depth=2
	s_and_not1_saveexec_b32 s42, s42
; %bb.1737:                             ;   in Loop: Header=BB4_129 Depth=2
	v_cmp_lt_i16_e32 vcc_lo, -1, v16
	v_cndmask_b32_e32 v15, 0xff800000, v126, vcc_lo
	v_cmp_eq_u32_e32 vcc_lo, 0, v18
	s_delay_alu instid0(VALU_DEP_2)
	v_cndmask_b32_e32 v15, 0x7f800001, v15, vcc_lo
; %bb.1738:                             ;   in Loop: Header=BB4_129 Depth=2
	s_or_b32 exec_lo, exec_lo, s42
.LBB4_1739:                             ;   in Loop: Header=BB4_129 Depth=2
	s_delay_alu instid0(SALU_CYCLE_1)
	s_or_b32 exec_lo, exec_lo, s15
.LBB4_1740:                             ;   in Loop: Header=BB4_129 Depth=2
	s_delay_alu instid0(SALU_CYCLE_1) | instskip(NEXT) | instid1(SALU_CYCLE_1)
	s_or_b32 exec_lo, exec_lo, s14
	s_mov_b32 s14, exec_lo
	v_cmpx_ne_u16_e32 0, v10
	s_cbranch_execz .LBB4_1750
; %bb.1741:                             ;   in Loop: Header=BB4_129 Depth=2
	v_bfrev_b32_e32 v11, 1
	s_mov_b32 s15, exec_lo
	v_cmpx_ne_u16_e32 0x80, v10
	s_cbranch_execz .LBB4_1749
; %bb.1742:                             ;   in Loop: Header=BB4_129 Depth=2
	v_and_b32_e32 v19, 0xffff, v10
	s_delay_alu instid0(VALU_DEP_1) | instskip(SKIP_1) | instid1(VALU_DEP_2)
	v_and_b32_e32 v11, 0x7c, v19
	v_and_b32_e32 v18, 3, v19
	v_cmp_ne_u32_e32 vcc_lo, 0x7c, v11
                                        ; implicit-def: $vgpr11
	s_and_saveexec_b32 s42, vcc_lo
	s_delay_alu instid0(SALU_CYCLE_1)
	s_xor_b32 s42, exec_lo, s42
	s_cbranch_execz .LBB4_1746
; %bb.1743:                             ;   in Loop: Header=BB4_129 Depth=2
	v_bfe_u32 v11, v19, 2, 5
	s_mov_b32 s43, exec_lo
	s_delay_alu instid0(VALU_DEP_1)
	v_cmpx_eq_u32_e32 0, v11
	s_cbranch_execz .LBB4_1745
; %bb.1744:                             ;   in Loop: Header=BB4_129 Depth=2
	v_clz_i32_u32_e32 v11, v18
	s_delay_alu instid0(VALU_DEP_1) | instskip(SKIP_1) | instid1(VALU_DEP_2)
	v_min_u32_e32 v82, 32, v11
	v_mov_b32_e32 v11, v55
	v_subrev_nc_u32_e32 v18, 29, v82
	s_delay_alu instid0(VALU_DEP_1) | instskip(SKIP_1) | instid1(VALU_DEP_2)
	v_lshlrev_b64_e32 v[18:19], v18, v[10:11]
	v_sub_nc_u32_e32 v11, 30, v82
	v_and_b32_e32 v18, 3, v18
.LBB4_1745:                             ;   in Loop: Header=BB4_129 Depth=2
	s_or_b32 exec_lo, exec_lo, s43
	v_lshlrev_b32_e32 v19, 16, v12
	s_delay_alu instid0(VALU_DEP_1) | instskip(NEXT) | instid1(VALU_DEP_1)
	v_and_b32_e32 v19, 0x80000000, v19
	v_lshl_add_u32 v11, v11, 23, v19
	s_delay_alu instid0(VALU_DEP_1) | instskip(NEXT) | instid1(VALU_DEP_1)
	v_lshl_or_b32 v11, v18, 21, v11
                                        ; implicit-def: $vgpr18
	v_add_nc_u32_e32 v11, 0x38000000, v11
.LBB4_1746:                             ;   in Loop: Header=BB4_129 Depth=2
	s_and_not1_saveexec_b32 s42, s42
; %bb.1747:                             ;   in Loop: Header=BB4_129 Depth=2
	v_cmp_lt_i16_e32 vcc_lo, -1, v12
	v_cndmask_b32_e32 v11, 0xff800000, v126, vcc_lo
	v_cmp_eq_u32_e32 vcc_lo, 0, v18
	s_delay_alu instid0(VALU_DEP_2)
	v_cndmask_b32_e32 v11, 0x7f800001, v11, vcc_lo
; %bb.1748:                             ;   in Loop: Header=BB4_129 Depth=2
	s_or_b32 exec_lo, exec_lo, s42
.LBB4_1749:                             ;   in Loop: Header=BB4_129 Depth=2
	s_delay_alu instid0(SALU_CYCLE_1)
	s_or_b32 exec_lo, exec_lo, s15
.LBB4_1750:                             ;   in Loop: Header=BB4_129 Depth=2
	s_delay_alu instid0(SALU_CYCLE_1) | instskip(NEXT) | instid1(VALU_DEP_1)
	s_or_b32 exec_lo, exec_lo, s14
	v_max_num_f32_e32 v11, v11, v11
	v_max_num_f32_e32 v15, v15, v15
	s_mov_b32 s14, 0
	s_delay_alu instid0(VALU_DEP_1)
	v_max_num_f32_e32 v11, v15, v11
.LBB4_1751:                             ;   in Loop: Header=BB4_129 Depth=2
	s_and_b32 vcc_lo, exec_lo, s14
	s_cbranch_vccz .LBB4_1773
; %bb.1752:                             ;   in Loop: Header=BB4_129 Depth=2
	v_dual_mov_b32 v11, 0 :: v_dual_mov_b32 v15, 0
	s_and_saveexec_b32 s14, s10
	s_cbranch_execz .LBB4_1762
; %bb.1753:                             ;   in Loop: Header=BB4_129 Depth=2
	v_bfrev_b32_e32 v15, 1
	s_mov_b32 s10, exec_lo
	v_cmpx_ne_u16_e32 0x80, v54
	s_cbranch_execz .LBB4_1761
; %bb.1754:                             ;   in Loop: Header=BB4_129 Depth=2
	v_and_b32_e32 v15, 0x7c, v14
	v_and_b32_e32 v18, 3, v14
	s_delay_alu instid0(VALU_DEP_2) | instskip(SKIP_1) | instid1(SALU_CYCLE_1)
	v_cmp_ne_u32_e32 vcc_lo, 0x7c, v15
                                        ; implicit-def: $vgpr15
	s_and_saveexec_b32 s15, vcc_lo
	s_xor_b32 s15, exec_lo, s15
	s_cbranch_execz .LBB4_1758
; %bb.1755:                             ;   in Loop: Header=BB4_129 Depth=2
	v_bfe_u32 v14, v14, 2, 5
	s_mov_b32 s42, exec_lo
	s_delay_alu instid0(VALU_DEP_1)
	v_cmpx_eq_u32_e32 0, v14
; %bb.1756:                             ;   in Loop: Header=BB4_129 Depth=2
	v_clz_i32_u32_e32 v14, v18
	s_delay_alu instid0(VALU_DEP_1) | instskip(NEXT) | instid1(VALU_DEP_1)
	v_min_u32_e32 v14, 32, v14
	v_subrev_nc_u32_e32 v15, 29, v14
	v_sub_nc_u32_e32 v14, 30, v14
	s_delay_alu instid0(VALU_DEP_2) | instskip(NEXT) | instid1(VALU_DEP_1)
	v_lshlrev_b64_e32 v[18:19], v15, v[54:55]
	v_and_b32_e32 v18, 3, v18
; %bb.1757:                             ;   in Loop: Header=BB4_129 Depth=2
	s_or_b32 exec_lo, exec_lo, s42
	v_lshlrev_b32_e32 v15, 16, v16
	s_delay_alu instid0(VALU_DEP_1) | instskip(NEXT) | instid1(VALU_DEP_1)
	v_and_b32_e32 v15, 0x80000000, v15
	v_lshl_add_u32 v14, v14, 23, v15
	s_delay_alu instid0(VALU_DEP_1) | instskip(NEXT) | instid1(VALU_DEP_1)
	v_lshl_or_b32 v14, v18, 21, v14
                                        ; implicit-def: $vgpr18
	v_add_nc_u32_e32 v15, 0x38000000, v14
.LBB4_1758:                             ;   in Loop: Header=BB4_129 Depth=2
	s_and_not1_saveexec_b32 s15, s15
; %bb.1759:                             ;   in Loop: Header=BB4_129 Depth=2
	v_cmp_lt_i16_e32 vcc_lo, -1, v16
	v_cndmask_b32_e32 v14, 0xff800000, v126, vcc_lo
	v_cmp_eq_u32_e32 vcc_lo, 0, v18
	s_delay_alu instid0(VALU_DEP_2)
	v_cndmask_b32_e32 v15, 0x7f800001, v14, vcc_lo
; %bb.1760:                             ;   in Loop: Header=BB4_129 Depth=2
	s_or_b32 exec_lo, exec_lo, s15
.LBB4_1761:                             ;   in Loop: Header=BB4_129 Depth=2
	s_delay_alu instid0(SALU_CYCLE_1)
	s_or_b32 exec_lo, exec_lo, s10
.LBB4_1762:                             ;   in Loop: Header=BB4_129 Depth=2
	s_delay_alu instid0(SALU_CYCLE_1) | instskip(NEXT) | instid1(SALU_CYCLE_1)
	s_or_b32 exec_lo, exec_lo, s14
	s_mov_b32 s10, exec_lo
	v_cmpx_ne_u16_e32 0, v10
	s_cbranch_execz .LBB4_1772
; %bb.1763:                             ;   in Loop: Header=BB4_129 Depth=2
	v_bfrev_b32_e32 v11, 1
	s_mov_b32 s14, exec_lo
	v_cmpx_ne_u16_e32 0x80, v10
	s_cbranch_execz .LBB4_1771
; %bb.1764:                             ;   in Loop: Header=BB4_129 Depth=2
	v_and_b32_e32 v18, 0xffff, v10
	s_delay_alu instid0(VALU_DEP_1) | instskip(SKIP_1) | instid1(VALU_DEP_2)
	v_and_b32_e32 v11, 0x7c, v18
	v_and_b32_e32 v14, 3, v18
	v_cmp_ne_u32_e32 vcc_lo, 0x7c, v11
                                        ; implicit-def: $vgpr11
	s_and_saveexec_b32 s15, vcc_lo
	s_delay_alu instid0(SALU_CYCLE_1)
	s_xor_b32 s15, exec_lo, s15
	s_cbranch_execz .LBB4_1768
; %bb.1765:                             ;   in Loop: Header=BB4_129 Depth=2
	v_bfe_u32 v11, v18, 2, 5
	s_mov_b32 s42, exec_lo
	s_delay_alu instid0(VALU_DEP_1)
	v_cmpx_eq_u32_e32 0, v11
	s_cbranch_execz .LBB4_1767
; %bb.1766:                             ;   in Loop: Header=BB4_129 Depth=2
	v_clz_i32_u32_e32 v11, v14
	s_delay_alu instid0(VALU_DEP_1) | instskip(SKIP_1) | instid1(VALU_DEP_2)
	v_min_u32_e32 v14, 32, v11
	v_mov_b32_e32 v11, v55
	v_subrev_nc_u32_e32 v18, 29, v14
	s_delay_alu instid0(VALU_DEP_1) | instskip(SKIP_1) | instid1(VALU_DEP_2)
	v_lshlrev_b64_e32 v[10:11], v18, v[10:11]
	v_sub_nc_u32_e32 v11, 30, v14
	v_and_b32_e32 v14, 3, v10
.LBB4_1767:                             ;   in Loop: Header=BB4_129 Depth=2
	s_or_b32 exec_lo, exec_lo, s42
	v_lshlrev_b32_e32 v10, 16, v12
	s_delay_alu instid0(VALU_DEP_1) | instskip(NEXT) | instid1(VALU_DEP_1)
	v_and_b32_e32 v10, 0x80000000, v10
	v_lshl_add_u32 v10, v11, 23, v10
	s_delay_alu instid0(VALU_DEP_1) | instskip(NEXT) | instid1(VALU_DEP_1)
	v_lshl_or_b32 v10, v14, 21, v10
                                        ; implicit-def: $vgpr14
	v_add_nc_u32_e32 v11, 0x38000000, v10
.LBB4_1768:                             ;   in Loop: Header=BB4_129 Depth=2
	s_and_not1_saveexec_b32 s15, s15
; %bb.1769:                             ;   in Loop: Header=BB4_129 Depth=2
	v_cmp_lt_i16_e32 vcc_lo, -1, v12
	v_cndmask_b32_e32 v10, 0xff800000, v126, vcc_lo
	v_cmp_eq_u32_e32 vcc_lo, 0, v14
	s_delay_alu instid0(VALU_DEP_2)
	v_cndmask_b32_e32 v11, 0x7f800001, v10, vcc_lo
; %bb.1770:                             ;   in Loop: Header=BB4_129 Depth=2
	s_or_b32 exec_lo, exec_lo, s15
.LBB4_1771:                             ;   in Loop: Header=BB4_129 Depth=2
	s_delay_alu instid0(SALU_CYCLE_1)
	s_or_b32 exec_lo, exec_lo, s14
.LBB4_1772:                             ;   in Loop: Header=BB4_129 Depth=2
	s_delay_alu instid0(SALU_CYCLE_1) | instskip(NEXT) | instid1(VALU_DEP_1)
	s_or_b32 exec_lo, exec_lo, s10
	v_max_num_f32_e32 v10, v11, v11
	v_max_num_f32_e32 v11, v15, v15
	s_delay_alu instid0(VALU_DEP_1)
	v_min_num_f32_e32 v11, v11, v10
.LBB4_1773:                             ;   in Loop: Header=BB4_129 Depth=2
	s_delay_alu instid0(VALU_DEP_1) | instskip(SKIP_3) | instid1(VALU_DEP_2)
	v_and_b32_e32 v14, 0x7f800000, v11
	v_dual_mov_b32 v15, v55 :: v_dual_lshrrev_b32 v10, 24, v11
	v_and_b32_e32 v54, 0x7fffff, v11
                                        ; implicit-def: $vgpr59
	s_mov_b32 s10, exec_lo
	v_cmpx_ne_u64_e32 0x7f800000, v[14:15]
	s_xor_b32 s14, exec_lo, s10
	s_cbranch_execz .LBB4_1787
; %bb.1774:                             ;   in Loop: Header=BB4_129 Depth=2
	v_and_b32_e32 v14, 0x7fffffff, v11
	v_mov_b32_e32 v15, v55
	v_and_b32_e32 v18, 0x80, v10
                                        ; implicit-def: $vgpr59
	s_mov_b32 s10, exec_lo
	s_delay_alu instid0(VALU_DEP_2)
	v_cmpx_gt_u64_e32 0x47600001, v[14:15]
	s_xor_b32 s15, exec_lo, s10
	s_cbranch_execz .LBB4_1784
; %bb.1775:                             ;   in Loop: Header=BB4_129 Depth=2
	v_mov_b32_e32 v59, 0
	s_mov_b32 s42, exec_lo
	v_cmpx_ne_u32_e32 0, v11
	s_cbranch_execz .LBB4_1783
; %bb.1776:                             ;   in Loop: Header=BB4_129 Depth=2
	v_bfe_u32 v19, v11, 23, 8
	v_or_b32_e32 v14, 0x800000, v54
	s_delay_alu instid0(VALU_DEP_2) | instskip(SKIP_1) | instid1(VALU_DEP_2)
	v_sub_nc_u32_e32 v10, 0x71, v19
	v_cmp_gt_u32_e32 vcc_lo, 0x72, v19
	v_cndmask_b32_e32 v10, 0, v10, vcc_lo
	v_cmp_eq_u32_e32 vcc_lo, 0, v19
	s_delay_alu instid0(VALU_DEP_2) | instskip(NEXT) | instid1(VALU_DEP_1)
	v_cndmask_b32_e64 v59, v10, 0x70, vcc_lo
	v_dual_cndmask_b32 v54, v14, v54, vcc_lo :: v_dual_add_nc_u32 v10, 21, v59
	v_add_nc_u32_e32 v15, 20, v59
	s_delay_alu instid0(VALU_DEP_2) | instskip(NEXT) | instid1(VALU_DEP_2)
	v_lshlrev_b64_e64 v[10:11], v10, -1
	v_lshlrev_b64_e64 v[14:15], v15, 1
	s_delay_alu instid0(VALU_DEP_2) | instskip(NEXT) | instid1(VALU_DEP_3)
	v_bfi_b32 v61, v11, 0, 0
	v_bfi_b32 v60, v10, 0, v54
	v_lshrrev_b64 v[10:11], v59, v[54:55]
	s_delay_alu instid0(VALU_DEP_2) | instskip(NEXT) | instid1(VALU_DEP_2)
	v_cmp_eq_u64_e64 s10, v[60:61], v[14:15]
	v_mov_b64_e32 v[14:15], v[10:11]
	s_and_saveexec_b32 s43, s10
; %bb.1777:                             ;   in Loop: Header=BB4_129 Depth=2
	v_bfe_u32 v54, v10, 21, 1
	s_delay_alu instid0(VALU_DEP_1) | instskip(NEXT) | instid1(VALU_DEP_1)
	v_add_nc_u64_e32 v[14:15], v[10:11], v[54:55]
	v_add_nc_u64_e32 v[14:15], -1, v[14:15]
; %bb.1778:                             ;   in Loop: Header=BB4_129 Depth=2
	s_or_b32 exec_lo, exec_lo, s43
	v_add_nc_u32_e32 v11, 0xffffff81, v19
	v_lshrrev_b32_e32 v15, 23, v10
	s_mov_b32 s10, exec_lo
	s_delay_alu instid0(VALU_DEP_2) | instskip(NEXT) | instid1(VALU_DEP_1)
	v_cndmask_b32_e64 v11, v11, 0xffffff82, vcc_lo
	v_add3_u32 v15, v59, v11, v15
	v_and_b32_e32 v11, 0x1fffff, v14
                                        ; implicit-def: $vgpr14
	s_delay_alu instid0(VALU_DEP_1) | instskip(NEXT) | instid1(VALU_DEP_1)
	v_dual_add_nc_u32 v19, 14, v15 :: v_dual_add_nc_u32 v54, v11, v10
                                        ; implicit-def: $vgpr10_vgpr11
	v_cmpx_ne_u32_e32 0, v19
	s_xor_b32 s10, exec_lo, s10
; %bb.1779:                             ;   in Loop: Header=BB4_129 Depth=2
	s_delay_alu instid0(VALU_DEP_2) | instskip(SKIP_1) | instid1(VALU_DEP_1)
	v_cmp_lt_u64_e32 vcc_lo, 0xffffff, v[54:55]
	v_add_nc_u32_e32 v10, 15, v15
	v_cndmask_b32_e32 v14, v19, v10, vcc_lo
	v_cndmask_b32_e64 v10, 0, 1, vcc_lo
	s_delay_alu instid0(VALU_DEP_1)
	v_lshrrev_b64 v[10:11], v10, v[54:55]
; %bb.1780:                             ;   in Loop: Header=BB4_129 Depth=2
	s_and_not1_saveexec_b32 s10, s10
; %bb.1781:                             ;   in Loop: Header=BB4_129 Depth=2
	v_mov_b64_e32 v[10:11], v[54:55]
	v_bfe_u32 v14, v54, 23, 1
; %bb.1782:                             ;   in Loop: Header=BB4_129 Depth=2
	s_or_b32 exec_lo, exec_lo, s10
	s_delay_alu instid0(VALU_DEP_2) | instskip(NEXT) | instid1(VALU_DEP_2)
	v_lshrrev_b64 v[10:11], 21, v[10:11]
	v_cmp_gt_i32_e32 vcc_lo, 32, v14
	v_min_i32_e32 v15, 31, v14
	v_cmp_eq_u32_e64 s10, 0, v14
	s_delay_alu instid0(VALU_DEP_4) | instskip(NEXT) | instid1(VALU_DEP_3)
	v_cndmask_b32_e32 v11, 0, v11, vcc_lo
	v_dual_cndmask_b32 v10, 3, v10 :: v_dual_lshlrev_b32 v15, 2, v15
	s_delay_alu instid0(VALU_DEP_1) | instskip(NEXT) | instid1(VALU_DEP_2)
	v_and_b32_e32 v15, 0xfc, v15
	v_cmp_eq_u64_e32 vcc_lo, 0, v[10:11]
	s_delay_alu instid0(VALU_DEP_2)
	v_and_or_b32 v10, v10, 3, v15
	s_and_b32 s10, s10, vcc_lo
	s_delay_alu instid0(VALU_DEP_1) | instid1(SALU_CYCLE_1)
	v_cndmask_b32_e64 v10, v10, 0, s10
	s_delay_alu instid0(VALU_DEP_1)
	v_or_b32_e32 v59, v10, v18
.LBB4_1783:                             ;   in Loop: Header=BB4_129 Depth=2
	s_or_b32 exec_lo, exec_lo, s42
                                        ; implicit-def: $vgpr18
.LBB4_1784:                             ;   in Loop: Header=BB4_129 Depth=2
	s_and_not1_saveexec_b32 s10, s15
; %bb.1785:                             ;   in Loop: Header=BB4_129 Depth=2
	v_or_b32_e32 v59, 0x7b, v18
; %bb.1786:                             ;   in Loop: Header=BB4_129 Depth=2
	s_or_b32 exec_lo, exec_lo, s10
                                        ; implicit-def: $vgpr11
                                        ; implicit-def: $vgpr10
.LBB4_1787:                             ;   in Loop: Header=BB4_129 Depth=2
	s_and_not1_saveexec_b32 s10, s14
	s_cbranch_execz .LBB4_1793
; %bb.1788:                             ;   in Loop: Header=BB4_129 Depth=2
	s_mov_b32 s14, exec_lo
                                        ; implicit-def: $vgpr59
	v_cmpx_ne_u64_e32 0, v[54:55]
	s_xor_b32 s14, exec_lo, s14
; %bb.1789:                             ;   in Loop: Header=BB4_129 Depth=2
	v_or_b32_e32 v59, 0x7f, v10
                                        ; implicit-def: $vgpr11
; %bb.1790:                             ;   in Loop: Header=BB4_129 Depth=2
	s_and_not1_saveexec_b32 s14, s14
; %bb.1791:                             ;   in Loop: Header=BB4_129 Depth=2
	v_cmp_lt_i32_e32 vcc_lo, -1, v11
	v_cndmask_b32_e32 v59, 0xfc, v122, vcc_lo
; %bb.1792:                             ;   in Loop: Header=BB4_129 Depth=2
	s_or_b32 exec_lo, exec_lo, s14
.LBB4_1793:                             ;   in Loop: Header=BB4_129 Depth=2
	s_delay_alu instid0(SALU_CYCLE_1) | instskip(SKIP_4) | instid1(VALU_DEP_2)
	s_or_b32 exec_lo, exec_lo, s10
	v_lshrrev_b32_e32 v14, 16, v16
	v_lshrrev_b32_e32 v10, 16, v12
	s_and_not1_b32 vcc_lo, exec_lo, s13
	s_mov_b32 s14, -1
                                        ; implicit-def: $vgpr15
	v_and_b32_e32 v11, 0xff, v14
	s_delay_alu instid0(VALU_DEP_1)
	v_cmp_ne_u16_e64 s10, 0, v11
	s_cbranch_vccnz .LBB4_1815
; %bb.1794:                             ;   in Loop: Header=BB4_129 Depth=2
	v_dual_mov_b32 v18, 0 :: v_dual_mov_b32 v15, 0
	s_and_saveexec_b32 s14, s10
	s_cbranch_execz .LBB4_1804
; %bb.1795:                             ;   in Loop: Header=BB4_129 Depth=2
	v_bfrev_b32_e32 v15, 1
	s_mov_b32 s15, exec_lo
	v_cmpx_ne_u16_e32 0x80, v11
	s_cbranch_execz .LBB4_1803
; %bb.1796:                             ;   in Loop: Header=BB4_129 Depth=2
	v_and_b32_e32 v15, 0x7c0000, v16
	v_bfe_u32 v19, v16, 16, 2
	s_delay_alu instid0(VALU_DEP_2) | instskip(SKIP_1) | instid1(SALU_CYCLE_1)
	v_cmp_ne_u32_e32 vcc_lo, 0x7c0000, v15
                                        ; implicit-def: $vgpr15
	s_and_saveexec_b32 s42, vcc_lo
	s_xor_b32 s42, exec_lo, s42
	s_cbranch_execz .LBB4_1800
; %bb.1797:                             ;   in Loop: Header=BB4_129 Depth=2
	v_bfe_u32 v15, v16, 18, 5
	s_mov_b32 s43, exec_lo
	s_delay_alu instid0(VALU_DEP_1)
	v_cmpx_eq_u32_e32 0, v15
; %bb.1798:                             ;   in Loop: Header=BB4_129 Depth=2
	v_clz_i32_u32_e32 v15, v19
	s_delay_alu instid0(VALU_DEP_1) | instskip(NEXT) | instid1(VALU_DEP_1)
	v_min_u32_e32 v15, 32, v15
	v_subrev_nc_u32_e32 v19, 29, v15
	s_delay_alu instid0(VALU_DEP_1) | instskip(NEXT) | instid1(VALU_DEP_1)
	v_lshlrev_b64_e32 v[60:61], v19, v[14:15]
	v_dual_sub_nc_u32 v15, 30, v15 :: v_dual_bitop2_b32 v19, 3, v60 bitop3:0x40
; %bb.1799:                             ;   in Loop: Header=BB4_129 Depth=2
	s_or_b32 exec_lo, exec_lo, s43
	v_lshlrev_b32_e32 v54, 24, v14
	s_delay_alu instid0(VALU_DEP_1) | instskip(NEXT) | instid1(VALU_DEP_1)
	v_and_b32_e32 v54, 0x80000000, v54
	v_lshl_add_u32 v15, v15, 23, v54
	s_delay_alu instid0(VALU_DEP_1) | instskip(NEXT) | instid1(VALU_DEP_1)
	v_lshl_or_b32 v15, v19, 21, v15
                                        ; implicit-def: $vgpr19
	v_add_nc_u32_e32 v15, 0x38000000, v15
.LBB4_1800:                             ;   in Loop: Header=BB4_129 Depth=2
	s_and_not1_saveexec_b32 s42, s42
; %bb.1801:                             ;   in Loop: Header=BB4_129 Depth=2
	v_bfe_i32 v15, v14, 0, 8
	s_delay_alu instid0(VALU_DEP_1) | instskip(SKIP_2) | instid1(VALU_DEP_2)
	v_cmp_lt_i16_e32 vcc_lo, -1, v15
	v_cndmask_b32_e32 v15, 0xff800000, v126, vcc_lo
	v_cmp_eq_u32_e32 vcc_lo, 0, v19
	v_cndmask_b32_e32 v15, 0x7f800001, v15, vcc_lo
; %bb.1802:                             ;   in Loop: Header=BB4_129 Depth=2
	s_or_b32 exec_lo, exec_lo, s42
.LBB4_1803:                             ;   in Loop: Header=BB4_129 Depth=2
	s_delay_alu instid0(SALU_CYCLE_1)
	s_or_b32 exec_lo, exec_lo, s15
.LBB4_1804:                             ;   in Loop: Header=BB4_129 Depth=2
	s_delay_alu instid0(SALU_CYCLE_1) | instskip(SKIP_2) | instid1(VALU_DEP_1)
	s_or_b32 exec_lo, exec_lo, s14
	v_and_b32_e32 v19, 0xff, v10
	s_mov_b32 s14, exec_lo
	v_cmpx_ne_u16_e32 0, v19
	s_cbranch_execz .LBB4_1814
; %bb.1805:                             ;   in Loop: Header=BB4_129 Depth=2
	v_bfrev_b32_e32 v18, 1
	s_mov_b32 s15, exec_lo
	v_cmpx_ne_u16_e32 0x80, v19
	s_cbranch_execz .LBB4_1813
; %bb.1806:                             ;   in Loop: Header=BB4_129 Depth=2
	v_and_b32_e32 v18, 0x7c0000, v12
	v_bfe_u32 v19, v12, 16, 2
	s_delay_alu instid0(VALU_DEP_2) | instskip(SKIP_1) | instid1(SALU_CYCLE_1)
	v_cmp_ne_u32_e32 vcc_lo, 0x7c0000, v18
                                        ; implicit-def: $vgpr18
	s_and_saveexec_b32 s42, vcc_lo
	s_xor_b32 s42, exec_lo, s42
	s_cbranch_execz .LBB4_1810
; %bb.1807:                             ;   in Loop: Header=BB4_129 Depth=2
	v_bfe_u32 v18, v12, 18, 5
	s_mov_b32 s43, exec_lo
	s_delay_alu instid0(VALU_DEP_1)
	v_cmpx_eq_u32_e32 0, v18
; %bb.1808:                             ;   in Loop: Header=BB4_129 Depth=2
	v_clz_i32_u32_e32 v18, v19
	s_delay_alu instid0(VALU_DEP_1) | instskip(NEXT) | instid1(VALU_DEP_1)
	v_min_u32_e32 v18, 32, v18
	v_subrev_nc_u32_e32 v19, 29, v18
	s_delay_alu instid0(VALU_DEP_1) | instskip(NEXT) | instid1(VALU_DEP_1)
	v_lshlrev_b64_e32 v[60:61], v19, v[10:11]
	v_dual_sub_nc_u32 v18, 30, v18 :: v_dual_bitop2_b32 v19, 3, v60 bitop3:0x40
; %bb.1809:                             ;   in Loop: Header=BB4_129 Depth=2
	s_or_b32 exec_lo, exec_lo, s43
	v_lshlrev_b32_e32 v54, 24, v10
	s_delay_alu instid0(VALU_DEP_1) | instskip(NEXT) | instid1(VALU_DEP_1)
	v_and_b32_e32 v54, 0x80000000, v54
	v_lshl_add_u32 v18, v18, 23, v54
	s_delay_alu instid0(VALU_DEP_1) | instskip(NEXT) | instid1(VALU_DEP_1)
	v_lshl_or_b32 v18, v19, 21, v18
                                        ; implicit-def: $vgpr19
	v_add_nc_u32_e32 v18, 0x38000000, v18
.LBB4_1810:                             ;   in Loop: Header=BB4_129 Depth=2
	s_and_not1_saveexec_b32 s42, s42
; %bb.1811:                             ;   in Loop: Header=BB4_129 Depth=2
	v_bfe_i32 v18, v10, 0, 8
	s_delay_alu instid0(VALU_DEP_1) | instskip(SKIP_2) | instid1(VALU_DEP_2)
	v_cmp_lt_i16_e32 vcc_lo, -1, v18
	v_cndmask_b32_e32 v18, 0xff800000, v126, vcc_lo
	v_cmp_eq_u32_e32 vcc_lo, 0, v19
	v_cndmask_b32_e32 v18, 0x7f800001, v18, vcc_lo
; %bb.1812:                             ;   in Loop: Header=BB4_129 Depth=2
	s_or_b32 exec_lo, exec_lo, s42
.LBB4_1813:                             ;   in Loop: Header=BB4_129 Depth=2
	s_delay_alu instid0(SALU_CYCLE_1)
	s_or_b32 exec_lo, exec_lo, s15
.LBB4_1814:                             ;   in Loop: Header=BB4_129 Depth=2
	s_delay_alu instid0(SALU_CYCLE_1) | instskip(NEXT) | instid1(VALU_DEP_1)
	s_or_b32 exec_lo, exec_lo, s14
	v_dual_max_num_f32 v18, v18, v18 :: v_dual_max_num_f32 v15, v15, v15
	s_mov_b32 s14, 0
	s_delay_alu instid0(VALU_DEP_1)
	v_max_num_f32_e32 v15, v15, v18
.LBB4_1815:                             ;   in Loop: Header=BB4_129 Depth=2
	s_and_b32 vcc_lo, exec_lo, s14
	s_cbranch_vccz .LBB4_1837
; %bb.1816:                             ;   in Loop: Header=BB4_129 Depth=2
	v_dual_mov_b32 v18, 0 :: v_dual_mov_b32 v15, 0
	s_and_saveexec_b32 s14, s10
	s_cbranch_execz .LBB4_1826
; %bb.1817:                             ;   in Loop: Header=BB4_129 Depth=2
	v_bfrev_b32_e32 v15, 1
	s_mov_b32 s10, exec_lo
	v_cmpx_ne_u16_e32 0x80, v11
	s_cbranch_execz .LBB4_1825
; %bb.1818:                             ;   in Loop: Header=BB4_129 Depth=2
	v_and_b32_e32 v15, 0x7c0000, v16
	v_bfe_u32 v11, v16, 16, 2
	s_delay_alu instid0(VALU_DEP_2) | instskip(SKIP_1) | instid1(SALU_CYCLE_1)
	v_cmp_ne_u32_e32 vcc_lo, 0x7c0000, v15
                                        ; implicit-def: $vgpr15
	s_and_saveexec_b32 s15, vcc_lo
	s_xor_b32 s15, exec_lo, s15
	s_cbranch_execz .LBB4_1822
; %bb.1819:                             ;   in Loop: Header=BB4_129 Depth=2
	v_bfe_u32 v15, v16, 18, 5
	s_mov_b32 s42, exec_lo
	s_delay_alu instid0(VALU_DEP_1)
	v_cmpx_eq_u32_e32 0, v15
; %bb.1820:                             ;   in Loop: Header=BB4_129 Depth=2
	v_clz_i32_u32_e32 v11, v11
	s_delay_alu instid0(VALU_DEP_1) | instskip(NEXT) | instid1(VALU_DEP_1)
	v_min_u32_e32 v11, 32, v11
	v_subrev_nc_u32_e32 v15, 29, v11
	s_delay_alu instid0(VALU_DEP_1) | instskip(NEXT) | instid1(VALU_DEP_1)
	v_lshlrev_b64_e32 v[60:61], v15, v[14:15]
	v_dual_sub_nc_u32 v15, 30, v11 :: v_dual_bitop2_b32 v11, 3, v60 bitop3:0x40
; %bb.1821:                             ;   in Loop: Header=BB4_129 Depth=2
	s_or_b32 exec_lo, exec_lo, s42
	v_lshlrev_b32_e32 v14, 24, v14
	s_delay_alu instid0(VALU_DEP_1) | instskip(NEXT) | instid1(VALU_DEP_1)
	v_and_b32_e32 v14, 0x80000000, v14
	v_lshl_add_u32 v14, v15, 23, v14
	s_delay_alu instid0(VALU_DEP_1) | instskip(NEXT) | instid1(VALU_DEP_1)
	v_lshl_or_b32 v11, v11, 21, v14
                                        ; implicit-def: $vgpr14
	v_add_nc_u32_e32 v15, 0x38000000, v11
                                        ; implicit-def: $vgpr11
.LBB4_1822:                             ;   in Loop: Header=BB4_129 Depth=2
	s_and_not1_saveexec_b32 s15, s15
; %bb.1823:                             ;   in Loop: Header=BB4_129 Depth=2
	v_bfe_i32 v14, v14, 0, 8
	s_delay_alu instid0(VALU_DEP_1) | instskip(SKIP_2) | instid1(VALU_DEP_2)
	v_cmp_lt_i16_e32 vcc_lo, -1, v14
	v_cndmask_b32_e32 v14, 0xff800000, v126, vcc_lo
	v_cmp_eq_u32_e32 vcc_lo, 0, v11
	v_cndmask_b32_e32 v15, 0x7f800001, v14, vcc_lo
; %bb.1824:                             ;   in Loop: Header=BB4_129 Depth=2
	s_or_b32 exec_lo, exec_lo, s15
.LBB4_1825:                             ;   in Loop: Header=BB4_129 Depth=2
	s_delay_alu instid0(SALU_CYCLE_1)
	s_or_b32 exec_lo, exec_lo, s10
.LBB4_1826:                             ;   in Loop: Header=BB4_129 Depth=2
	s_delay_alu instid0(SALU_CYCLE_1) | instskip(SKIP_2) | instid1(VALU_DEP_1)
	s_or_b32 exec_lo, exec_lo, s14
	v_and_b32_e32 v11, 0xff, v10
	s_mov_b32 s10, exec_lo
	v_cmpx_ne_u16_e32 0, v11
	s_cbranch_execz .LBB4_1836
; %bb.1827:                             ;   in Loop: Header=BB4_129 Depth=2
	v_bfrev_b32_e32 v18, 1
	s_mov_b32 s14, exec_lo
	v_cmpx_ne_u16_e32 0x80, v11
	s_cbranch_execz .LBB4_1835
; %bb.1828:                             ;   in Loop: Header=BB4_129 Depth=2
	v_and_b32_e32 v14, 0x7c0000, v12
	v_bfe_u32 v11, v12, 16, 2
	s_mov_b32 s15, exec_lo
                                        ; implicit-def: $vgpr18
	s_delay_alu instid0(VALU_DEP_2)
	v_cmpx_ne_u32_e32 0x7c0000, v14
	s_xor_b32 s15, exec_lo, s15
	s_cbranch_execz .LBB4_1832
; %bb.1829:                             ;   in Loop: Header=BB4_129 Depth=2
	v_bfe_u32 v14, v12, 18, 5
	s_mov_b32 s42, exec_lo
	s_delay_alu instid0(VALU_DEP_1)
	v_cmpx_eq_u32_e32 0, v14
; %bb.1830:                             ;   in Loop: Header=BB4_129 Depth=2
	v_clz_i32_u32_e32 v11, v11
	s_delay_alu instid0(VALU_DEP_1) | instskip(NEXT) | instid1(VALU_DEP_1)
	v_min_u32_e32 v11, 32, v11
	v_subrev_nc_u32_e32 v14, 29, v11
	s_delay_alu instid0(VALU_DEP_1) | instskip(NEXT) | instid1(VALU_DEP_1)
	v_lshlrev_b64_e32 v[18:19], v14, v[10:11]
	v_dual_sub_nc_u32 v14, 30, v11 :: v_dual_bitop2_b32 v11, 3, v18 bitop3:0x40
; %bb.1831:                             ;   in Loop: Header=BB4_129 Depth=2
	s_or_b32 exec_lo, exec_lo, s42
	v_lshlrev_b32_e32 v10, 24, v10
	s_delay_alu instid0(VALU_DEP_1) | instskip(NEXT) | instid1(VALU_DEP_1)
	v_and_b32_e32 v10, 0x80000000, v10
	v_lshl_add_u32 v10, v14, 23, v10
	s_delay_alu instid0(VALU_DEP_1) | instskip(NEXT) | instid1(VALU_DEP_1)
	v_lshl_or_b32 v10, v11, 21, v10
                                        ; implicit-def: $vgpr11
	v_add_nc_u32_e32 v18, 0x38000000, v10
                                        ; implicit-def: $vgpr10
.LBB4_1832:                             ;   in Loop: Header=BB4_129 Depth=2
	s_and_not1_saveexec_b32 s15, s15
; %bb.1833:                             ;   in Loop: Header=BB4_129 Depth=2
	v_bfe_i32 v10, v10, 0, 8
	s_delay_alu instid0(VALU_DEP_1) | instskip(SKIP_2) | instid1(VALU_DEP_2)
	v_cmp_lt_i16_e32 vcc_lo, -1, v10
	v_cndmask_b32_e32 v10, 0xff800000, v126, vcc_lo
	v_cmp_eq_u32_e32 vcc_lo, 0, v11
	v_cndmask_b32_e32 v18, 0x7f800001, v10, vcc_lo
; %bb.1834:                             ;   in Loop: Header=BB4_129 Depth=2
	s_or_b32 exec_lo, exec_lo, s15
.LBB4_1835:                             ;   in Loop: Header=BB4_129 Depth=2
	s_delay_alu instid0(SALU_CYCLE_1)
	s_or_b32 exec_lo, exec_lo, s14
.LBB4_1836:                             ;   in Loop: Header=BB4_129 Depth=2
	s_delay_alu instid0(SALU_CYCLE_1) | instskip(NEXT) | instid1(VALU_DEP_1)
	s_or_b32 exec_lo, exec_lo, s10
	v_dual_max_num_f32 v10, v18, v18 :: v_dual_max_num_f32 v11, v15, v15
	s_delay_alu instid0(VALU_DEP_1)
	v_min_num_f32_e32 v15, v11, v10
.LBB4_1837:                             ;   in Loop: Header=BB4_129 Depth=2
	s_delay_alu instid0(VALU_DEP_1) | instskip(SKIP_2) | instid1(VALU_DEP_2)
	v_and_b32_e32 v10, 0x7f800000, v15
	v_mov_b32_e32 v11, v55
	v_and_b32_e32 v54, 0x7fffff, v15
                                        ; implicit-def: $vgpr60
	v_cmp_ne_u64_e32 vcc_lo, 0x7f800000, v[10:11]
	v_lshrrev_b32_e32 v10, 24, v15
	s_and_saveexec_b32 s10, vcc_lo
	s_delay_alu instid0(SALU_CYCLE_1)
	s_xor_b32 s14, exec_lo, s10
	s_cbranch_execz .LBB4_1851
; %bb.1838:                             ;   in Loop: Header=BB4_129 Depth=2
	v_and_b32_e32 v18, 0x7fffffff, v15
	v_mov_b32_e32 v19, v55
                                        ; implicit-def: $vgpr60
	s_delay_alu instid0(VALU_DEP_1) | instskip(SKIP_2) | instid1(SALU_CYCLE_1)
	v_cmp_gt_u64_e32 vcc_lo, 0x47600001, v[18:19]
	v_and_b32_e32 v18, 0x80, v10
	s_and_saveexec_b32 s10, vcc_lo
	s_xor_b32 s15, exec_lo, s10
	s_cbranch_execz .LBB4_1848
; %bb.1839:                             ;   in Loop: Header=BB4_129 Depth=2
	v_mov_b32_e32 v60, 0
	s_mov_b32 s42, exec_lo
	v_cmpx_ne_u32_e32 0, v15
	s_cbranch_execz .LBB4_1847
; %bb.1840:                             ;   in Loop: Header=BB4_129 Depth=2
	v_bfe_u32 v19, v15, 23, 8
	v_or_b32_e32 v14, 0x800000, v54
	s_delay_alu instid0(VALU_DEP_2) | instskip(SKIP_1) | instid1(VALU_DEP_2)
	v_sub_nc_u32_e32 v10, 0x71, v19
	v_cmp_gt_u32_e32 vcc_lo, 0x72, v19
	v_cndmask_b32_e32 v10, 0, v10, vcc_lo
	v_cmp_eq_u32_e32 vcc_lo, 0, v19
	s_delay_alu instid0(VALU_DEP_2) | instskip(NEXT) | instid1(VALU_DEP_1)
	v_cndmask_b32_e64 v60, v10, 0x70, vcc_lo
	v_dual_cndmask_b32 v54, v14, v54, vcc_lo :: v_dual_add_nc_u32 v10, 21, v60
	v_add_nc_u32_e32 v15, 20, v60
	s_delay_alu instid0(VALU_DEP_2) | instskip(NEXT) | instid1(VALU_DEP_2)
	v_lshlrev_b64_e64 v[10:11], v10, -1
	v_lshlrev_b64_e64 v[14:15], v15, 1
	s_delay_alu instid0(VALU_DEP_2) | instskip(NEXT) | instid1(VALU_DEP_3)
	v_bfi_b32 v63, v11, 0, 0
	v_bfi_b32 v62, v10, 0, v54
	v_lshrrev_b64 v[10:11], v60, v[54:55]
	s_delay_alu instid0(VALU_DEP_2) | instskip(NEXT) | instid1(VALU_DEP_2)
	v_cmp_eq_u64_e64 s10, v[62:63], v[14:15]
	v_mov_b64_e32 v[14:15], v[10:11]
	s_and_saveexec_b32 s43, s10
; %bb.1841:                             ;   in Loop: Header=BB4_129 Depth=2
	v_bfe_u32 v54, v10, 21, 1
	s_delay_alu instid0(VALU_DEP_1) | instskip(NEXT) | instid1(VALU_DEP_1)
	v_add_nc_u64_e32 v[14:15], v[10:11], v[54:55]
	v_add_nc_u64_e32 v[14:15], -1, v[14:15]
; %bb.1842:                             ;   in Loop: Header=BB4_129 Depth=2
	s_or_b32 exec_lo, exec_lo, s43
	v_add_nc_u32_e32 v11, 0xffffff81, v19
	v_lshrrev_b32_e32 v15, 23, v10
	s_mov_b32 s10, exec_lo
	s_delay_alu instid0(VALU_DEP_2) | instskip(NEXT) | instid1(VALU_DEP_1)
	v_cndmask_b32_e64 v11, v11, 0xffffff82, vcc_lo
	v_add3_u32 v15, v60, v11, v15
	v_and_b32_e32 v11, 0x1fffff, v14
                                        ; implicit-def: $vgpr14
	s_delay_alu instid0(VALU_DEP_1) | instskip(NEXT) | instid1(VALU_DEP_1)
	v_dual_add_nc_u32 v19, 14, v15 :: v_dual_add_nc_u32 v54, v11, v10
                                        ; implicit-def: $vgpr10_vgpr11
	v_cmpx_ne_u32_e32 0, v19
	s_xor_b32 s10, exec_lo, s10
; %bb.1843:                             ;   in Loop: Header=BB4_129 Depth=2
	s_delay_alu instid0(VALU_DEP_2) | instskip(SKIP_1) | instid1(VALU_DEP_1)
	v_cmp_lt_u64_e32 vcc_lo, 0xffffff, v[54:55]
	v_add_nc_u32_e32 v10, 15, v15
	v_cndmask_b32_e32 v14, v19, v10, vcc_lo
	v_cndmask_b32_e64 v10, 0, 1, vcc_lo
	s_delay_alu instid0(VALU_DEP_1)
	v_lshrrev_b64 v[10:11], v10, v[54:55]
; %bb.1844:                             ;   in Loop: Header=BB4_129 Depth=2
	s_and_not1_saveexec_b32 s10, s10
; %bb.1845:                             ;   in Loop: Header=BB4_129 Depth=2
	v_mov_b64_e32 v[10:11], v[54:55]
	v_bfe_u32 v14, v54, 23, 1
; %bb.1846:                             ;   in Loop: Header=BB4_129 Depth=2
	s_or_b32 exec_lo, exec_lo, s10
	s_delay_alu instid0(VALU_DEP_2) | instskip(NEXT) | instid1(VALU_DEP_2)
	v_lshrrev_b64 v[10:11], 21, v[10:11]
	v_cmp_gt_i32_e32 vcc_lo, 32, v14
	v_min_i32_e32 v15, 31, v14
	v_cmp_eq_u32_e64 s10, 0, v14
	s_delay_alu instid0(VALU_DEP_4) | instskip(NEXT) | instid1(VALU_DEP_3)
	v_cndmask_b32_e32 v11, 0, v11, vcc_lo
	v_dual_cndmask_b32 v10, 3, v10 :: v_dual_lshlrev_b32 v15, 2, v15
	s_delay_alu instid0(VALU_DEP_1) | instskip(NEXT) | instid1(VALU_DEP_2)
	v_and_b32_e32 v15, 0xfc, v15
	v_cmp_eq_u64_e32 vcc_lo, 0, v[10:11]
	s_delay_alu instid0(VALU_DEP_2)
	v_and_or_b32 v10, v10, 3, v15
	s_and_b32 s10, s10, vcc_lo
	s_delay_alu instid0(VALU_DEP_1) | instid1(SALU_CYCLE_1)
	v_cndmask_b32_e64 v10, v10, 0, s10
	s_delay_alu instid0(VALU_DEP_1)
	v_or_b32_e32 v60, v10, v18
.LBB4_1847:                             ;   in Loop: Header=BB4_129 Depth=2
	s_or_b32 exec_lo, exec_lo, s42
                                        ; implicit-def: $vgpr18
.LBB4_1848:                             ;   in Loop: Header=BB4_129 Depth=2
	s_and_not1_saveexec_b32 s10, s15
; %bb.1849:                             ;   in Loop: Header=BB4_129 Depth=2
	v_or_b32_e32 v60, 0x7b, v18
; %bb.1850:                             ;   in Loop: Header=BB4_129 Depth=2
	s_or_b32 exec_lo, exec_lo, s10
                                        ; implicit-def: $vgpr15
                                        ; implicit-def: $vgpr10
.LBB4_1851:                             ;   in Loop: Header=BB4_129 Depth=2
	s_and_not1_saveexec_b32 s10, s14
	s_cbranch_execz .LBB4_1857
; %bb.1852:                             ;   in Loop: Header=BB4_129 Depth=2
	s_mov_b32 s14, exec_lo
                                        ; implicit-def: $vgpr60
	v_cmpx_ne_u64_e32 0, v[54:55]
	s_xor_b32 s14, exec_lo, s14
; %bb.1853:                             ;   in Loop: Header=BB4_129 Depth=2
	v_or_b32_e32 v60, 0x7f, v10
                                        ; implicit-def: $vgpr15
; %bb.1854:                             ;   in Loop: Header=BB4_129 Depth=2
	s_and_not1_saveexec_b32 s14, s14
; %bb.1855:                             ;   in Loop: Header=BB4_129 Depth=2
	v_cmp_lt_i32_e32 vcc_lo, -1, v15
	v_cndmask_b32_e32 v60, 0xfc, v122, vcc_lo
; %bb.1856:                             ;   in Loop: Header=BB4_129 Depth=2
	s_or_b32 exec_lo, exec_lo, s14
.LBB4_1857:                             ;   in Loop: Header=BB4_129 Depth=2
	s_delay_alu instid0(SALU_CYCLE_1)
	s_or_b32 exec_lo, exec_lo, s10
	v_lshrrev_b32_e32 v14, 24, v16
	v_lshrrev_b32_e32 v10, 24, v12
	v_cmp_lt_u32_e64 s10, 0xffffff, v16
	s_and_not1_b32 vcc_lo, exec_lo, s13
	s_mov_b32 s14, -1
                                        ; implicit-def: $vgpr11
	s_cbranch_vccnz .LBB4_1879
; %bb.1858:                             ;   in Loop: Header=BB4_129 Depth=2
	v_dual_mov_b32 v15, 0 :: v_dual_mov_b32 v11, 0
	s_and_saveexec_b32 s14, s10
	s_cbranch_execz .LBB4_1868
; %bb.1859:                             ;   in Loop: Header=BB4_129 Depth=2
	v_bfrev_b32_e32 v11, 1
	s_mov_b32 s15, exec_lo
	v_cmpx_ne_u32_e32 0x80, v14
	s_cbranch_execz .LBB4_1867
; %bb.1860:                             ;   in Loop: Header=BB4_129 Depth=2
	v_and_b32_e32 v11, 0x7c000000, v16
	v_bfe_u32 v18, v16, 24, 2
	s_delay_alu instid0(VALU_DEP_2) | instskip(SKIP_1) | instid1(SALU_CYCLE_1)
	v_cmp_ne_u32_e32 vcc_lo, 0x7c000000, v11
                                        ; implicit-def: $vgpr11
	s_and_saveexec_b32 s42, vcc_lo
	s_xor_b32 s42, exec_lo, s42
	s_cbranch_execz .LBB4_1864
; %bb.1861:                             ;   in Loop: Header=BB4_129 Depth=2
	v_bfe_u32 v11, v16, 26, 5
	s_mov_b32 s43, exec_lo
	s_delay_alu instid0(VALU_DEP_1)
	v_cmpx_eq_u32_e32 0, v11
; %bb.1862:                             ;   in Loop: Header=BB4_129 Depth=2
	v_clz_i32_u32_e32 v11, v18
	s_delay_alu instid0(VALU_DEP_1) | instskip(NEXT) | instid1(VALU_DEP_1)
	v_min_u32_e32 v11, 32, v11
	v_subrev_nc_u32_e32 v18, 29, v11
	s_delay_alu instid0(VALU_DEP_1) | instskip(NEXT) | instid1(VALU_DEP_1)
	v_lshlrev_b64_e32 v[18:19], v18, v[14:15]
	v_dual_sub_nc_u32 v11, 30, v11 :: v_dual_bitop2_b32 v18, 3, v18 bitop3:0x40
; %bb.1863:                             ;   in Loop: Header=BB4_129 Depth=2
	s_or_b32 exec_lo, exec_lo, s43
	v_and_b32_e32 v19, 0x80000000, v16
	s_delay_alu instid0(VALU_DEP_1) | instskip(NEXT) | instid1(VALU_DEP_1)
	v_lshl_add_u32 v11, v11, 23, v19
	v_lshl_or_b32 v11, v18, 21, v11
                                        ; implicit-def: $vgpr18
	s_delay_alu instid0(VALU_DEP_1)
	v_add_nc_u32_e32 v11, 0x38000000, v11
.LBB4_1864:                             ;   in Loop: Header=BB4_129 Depth=2
	s_and_not1_saveexec_b32 s42, s42
; %bb.1865:                             ;   in Loop: Header=BB4_129 Depth=2
	v_cmp_lt_i32_e32 vcc_lo, -1, v16
	v_cndmask_b32_e32 v11, 0xff800000, v126, vcc_lo
	v_cmp_eq_u32_e32 vcc_lo, 0, v18
	s_delay_alu instid0(VALU_DEP_2)
	v_cndmask_b32_e32 v11, 0x7f800001, v11, vcc_lo
; %bb.1866:                             ;   in Loop: Header=BB4_129 Depth=2
	s_or_b32 exec_lo, exec_lo, s42
.LBB4_1867:                             ;   in Loop: Header=BB4_129 Depth=2
	s_delay_alu instid0(SALU_CYCLE_1)
	s_or_b32 exec_lo, exec_lo, s15
.LBB4_1868:                             ;   in Loop: Header=BB4_129 Depth=2
	s_delay_alu instid0(SALU_CYCLE_1) | instskip(NEXT) | instid1(SALU_CYCLE_1)
	s_or_b32 exec_lo, exec_lo, s14
	s_mov_b32 s14, exec_lo
	v_cmpx_lt_u32_e32 0xffffff, v12
	s_cbranch_execz .LBB4_1878
; %bb.1869:                             ;   in Loop: Header=BB4_129 Depth=2
	v_bfrev_b32_e32 v15, 1
	s_mov_b32 s15, exec_lo
	v_cmpx_ne_u32_e32 0x80, v10
	s_cbranch_execz .LBB4_1877
; %bb.1870:                             ;   in Loop: Header=BB4_129 Depth=2
	v_and_b32_e32 v15, 0x7c000000, v12
	v_bfe_u32 v18, v12, 24, 2
	s_delay_alu instid0(VALU_DEP_2) | instskip(SKIP_1) | instid1(SALU_CYCLE_1)
	v_cmp_ne_u32_e32 vcc_lo, 0x7c000000, v15
                                        ; implicit-def: $vgpr15
	s_and_saveexec_b32 s42, vcc_lo
	s_xor_b32 s42, exec_lo, s42
	s_cbranch_execz .LBB4_1874
; %bb.1871:                             ;   in Loop: Header=BB4_129 Depth=2
	v_bfe_u32 v15, v12, 26, 5
	s_mov_b32 s43, exec_lo
	s_delay_alu instid0(VALU_DEP_1)
	v_cmpx_eq_u32_e32 0, v15
; %bb.1872:                             ;   in Loop: Header=BB4_129 Depth=2
	v_clz_i32_u32_e32 v15, v18
	s_delay_alu instid0(VALU_DEP_1) | instskip(NEXT) | instid1(VALU_DEP_1)
	v_min_u32_e32 v15, 32, v15
	v_subrev_nc_u32_e32 v18, 29, v15
	s_delay_alu instid0(VALU_DEP_1) | instskip(NEXT) | instid1(VALU_DEP_1)
	v_lshlrev_b64_e32 v[18:19], v18, v[10:11]
	v_dual_sub_nc_u32 v15, 30, v15 :: v_dual_bitop2_b32 v18, 3, v18 bitop3:0x40
; %bb.1873:                             ;   in Loop: Header=BB4_129 Depth=2
	s_or_b32 exec_lo, exec_lo, s43
	v_and_b32_e32 v19, 0x80000000, v12
	s_delay_alu instid0(VALU_DEP_1) | instskip(NEXT) | instid1(VALU_DEP_1)
	v_lshl_add_u32 v15, v15, 23, v19
	v_lshl_or_b32 v15, v18, 21, v15
                                        ; implicit-def: $vgpr18
	s_delay_alu instid0(VALU_DEP_1)
	v_add_nc_u32_e32 v15, 0x38000000, v15
.LBB4_1874:                             ;   in Loop: Header=BB4_129 Depth=2
	s_and_not1_saveexec_b32 s42, s42
; %bb.1875:                             ;   in Loop: Header=BB4_129 Depth=2
	v_cmp_lt_i32_e32 vcc_lo, -1, v12
	v_cndmask_b32_e32 v15, 0xff800000, v126, vcc_lo
	v_cmp_eq_u32_e32 vcc_lo, 0, v18
	s_delay_alu instid0(VALU_DEP_2)
	v_cndmask_b32_e32 v15, 0x7f800001, v15, vcc_lo
; %bb.1876:                             ;   in Loop: Header=BB4_129 Depth=2
	s_or_b32 exec_lo, exec_lo, s42
.LBB4_1877:                             ;   in Loop: Header=BB4_129 Depth=2
	s_delay_alu instid0(SALU_CYCLE_1)
	s_or_b32 exec_lo, exec_lo, s15
.LBB4_1878:                             ;   in Loop: Header=BB4_129 Depth=2
	s_delay_alu instid0(SALU_CYCLE_1) | instskip(NEXT) | instid1(VALU_DEP_1)
	s_or_b32 exec_lo, exec_lo, s14
	v_max_num_f32_e32 v15, v15, v15
	v_max_num_f32_e32 v11, v11, v11
	s_mov_b32 s14, 0
	s_delay_alu instid0(VALU_DEP_1)
	v_max_num_f32_e32 v11, v11, v15
.LBB4_1879:                             ;   in Loop: Header=BB4_129 Depth=2
	s_and_b32 vcc_lo, exec_lo, s14
	s_cbranch_vccz .LBB4_1901
; %bb.1880:                             ;   in Loop: Header=BB4_129 Depth=2
	v_dual_mov_b32 v15, 0 :: v_dual_mov_b32 v11, 0
	s_and_saveexec_b32 s14, s10
	s_cbranch_execz .LBB4_1890
; %bb.1881:                             ;   in Loop: Header=BB4_129 Depth=2
	v_bfrev_b32_e32 v11, 1
	s_mov_b32 s10, exec_lo
	v_cmpx_ne_u32_e32 0x80, v14
	s_cbranch_execz .LBB4_1889
; %bb.1882:                             ;   in Loop: Header=BB4_129 Depth=2
	v_and_b32_e32 v11, 0x7c000000, v16
	v_bfe_u32 v18, v16, 24, 2
	s_delay_alu instid0(VALU_DEP_2) | instskip(SKIP_1) | instid1(SALU_CYCLE_1)
	v_cmp_ne_u32_e32 vcc_lo, 0x7c000000, v11
                                        ; implicit-def: $vgpr11
	s_and_saveexec_b32 s15, vcc_lo
	s_xor_b32 s15, exec_lo, s15
	s_cbranch_execz .LBB4_1886
; %bb.1883:                             ;   in Loop: Header=BB4_129 Depth=2
	v_bfe_u32 v11, v16, 26, 5
	s_mov_b32 s42, exec_lo
	s_delay_alu instid0(VALU_DEP_1)
	v_cmpx_eq_u32_e32 0, v11
; %bb.1884:                             ;   in Loop: Header=BB4_129 Depth=2
	v_clz_i32_u32_e32 v11, v18
	s_delay_alu instid0(VALU_DEP_1) | instskip(NEXT) | instid1(VALU_DEP_1)
	v_min_u32_e32 v11, 32, v11
	v_subrev_nc_u32_e32 v18, 29, v11
	s_delay_alu instid0(VALU_DEP_1) | instskip(NEXT) | instid1(VALU_DEP_1)
	v_lshlrev_b64_e32 v[18:19], v18, v[14:15]
	v_dual_sub_nc_u32 v11, 30, v11 :: v_dual_bitop2_b32 v18, 3, v18 bitop3:0x40
; %bb.1885:                             ;   in Loop: Header=BB4_129 Depth=2
	s_or_b32 exec_lo, exec_lo, s42
	v_and_b32_e32 v14, 0x80000000, v16
	s_delay_alu instid0(VALU_DEP_1) | instskip(NEXT) | instid1(VALU_DEP_1)
	v_lshl_add_u32 v11, v11, 23, v14
	v_lshl_or_b32 v11, v18, 21, v11
                                        ; implicit-def: $vgpr18
	s_delay_alu instid0(VALU_DEP_1)
	v_add_nc_u32_e32 v11, 0x38000000, v11
.LBB4_1886:                             ;   in Loop: Header=BB4_129 Depth=2
	s_and_not1_saveexec_b32 s15, s15
; %bb.1887:                             ;   in Loop: Header=BB4_129 Depth=2
	v_cmp_lt_i32_e32 vcc_lo, -1, v16
	v_cndmask_b32_e32 v11, 0xff800000, v126, vcc_lo
	v_cmp_eq_u32_e32 vcc_lo, 0, v18
	s_delay_alu instid0(VALU_DEP_2)
	v_cndmask_b32_e32 v11, 0x7f800001, v11, vcc_lo
; %bb.1888:                             ;   in Loop: Header=BB4_129 Depth=2
	s_or_b32 exec_lo, exec_lo, s15
.LBB4_1889:                             ;   in Loop: Header=BB4_129 Depth=2
	s_delay_alu instid0(SALU_CYCLE_1)
	s_or_b32 exec_lo, exec_lo, s10
.LBB4_1890:                             ;   in Loop: Header=BB4_129 Depth=2
	s_delay_alu instid0(SALU_CYCLE_1) | instskip(NEXT) | instid1(SALU_CYCLE_1)
	s_or_b32 exec_lo, exec_lo, s14
	s_mov_b32 s10, exec_lo
	v_cmpx_lt_u32_e32 0xffffff, v12
	s_cbranch_execz .LBB4_1900
; %bb.1891:                             ;   in Loop: Header=BB4_129 Depth=2
	v_bfrev_b32_e32 v15, 1
	s_mov_b32 s14, exec_lo
	v_cmpx_ne_u32_e32 0x80, v10
	s_cbranch_execz .LBB4_1899
; %bb.1892:                             ;   in Loop: Header=BB4_129 Depth=2
	v_and_b32_e32 v15, 0x7c000000, v12
	v_bfe_u32 v14, v12, 24, 2
	s_delay_alu instid0(VALU_DEP_2) | instskip(SKIP_1) | instid1(SALU_CYCLE_1)
	v_cmp_ne_u32_e32 vcc_lo, 0x7c000000, v15
                                        ; implicit-def: $vgpr15
	s_and_saveexec_b32 s15, vcc_lo
	s_xor_b32 s15, exec_lo, s15
	s_cbranch_execz .LBB4_1896
; %bb.1893:                             ;   in Loop: Header=BB4_129 Depth=2
	v_bfe_u32 v15, v12, 26, 5
	s_mov_b32 s42, exec_lo
	s_delay_alu instid0(VALU_DEP_1)
	v_cmpx_eq_u32_e32 0, v15
; %bb.1894:                             ;   in Loop: Header=BB4_129 Depth=2
	v_clz_i32_u32_e32 v14, v14
	s_delay_alu instid0(VALU_DEP_1) | instskip(NEXT) | instid1(VALU_DEP_1)
	v_min_u32_e32 v18, 32, v14
	v_subrev_nc_u32_e32 v14, 29, v18
	s_delay_alu instid0(VALU_DEP_1) | instskip(SKIP_1) | instid1(VALU_DEP_2)
	v_lshlrev_b64_e32 v[14:15], v14, v[10:11]
	v_sub_nc_u32_e32 v15, 30, v18
	v_and_b32_e32 v14, 3, v14
; %bb.1895:                             ;   in Loop: Header=BB4_129 Depth=2
	s_or_b32 exec_lo, exec_lo, s42
	v_and_b32_e32 v10, 0x80000000, v12
	s_delay_alu instid0(VALU_DEP_1) | instskip(NEXT) | instid1(VALU_DEP_1)
	v_lshl_add_u32 v10, v15, 23, v10
	v_lshl_or_b32 v10, v14, 21, v10
                                        ; implicit-def: $vgpr14
	s_delay_alu instid0(VALU_DEP_1)
	v_add_nc_u32_e32 v15, 0x38000000, v10
.LBB4_1896:                             ;   in Loop: Header=BB4_129 Depth=2
	s_and_not1_saveexec_b32 s15, s15
; %bb.1897:                             ;   in Loop: Header=BB4_129 Depth=2
	v_cmp_lt_i32_e32 vcc_lo, -1, v12
	v_cndmask_b32_e32 v10, 0xff800000, v126, vcc_lo
	v_cmp_eq_u32_e32 vcc_lo, 0, v14
	s_delay_alu instid0(VALU_DEP_2)
	v_cndmask_b32_e32 v15, 0x7f800001, v10, vcc_lo
; %bb.1898:                             ;   in Loop: Header=BB4_129 Depth=2
	s_or_b32 exec_lo, exec_lo, s15
.LBB4_1899:                             ;   in Loop: Header=BB4_129 Depth=2
	s_delay_alu instid0(SALU_CYCLE_1)
	s_or_b32 exec_lo, exec_lo, s14
.LBB4_1900:                             ;   in Loop: Header=BB4_129 Depth=2
	s_delay_alu instid0(SALU_CYCLE_1) | instskip(NEXT) | instid1(VALU_DEP_1)
	s_or_b32 exec_lo, exec_lo, s10
	v_max_num_f32_e32 v10, v15, v15
	v_max_num_f32_e32 v11, v11, v11
	s_delay_alu instid0(VALU_DEP_1)
	v_min_num_f32_e32 v11, v11, v10
.LBB4_1901:                             ;   in Loop: Header=BB4_129 Depth=2
	s_delay_alu instid0(VALU_DEP_1) | instskip(SKIP_3) | instid1(VALU_DEP_2)
	v_and_b32_e32 v14, 0x7f800000, v11
	v_dual_mov_b32 v15, v55 :: v_dual_lshrrev_b32 v10, 24, v11
	v_and_b32_e32 v54, 0x7fffff, v11
                                        ; implicit-def: $vgpr61
	s_mov_b32 s10, exec_lo
	v_cmpx_ne_u64_e32 0x7f800000, v[14:15]
	s_xor_b32 s14, exec_lo, s10
	s_cbranch_execz .LBB4_1915
; %bb.1902:                             ;   in Loop: Header=BB4_129 Depth=2
	v_and_b32_e32 v14, 0x7fffffff, v11
	v_mov_b32_e32 v15, v55
	v_and_b32_e32 v18, 0x80, v10
                                        ; implicit-def: $vgpr61
	s_mov_b32 s10, exec_lo
	s_delay_alu instid0(VALU_DEP_2)
	v_cmpx_gt_u64_e32 0x47600001, v[14:15]
	s_xor_b32 s15, exec_lo, s10
	s_cbranch_execz .LBB4_1912
; %bb.1903:                             ;   in Loop: Header=BB4_129 Depth=2
	v_mov_b32_e32 v61, 0
	s_mov_b32 s42, exec_lo
	v_cmpx_ne_u32_e32 0, v11
	s_cbranch_execz .LBB4_1911
; %bb.1904:                             ;   in Loop: Header=BB4_129 Depth=2
	v_bfe_u32 v19, v11, 23, 8
	v_or_b32_e32 v14, 0x800000, v54
	s_delay_alu instid0(VALU_DEP_2) | instskip(SKIP_1) | instid1(VALU_DEP_2)
	v_sub_nc_u32_e32 v10, 0x71, v19
	v_cmp_gt_u32_e32 vcc_lo, 0x72, v19
	v_cndmask_b32_e32 v10, 0, v10, vcc_lo
	v_cmp_eq_u32_e32 vcc_lo, 0, v19
	s_delay_alu instid0(VALU_DEP_2) | instskip(NEXT) | instid1(VALU_DEP_1)
	v_cndmask_b32_e64 v61, v10, 0x70, vcc_lo
	v_dual_cndmask_b32 v54, v14, v54, vcc_lo :: v_dual_add_nc_u32 v10, 21, v61
	v_add_nc_u32_e32 v15, 20, v61
	s_delay_alu instid0(VALU_DEP_2) | instskip(NEXT) | instid1(VALU_DEP_2)
	v_lshlrev_b64_e64 v[10:11], v10, -1
	v_lshlrev_b64_e64 v[14:15], v15, 1
	s_delay_alu instid0(VALU_DEP_2) | instskip(NEXT) | instid1(VALU_DEP_3)
	v_bfi_b32 v63, v11, 0, 0
	v_bfi_b32 v62, v10, 0, v54
	v_lshrrev_b64 v[10:11], v61, v[54:55]
	s_delay_alu instid0(VALU_DEP_2) | instskip(NEXT) | instid1(VALU_DEP_2)
	v_cmp_eq_u64_e64 s10, v[62:63], v[14:15]
	v_mov_b64_e32 v[14:15], v[10:11]
	s_and_saveexec_b32 s43, s10
; %bb.1905:                             ;   in Loop: Header=BB4_129 Depth=2
	v_bfe_u32 v54, v10, 21, 1
	s_delay_alu instid0(VALU_DEP_1) | instskip(NEXT) | instid1(VALU_DEP_1)
	v_add_nc_u64_e32 v[14:15], v[10:11], v[54:55]
	v_add_nc_u64_e32 v[14:15], -1, v[14:15]
; %bb.1906:                             ;   in Loop: Header=BB4_129 Depth=2
	s_or_b32 exec_lo, exec_lo, s43
	v_add_nc_u32_e32 v11, 0xffffff81, v19
	v_lshrrev_b32_e32 v15, 23, v10
	s_mov_b32 s10, exec_lo
	s_delay_alu instid0(VALU_DEP_2) | instskip(NEXT) | instid1(VALU_DEP_1)
	v_cndmask_b32_e64 v11, v11, 0xffffff82, vcc_lo
	v_add3_u32 v15, v61, v11, v15
	v_and_b32_e32 v11, 0x1fffff, v14
                                        ; implicit-def: $vgpr14
	s_delay_alu instid0(VALU_DEP_1) | instskip(NEXT) | instid1(VALU_DEP_1)
	v_dual_add_nc_u32 v19, 14, v15 :: v_dual_add_nc_u32 v54, v11, v10
                                        ; implicit-def: $vgpr10_vgpr11
	v_cmpx_ne_u32_e32 0, v19
	s_xor_b32 s10, exec_lo, s10
; %bb.1907:                             ;   in Loop: Header=BB4_129 Depth=2
	s_delay_alu instid0(VALU_DEP_2) | instskip(SKIP_1) | instid1(VALU_DEP_1)
	v_cmp_lt_u64_e32 vcc_lo, 0xffffff, v[54:55]
	v_add_nc_u32_e32 v10, 15, v15
	v_cndmask_b32_e32 v14, v19, v10, vcc_lo
	v_cndmask_b32_e64 v10, 0, 1, vcc_lo
	s_delay_alu instid0(VALU_DEP_1)
	v_lshrrev_b64 v[10:11], v10, v[54:55]
; %bb.1908:                             ;   in Loop: Header=BB4_129 Depth=2
	s_and_not1_saveexec_b32 s10, s10
; %bb.1909:                             ;   in Loop: Header=BB4_129 Depth=2
	v_mov_b64_e32 v[10:11], v[54:55]
	v_bfe_u32 v14, v54, 23, 1
; %bb.1910:                             ;   in Loop: Header=BB4_129 Depth=2
	s_or_b32 exec_lo, exec_lo, s10
	s_delay_alu instid0(VALU_DEP_2) | instskip(NEXT) | instid1(VALU_DEP_2)
	v_lshrrev_b64 v[10:11], 21, v[10:11]
	v_cmp_gt_i32_e32 vcc_lo, 32, v14
	v_min_i32_e32 v15, 31, v14
	v_cmp_eq_u32_e64 s10, 0, v14
	s_delay_alu instid0(VALU_DEP_4) | instskip(NEXT) | instid1(VALU_DEP_3)
	v_cndmask_b32_e32 v11, 0, v11, vcc_lo
	v_dual_cndmask_b32 v10, 3, v10 :: v_dual_lshlrev_b32 v15, 2, v15
	s_delay_alu instid0(VALU_DEP_1) | instskip(NEXT) | instid1(VALU_DEP_2)
	v_and_b32_e32 v15, 0xfc, v15
	v_cmp_eq_u64_e32 vcc_lo, 0, v[10:11]
	s_delay_alu instid0(VALU_DEP_2)
	v_and_or_b32 v10, v10, 3, v15
	s_and_b32 s10, s10, vcc_lo
	s_delay_alu instid0(VALU_DEP_1) | instid1(SALU_CYCLE_1)
	v_cndmask_b32_e64 v10, v10, 0, s10
	s_delay_alu instid0(VALU_DEP_1)
	v_or_b32_e32 v61, v10, v18
.LBB4_1911:                             ;   in Loop: Header=BB4_129 Depth=2
	s_or_b32 exec_lo, exec_lo, s42
                                        ; implicit-def: $vgpr18
.LBB4_1912:                             ;   in Loop: Header=BB4_129 Depth=2
	s_and_not1_saveexec_b32 s10, s15
; %bb.1913:                             ;   in Loop: Header=BB4_129 Depth=2
	v_or_b32_e32 v61, 0x7b, v18
; %bb.1914:                             ;   in Loop: Header=BB4_129 Depth=2
	s_or_b32 exec_lo, exec_lo, s10
                                        ; implicit-def: $vgpr11
                                        ; implicit-def: $vgpr10
.LBB4_1915:                             ;   in Loop: Header=BB4_129 Depth=2
	s_and_not1_saveexec_b32 s10, s14
	s_cbranch_execz .LBB4_1921
; %bb.1916:                             ;   in Loop: Header=BB4_129 Depth=2
	s_mov_b32 s14, exec_lo
                                        ; implicit-def: $vgpr61
	v_cmpx_ne_u64_e32 0, v[54:55]
	s_xor_b32 s14, exec_lo, s14
; %bb.1917:                             ;   in Loop: Header=BB4_129 Depth=2
	v_or_b32_e32 v61, 0x7f, v10
                                        ; implicit-def: $vgpr11
; %bb.1918:                             ;   in Loop: Header=BB4_129 Depth=2
	s_and_not1_saveexec_b32 s14, s14
; %bb.1919:                             ;   in Loop: Header=BB4_129 Depth=2
	v_cmp_lt_i32_e32 vcc_lo, -1, v11
	v_cndmask_b32_e32 v61, 0xfc, v122, vcc_lo
; %bb.1920:                             ;   in Loop: Header=BB4_129 Depth=2
	s_or_b32 exec_lo, exec_lo, s14
.LBB4_1921:                             ;   in Loop: Header=BB4_129 Depth=2
	s_delay_alu instid0(SALU_CYCLE_1) | instskip(SKIP_4) | instid1(VALU_DEP_3)
	s_or_b32 exec_lo, exec_lo, s10
	v_and_b32_e32 v14, 0xff, v17
	v_dual_mov_b32 v54, v17 :: v_dual_mov_b32 v10, v13
	v_mov_b32_e32 v11, v55
	s_and_not1_b32 vcc_lo, exec_lo, s13
	v_cmp_ne_u16_e64 s10, 0, v14
	s_mov_b32 s14, -1
                                        ; implicit-def: $vgpr18
	s_cbranch_vccnz .LBB4_1943
; %bb.1922:                             ;   in Loop: Header=BB4_129 Depth=2
	v_dual_mov_b32 v18, 0 :: v_dual_mov_b32 v15, 0
	s_and_saveexec_b32 s14, s10
	s_cbranch_execz .LBB4_1932
; %bb.1923:                             ;   in Loop: Header=BB4_129 Depth=2
	v_bfrev_b32_e32 v15, 1
	s_mov_b32 s15, exec_lo
	v_cmpx_ne_u16_e32 0x80, v14
	s_cbranch_execz .LBB4_1931
; %bb.1924:                             ;   in Loop: Header=BB4_129 Depth=2
	v_and_b32_e32 v15, 0x7c, v17
	v_and_b32_e32 v19, 3, v17
	s_delay_alu instid0(VALU_DEP_2) | instskip(SKIP_1) | instid1(SALU_CYCLE_1)
	v_cmp_ne_u32_e32 vcc_lo, 0x7c, v15
                                        ; implicit-def: $vgpr15
	s_and_saveexec_b32 s42, vcc_lo
	s_xor_b32 s42, exec_lo, s42
	s_cbranch_execz .LBB4_1928
; %bb.1925:                             ;   in Loop: Header=BB4_129 Depth=2
	v_bfe_u32 v15, v17, 2, 5
	s_mov_b32 s43, exec_lo
	s_delay_alu instid0(VALU_DEP_1)
	v_cmpx_eq_u32_e32 0, v15
; %bb.1926:                             ;   in Loop: Header=BB4_129 Depth=2
	v_clz_i32_u32_e32 v15, v19
	s_delay_alu instid0(VALU_DEP_1) | instskip(NEXT) | instid1(VALU_DEP_1)
	v_min_u32_e32 v15, 32, v15
	v_subrev_nc_u32_e32 v19, 29, v15
	s_delay_alu instid0(VALU_DEP_1) | instskip(NEXT) | instid1(VALU_DEP_1)
	v_lshlrev_b64_e32 v[62:63], v19, v[54:55]
	v_dual_sub_nc_u32 v15, 30, v15 :: v_dual_bitop2_b32 v19, 3, v62 bitop3:0x40
; %bb.1927:                             ;   in Loop: Header=BB4_129 Depth=2
	s_or_b32 exec_lo, exec_lo, s43
	v_lshlrev_b32_e32 v82, 24, v17
	s_delay_alu instid0(VALU_DEP_1) | instskip(NEXT) | instid1(VALU_DEP_1)
	v_and_b32_e32 v82, 0x80000000, v82
	v_lshl_add_u32 v15, v15, 23, v82
	s_delay_alu instid0(VALU_DEP_1) | instskip(NEXT) | instid1(VALU_DEP_1)
	v_lshl_or_b32 v15, v19, 21, v15
                                        ; implicit-def: $vgpr19
	v_add_nc_u32_e32 v15, 0x38000000, v15
.LBB4_1928:                             ;   in Loop: Header=BB4_129 Depth=2
	s_and_not1_saveexec_b32 s42, s42
; %bb.1929:                             ;   in Loop: Header=BB4_129 Depth=2
	v_bfe_i32 v15, v17, 0, 8
	s_delay_alu instid0(VALU_DEP_1) | instskip(SKIP_2) | instid1(VALU_DEP_2)
	v_cmp_lt_i16_e32 vcc_lo, -1, v15
	v_cndmask_b32_e32 v15, 0xff800000, v126, vcc_lo
	v_cmp_eq_u32_e32 vcc_lo, 0, v19
	v_cndmask_b32_e32 v15, 0x7f800001, v15, vcc_lo
; %bb.1930:                             ;   in Loop: Header=BB4_129 Depth=2
	s_or_b32 exec_lo, exec_lo, s42
.LBB4_1931:                             ;   in Loop: Header=BB4_129 Depth=2
	s_delay_alu instid0(SALU_CYCLE_1)
	s_or_b32 exec_lo, exec_lo, s15
.LBB4_1932:                             ;   in Loop: Header=BB4_129 Depth=2
	s_delay_alu instid0(SALU_CYCLE_1) | instskip(SKIP_2) | instid1(VALU_DEP_1)
	s_or_b32 exec_lo, exec_lo, s14
	v_and_b32_e32 v19, 0xff, v13
	s_mov_b32 s14, exec_lo
	v_cmpx_ne_u16_e32 0, v19
	s_cbranch_execz .LBB4_1942
; %bb.1933:                             ;   in Loop: Header=BB4_129 Depth=2
	v_bfrev_b32_e32 v18, 1
	s_mov_b32 s15, exec_lo
	v_cmpx_ne_u16_e32 0x80, v19
	s_cbranch_execz .LBB4_1941
; %bb.1934:                             ;   in Loop: Header=BB4_129 Depth=2
	v_and_b32_e32 v18, 0x7c, v13
	v_and_b32_e32 v19, 3, v13
	s_delay_alu instid0(VALU_DEP_2) | instskip(SKIP_1) | instid1(SALU_CYCLE_1)
	v_cmp_ne_u32_e32 vcc_lo, 0x7c, v18
                                        ; implicit-def: $vgpr18
	s_and_saveexec_b32 s42, vcc_lo
	s_xor_b32 s42, exec_lo, s42
	s_cbranch_execz .LBB4_1938
; %bb.1935:                             ;   in Loop: Header=BB4_129 Depth=2
	v_bfe_u32 v18, v13, 2, 5
	s_mov_b32 s43, exec_lo
	s_delay_alu instid0(VALU_DEP_1)
	v_cmpx_eq_u32_e32 0, v18
; %bb.1936:                             ;   in Loop: Header=BB4_129 Depth=2
	v_clz_i32_u32_e32 v18, v19
	s_delay_alu instid0(VALU_DEP_1) | instskip(NEXT) | instid1(VALU_DEP_1)
	v_min_u32_e32 v18, 32, v18
	v_subrev_nc_u32_e32 v19, 29, v18
	v_sub_nc_u32_e32 v18, 30, v18
	s_delay_alu instid0(VALU_DEP_2) | instskip(NEXT) | instid1(VALU_DEP_1)
	v_lshlrev_b64_e32 v[62:63], v19, v[10:11]
	v_and_b32_e32 v19, 3, v62
; %bb.1937:                             ;   in Loop: Header=BB4_129 Depth=2
	s_or_b32 exec_lo, exec_lo, s43
	v_lshlrev_b32_e32 v82, 24, v13
	s_delay_alu instid0(VALU_DEP_1) | instskip(NEXT) | instid1(VALU_DEP_1)
	v_and_b32_e32 v82, 0x80000000, v82
	v_lshl_add_u32 v18, v18, 23, v82
	s_delay_alu instid0(VALU_DEP_1) | instskip(NEXT) | instid1(VALU_DEP_1)
	v_lshl_or_b32 v18, v19, 21, v18
                                        ; implicit-def: $vgpr19
	v_add_nc_u32_e32 v18, 0x38000000, v18
.LBB4_1938:                             ;   in Loop: Header=BB4_129 Depth=2
	s_and_not1_saveexec_b32 s42, s42
; %bb.1939:                             ;   in Loop: Header=BB4_129 Depth=2
	v_bfe_i32 v18, v13, 0, 8
	s_delay_alu instid0(VALU_DEP_1) | instskip(SKIP_2) | instid1(VALU_DEP_2)
	v_cmp_lt_i16_e32 vcc_lo, -1, v18
	v_cndmask_b32_e32 v18, 0xff800000, v126, vcc_lo
	v_cmp_eq_u32_e32 vcc_lo, 0, v19
	v_cndmask_b32_e32 v18, 0x7f800001, v18, vcc_lo
; %bb.1940:                             ;   in Loop: Header=BB4_129 Depth=2
	s_or_b32 exec_lo, exec_lo, s42
.LBB4_1941:                             ;   in Loop: Header=BB4_129 Depth=2
	s_delay_alu instid0(SALU_CYCLE_1)
	s_or_b32 exec_lo, exec_lo, s15
.LBB4_1942:                             ;   in Loop: Header=BB4_129 Depth=2
	s_delay_alu instid0(SALU_CYCLE_1) | instskip(NEXT) | instid1(VALU_DEP_1)
	s_or_b32 exec_lo, exec_lo, s14
	v_dual_max_num_f32 v18, v18, v18 :: v_dual_max_num_f32 v15, v15, v15
	s_mov_b32 s14, 0
	s_delay_alu instid0(VALU_DEP_1)
	v_max_num_f32_e32 v18, v15, v18
.LBB4_1943:                             ;   in Loop: Header=BB4_129 Depth=2
	s_and_b32 vcc_lo, exec_lo, s14
	s_cbranch_vccz .LBB4_1965
; %bb.1944:                             ;   in Loop: Header=BB4_129 Depth=2
	v_dual_mov_b32 v18, 0 :: v_dual_mov_b32 v15, 0
	s_and_saveexec_b32 s14, s10
	s_cbranch_execz .LBB4_1954
; %bb.1945:                             ;   in Loop: Header=BB4_129 Depth=2
	v_bfrev_b32_e32 v15, 1
	s_mov_b32 s10, exec_lo
	v_cmpx_ne_u16_e32 0x80, v14
	s_cbranch_execz .LBB4_1953
; %bb.1946:                             ;   in Loop: Header=BB4_129 Depth=2
	v_and_b32_e32 v15, 0x7c, v17
	v_and_b32_e32 v14, 3, v17
	s_delay_alu instid0(VALU_DEP_2) | instskip(SKIP_1) | instid1(SALU_CYCLE_1)
	v_cmp_ne_u32_e32 vcc_lo, 0x7c, v15
                                        ; implicit-def: $vgpr15
	s_and_saveexec_b32 s15, vcc_lo
	s_xor_b32 s15, exec_lo, s15
	s_cbranch_execz .LBB4_1950
; %bb.1947:                             ;   in Loop: Header=BB4_129 Depth=2
	v_bfe_u32 v15, v17, 2, 5
	s_mov_b32 s42, exec_lo
	s_delay_alu instid0(VALU_DEP_1)
	v_cmpx_eq_u32_e32 0, v15
; %bb.1948:                             ;   in Loop: Header=BB4_129 Depth=2
	v_clz_i32_u32_e32 v14, v14
	s_delay_alu instid0(VALU_DEP_1) | instskip(NEXT) | instid1(VALU_DEP_1)
	v_min_u32_e32 v19, 32, v14
	v_subrev_nc_u32_e32 v14, 29, v19
	s_delay_alu instid0(VALU_DEP_1) | instskip(NEXT) | instid1(VALU_DEP_1)
	v_lshlrev_b64_e32 v[14:15], v14, v[54:55]
	v_dual_sub_nc_u32 v15, 30, v19 :: v_dual_bitop2_b32 v14, 3, v14 bitop3:0x40
; %bb.1949:                             ;   in Loop: Header=BB4_129 Depth=2
	s_or_b32 exec_lo, exec_lo, s42
	v_lshlrev_b32_e32 v19, 24, v17
	s_delay_alu instid0(VALU_DEP_1) | instskip(NEXT) | instid1(VALU_DEP_1)
	v_and_b32_e32 v19, 0x80000000, v19
	v_lshl_add_u32 v15, v15, 23, v19
	s_delay_alu instid0(VALU_DEP_1) | instskip(NEXT) | instid1(VALU_DEP_1)
	v_lshl_or_b32 v14, v14, 21, v15
	v_add_nc_u32_e32 v15, 0x38000000, v14
                                        ; implicit-def: $vgpr14
.LBB4_1950:                             ;   in Loop: Header=BB4_129 Depth=2
	s_and_not1_saveexec_b32 s15, s15
; %bb.1951:                             ;   in Loop: Header=BB4_129 Depth=2
	v_bfe_i32 v15, v17, 0, 8
	s_delay_alu instid0(VALU_DEP_1) | instskip(SKIP_2) | instid1(VALU_DEP_2)
	v_cmp_lt_i16_e32 vcc_lo, -1, v15
	v_cndmask_b32_e32 v15, 0xff800000, v126, vcc_lo
	v_cmp_eq_u32_e32 vcc_lo, 0, v14
	v_cndmask_b32_e32 v15, 0x7f800001, v15, vcc_lo
; %bb.1952:                             ;   in Loop: Header=BB4_129 Depth=2
	s_or_b32 exec_lo, exec_lo, s15
.LBB4_1953:                             ;   in Loop: Header=BB4_129 Depth=2
	s_delay_alu instid0(SALU_CYCLE_1)
	s_or_b32 exec_lo, exec_lo, s10
.LBB4_1954:                             ;   in Loop: Header=BB4_129 Depth=2
	s_delay_alu instid0(SALU_CYCLE_1) | instskip(SKIP_2) | instid1(VALU_DEP_1)
	s_or_b32 exec_lo, exec_lo, s14
	v_and_b32_e32 v14, 0xff, v13
	s_mov_b32 s10, exec_lo
	v_cmpx_ne_u16_e32 0, v14
	s_cbranch_execz .LBB4_1964
; %bb.1955:                             ;   in Loop: Header=BB4_129 Depth=2
	v_bfrev_b32_e32 v18, 1
	s_mov_b32 s14, exec_lo
	v_cmpx_ne_u16_e32 0x80, v14
	s_cbranch_execz .LBB4_1963
; %bb.1956:                             ;   in Loop: Header=BB4_129 Depth=2
	v_and_b32_e32 v18, 0x7c, v13
	v_and_b32_e32 v14, 3, v13
	s_delay_alu instid0(VALU_DEP_2) | instskip(SKIP_1) | instid1(SALU_CYCLE_1)
	v_cmp_ne_u32_e32 vcc_lo, 0x7c, v18
                                        ; implicit-def: $vgpr18
	s_and_saveexec_b32 s15, vcc_lo
	s_xor_b32 s15, exec_lo, s15
	s_cbranch_execz .LBB4_1960
; %bb.1957:                             ;   in Loop: Header=BB4_129 Depth=2
	v_bfe_u32 v18, v13, 2, 5
	s_mov_b32 s42, exec_lo
	s_delay_alu instid0(VALU_DEP_1)
	v_cmpx_eq_u32_e32 0, v18
; %bb.1958:                             ;   in Loop: Header=BB4_129 Depth=2
	v_clz_i32_u32_e32 v14, v14
	s_delay_alu instid0(VALU_DEP_1) | instskip(NEXT) | instid1(VALU_DEP_1)
	v_min_u32_e32 v14, 32, v14
	v_subrev_nc_u32_e32 v18, 29, v14
	s_delay_alu instid0(VALU_DEP_1) | instskip(SKIP_1) | instid1(VALU_DEP_2)
	v_lshlrev_b64_e32 v[62:63], v18, v[10:11]
	v_sub_nc_u32_e32 v18, 30, v14
	v_and_b32_e32 v14, 3, v62
; %bb.1959:                             ;   in Loop: Header=BB4_129 Depth=2
	s_or_b32 exec_lo, exec_lo, s42
	v_lshlrev_b32_e32 v11, 24, v13
	s_delay_alu instid0(VALU_DEP_1) | instskip(NEXT) | instid1(VALU_DEP_1)
	v_and_b32_e32 v11, 0x80000000, v11
	v_lshl_add_u32 v11, v18, 23, v11
	s_delay_alu instid0(VALU_DEP_1) | instskip(NEXT) | instid1(VALU_DEP_1)
	v_lshl_or_b32 v11, v14, 21, v11
                                        ; implicit-def: $vgpr14
	v_add_nc_u32_e32 v18, 0x38000000, v11
.LBB4_1960:                             ;   in Loop: Header=BB4_129 Depth=2
	s_and_not1_saveexec_b32 s15, s15
; %bb.1961:                             ;   in Loop: Header=BB4_129 Depth=2
	v_bfe_i32 v11, v13, 0, 8
	s_delay_alu instid0(VALU_DEP_1) | instskip(SKIP_2) | instid1(VALU_DEP_2)
	v_cmp_lt_i16_e32 vcc_lo, -1, v11
	v_cndmask_b32_e32 v11, 0xff800000, v126, vcc_lo
	v_cmp_eq_u32_e32 vcc_lo, 0, v14
	v_cndmask_b32_e32 v18, 0x7f800001, v11, vcc_lo
; %bb.1962:                             ;   in Loop: Header=BB4_129 Depth=2
	s_or_b32 exec_lo, exec_lo, s15
.LBB4_1963:                             ;   in Loop: Header=BB4_129 Depth=2
	s_delay_alu instid0(SALU_CYCLE_1)
	s_or_b32 exec_lo, exec_lo, s14
.LBB4_1964:                             ;   in Loop: Header=BB4_129 Depth=2
	s_delay_alu instid0(SALU_CYCLE_1) | instskip(NEXT) | instid1(VALU_DEP_1)
	s_or_b32 exec_lo, exec_lo, s10
	v_dual_max_num_f32 v11, v18, v18 :: v_dual_max_num_f32 v14, v15, v15
	s_delay_alu instid0(VALU_DEP_1)
	v_min_num_f32_e32 v18, v14, v11
.LBB4_1965:                             ;   in Loop: Header=BB4_129 Depth=2
	s_delay_alu instid0(VALU_DEP_1) | instskip(SKIP_3) | instid1(VALU_DEP_3)
	v_and_b32_e32 v62, 0x7f800000, v18
	v_dual_mov_b32 v63, v55 :: v_dual_mov_b32 v15, v55
	v_and_b32_e32 v14, 0x7fffff, v18
	v_lshrrev_b32_e32 v11, 24, v18
	v_cmp_ne_u64_e32 vcc_lo, 0x7f800000, v[62:63]
                                        ; implicit-def: $vgpr62
	s_and_saveexec_b32 s10, vcc_lo
	s_delay_alu instid0(SALU_CYCLE_1)
	s_xor_b32 s14, exec_lo, s10
	s_cbranch_execz .LBB4_1979
; %bb.1966:                             ;   in Loop: Header=BB4_129 Depth=2
	v_and_b32_e32 v62, 0x7fffffff, v18
	v_mov_b32_e32 v63, v55
	v_and_b32_e32 v11, 0x80, v11
	s_delay_alu instid0(VALU_DEP_2) | instskip(SKIP_1) | instid1(SALU_CYCLE_1)
	v_cmp_gt_u64_e32 vcc_lo, 0x47600001, v[62:63]
                                        ; implicit-def: $vgpr62
	s_and_saveexec_b32 s10, vcc_lo
	s_xor_b32 s15, exec_lo, s10
	s_cbranch_execz .LBB4_1976
; %bb.1967:                             ;   in Loop: Header=BB4_129 Depth=2
	v_mov_b32_e32 v62, 0
	s_mov_b32 s42, exec_lo
	v_cmpx_ne_u32_e32 0, v18
	s_cbranch_execz .LBB4_1975
; %bb.1968:                             ;   in Loop: Header=BB4_129 Depth=2
	v_bfe_u32 v62, v18, 23, 8
	v_or_b32_e32 v82, 0x800000, v14
	s_delay_alu instid0(VALU_DEP_2) | instskip(SKIP_1) | instid1(VALU_DEP_2)
	v_sub_nc_u32_e32 v18, 0x71, v62
	v_cmp_gt_u32_e32 vcc_lo, 0x72, v62
	v_cndmask_b32_e32 v18, 0, v18, vcc_lo
	v_cmp_eq_u32_e32 vcc_lo, 0, v62
	s_delay_alu instid0(VALU_DEP_2) | instskip(NEXT) | instid1(VALU_DEP_1)
	v_cndmask_b32_e64 v63, v18, 0x70, vcc_lo
	v_dual_cndmask_b32 v14, v82, v14, vcc_lo :: v_dual_add_nc_u32 v18, 21, v63
	v_add_nc_u32_e32 v83, 20, v63
	s_delay_alu instid0(VALU_DEP_2) | instskip(NEXT) | instid1(VALU_DEP_2)
	v_lshlrev_b64_e64 v[18:19], v18, -1
	v_lshlrev_b64_e64 v[72:73], v83, 1
	s_delay_alu instid0(VALU_DEP_2) | instskip(SKIP_1) | instid1(VALU_DEP_4)
	v_bfi_b32 v18, v18, 0, v14
	v_lshrrev_b64 v[14:15], v63, v[14:15]
	v_bfi_b32 v19, v19, 0, 0
	s_delay_alu instid0(VALU_DEP_1) | instskip(NEXT) | instid1(VALU_DEP_3)
	v_cmp_eq_u64_e64 s10, v[18:19], v[72:73]
	v_mov_b64_e32 v[18:19], v[14:15]
	s_and_saveexec_b32 s43, s10
; %bb.1969:                             ;   in Loop: Header=BB4_129 Depth=2
	v_bfe_u32 v18, v14, 21, 1
	v_mov_b32_e32 v19, v55
	s_delay_alu instid0(VALU_DEP_1) | instskip(NEXT) | instid1(VALU_DEP_1)
	v_add_nc_u64_e32 v[18:19], v[14:15], v[18:19]
	v_add_nc_u64_e32 v[18:19], -1, v[18:19]
; %bb.1970:                             ;   in Loop: Header=BB4_129 Depth=2
	s_or_b32 exec_lo, exec_lo, s43
	v_add_nc_u32_e32 v15, 0xffffff81, v62
	v_lshrrev_b32_e32 v19, 23, v14
	s_mov_b32 s10, exec_lo
	s_delay_alu instid0(VALU_DEP_2) | instskip(NEXT) | instid1(VALU_DEP_1)
	v_cndmask_b32_e64 v15, v15, 0xffffff82, vcc_lo
	v_add3_u32 v19, v63, v15, v19
	v_and_b32_e32 v15, 0x1fffff, v18
                                        ; implicit-def: $vgpr18
	s_delay_alu instid0(VALU_DEP_1) | instskip(SKIP_1) | instid1(VALU_DEP_2)
	v_dual_add_nc_u32 v62, 14, v19 :: v_dual_add_nc_u32 v14, v15, v14
	v_mov_b32_e32 v15, v55
	v_cmpx_ne_u32_e32 0, v62
	s_xor_b32 s10, exec_lo, s10
; %bb.1971:                             ;   in Loop: Header=BB4_129 Depth=2
	s_delay_alu instid0(VALU_DEP_2) | instskip(SKIP_2) | instid1(VALU_DEP_2)
	v_cmp_lt_u64_e32 vcc_lo, 0xffffff, v[14:15]
	v_add_nc_u32_e32 v18, 15, v19
	v_cndmask_b32_e64 v19, 0, 1, vcc_lo
	v_cndmask_b32_e32 v18, v62, v18, vcc_lo
	s_delay_alu instid0(VALU_DEP_2)
	v_lshrrev_b64 v[14:15], v19, v[14:15]
; %bb.1972:                             ;   in Loop: Header=BB4_129 Depth=2
	s_and_not1_saveexec_b32 s10, s10
; %bb.1973:                             ;   in Loop: Header=BB4_129 Depth=2
	s_delay_alu instid0(VALU_DEP_1)
	v_bfe_u32 v18, v14, 23, 1
; %bb.1974:                             ;   in Loop: Header=BB4_129 Depth=2
	s_or_b32 exec_lo, exec_lo, s10
	s_delay_alu instid0(VALU_DEP_2) | instskip(NEXT) | instid1(VALU_DEP_2)
	v_lshrrev_b64 v[14:15], 21, v[14:15]
	v_cmp_gt_i32_e32 vcc_lo, 32, v18
	v_min_i32_e32 v19, 31, v18
	v_cmp_eq_u32_e64 s10, 0, v18
	s_delay_alu instid0(VALU_DEP_4) | instskip(NEXT) | instid1(VALU_DEP_3)
	v_cndmask_b32_e32 v15, 0, v15, vcc_lo
	v_dual_cndmask_b32 v14, 3, v14 :: v_dual_lshlrev_b32 v19, 2, v19
	s_delay_alu instid0(VALU_DEP_1) | instskip(NEXT) | instid1(VALU_DEP_2)
	v_and_b32_e32 v19, 0xfc, v19
	v_cmp_eq_u64_e32 vcc_lo, 0, v[14:15]
	s_delay_alu instid0(VALU_DEP_2)
	v_and_or_b32 v14, v14, 3, v19
	s_and_b32 s10, s10, vcc_lo
	s_delay_alu instid0(VALU_DEP_1) | instid1(SALU_CYCLE_1)
	v_cndmask_b32_e64 v14, v14, 0, s10
	s_delay_alu instid0(VALU_DEP_1)
	v_or_b32_e32 v62, v14, v11
.LBB4_1975:                             ;   in Loop: Header=BB4_129 Depth=2
	s_or_b32 exec_lo, exec_lo, s42
                                        ; implicit-def: $vgpr11
.LBB4_1976:                             ;   in Loop: Header=BB4_129 Depth=2
	s_and_not1_saveexec_b32 s10, s15
; %bb.1977:                             ;   in Loop: Header=BB4_129 Depth=2
	v_or_b32_e32 v62, 0x7b, v11
; %bb.1978:                             ;   in Loop: Header=BB4_129 Depth=2
	s_or_b32 exec_lo, exec_lo, s10
                                        ; implicit-def: $vgpr18
                                        ; implicit-def: $vgpr14_vgpr15
                                        ; implicit-def: $vgpr11
.LBB4_1979:                             ;   in Loop: Header=BB4_129 Depth=2
	s_and_not1_saveexec_b32 s10, s14
	s_cbranch_execz .LBB4_1985
; %bb.1980:                             ;   in Loop: Header=BB4_129 Depth=2
	s_mov_b32 s14, exec_lo
                                        ; implicit-def: $vgpr62
	v_cmpx_ne_u64_e32 0, v[14:15]
	s_xor_b32 s14, exec_lo, s14
; %bb.1981:                             ;   in Loop: Header=BB4_129 Depth=2
	v_or_b32_e32 v62, 0x7f, v11
                                        ; implicit-def: $vgpr18
; %bb.1982:                             ;   in Loop: Header=BB4_129 Depth=2
	s_and_not1_saveexec_b32 s14, s14
; %bb.1983:                             ;   in Loop: Header=BB4_129 Depth=2
	v_cmp_lt_i32_e32 vcc_lo, -1, v18
	v_cndmask_b32_e32 v62, 0xfc, v122, vcc_lo
; %bb.1984:                             ;   in Loop: Header=BB4_129 Depth=2
	s_or_b32 exec_lo, exec_lo, s14
.LBB4_1985:                             ;   in Loop: Header=BB4_129 Depth=2
	s_delay_alu instid0(SALU_CYCLE_1) | instskip(SKIP_4) | instid1(VALU_DEP_2)
	s_or_b32 exec_lo, exec_lo, s10
	v_lshrrev_b16 v18, 8, v54
	v_lshrrev_b16 v14, 8, v10
	s_and_not1_b32 vcc_lo, exec_lo, s13
	s_mov_b32 s14, -1
                                        ; implicit-def: $vgpr15
	v_and_b32_e32 v11, 0xffff, v18
	v_cmp_ne_u16_e64 s10, 0, v18
	s_cbranch_vccnz .LBB4_2007
; %bb.1986:                             ;   in Loop: Header=BB4_129 Depth=2
	v_dual_mov_b32 v15, 0 :: v_dual_mov_b32 v19, 0
	s_and_saveexec_b32 s14, s10
	s_cbranch_execz .LBB4_1996
; %bb.1987:                             ;   in Loop: Header=BB4_129 Depth=2
	v_bfrev_b32_e32 v19, 1
	s_mov_b32 s15, exec_lo
	v_cmpx_ne_u16_e32 0x80, v18
	s_cbranch_execz .LBB4_1995
; %bb.1988:                             ;   in Loop: Header=BB4_129 Depth=2
	v_and_b32_e32 v19, 0x7c, v11
	v_and_b32_e32 v63, 3, v11
	s_delay_alu instid0(VALU_DEP_2) | instskip(SKIP_1) | instid1(SALU_CYCLE_1)
	v_cmp_ne_u32_e32 vcc_lo, 0x7c, v19
                                        ; implicit-def: $vgpr19
	s_and_saveexec_b32 s42, vcc_lo
	s_xor_b32 s42, exec_lo, s42
	s_cbranch_execz .LBB4_1992
; %bb.1989:                             ;   in Loop: Header=BB4_129 Depth=2
	v_bfe_u32 v19, v11, 2, 5
	s_mov_b32 s43, exec_lo
	s_delay_alu instid0(VALU_DEP_1)
	v_cmpx_eq_u32_e32 0, v19
; %bb.1990:                             ;   in Loop: Header=BB4_129 Depth=2
	v_clz_i32_u32_e32 v19, v63
	s_delay_alu instid0(VALU_DEP_1) | instskip(SKIP_1) | instid1(VALU_DEP_2)
	v_min_u32_e32 v82, 32, v19
	v_mov_b32_e32 v19, v55
	v_subrev_nc_u32_e32 v83, 29, v82
	s_delay_alu instid0(VALU_DEP_1) | instskip(NEXT) | instid1(VALU_DEP_1)
	v_lshlrev_b64_e32 v[72:73], v83, v[18:19]
	v_dual_sub_nc_u32 v19, 30, v82 :: v_dual_bitop2_b32 v63, 3, v72 bitop3:0x40
; %bb.1991:                             ;   in Loop: Header=BB4_129 Depth=2
	s_or_b32 exec_lo, exec_lo, s43
	v_lshlrev_b32_e32 v82, 16, v54
	s_delay_alu instid0(VALU_DEP_1) | instskip(NEXT) | instid1(VALU_DEP_1)
	v_and_b32_e32 v82, 0x80000000, v82
	v_lshl_add_u32 v19, v19, 23, v82
	s_delay_alu instid0(VALU_DEP_1) | instskip(NEXT) | instid1(VALU_DEP_1)
	v_lshl_or_b32 v19, v63, 21, v19
                                        ; implicit-def: $vgpr63
	v_add_nc_u32_e32 v19, 0x38000000, v19
.LBB4_1992:                             ;   in Loop: Header=BB4_129 Depth=2
	s_and_not1_saveexec_b32 s42, s42
; %bb.1993:                             ;   in Loop: Header=BB4_129 Depth=2
	v_cmp_lt_i16_e32 vcc_lo, -1, v54
	v_cndmask_b32_e32 v19, 0xff800000, v126, vcc_lo
	v_cmp_eq_u32_e32 vcc_lo, 0, v63
	s_delay_alu instid0(VALU_DEP_2)
	v_cndmask_b32_e32 v19, 0x7f800001, v19, vcc_lo
; %bb.1994:                             ;   in Loop: Header=BB4_129 Depth=2
	s_or_b32 exec_lo, exec_lo, s42
.LBB4_1995:                             ;   in Loop: Header=BB4_129 Depth=2
	s_delay_alu instid0(SALU_CYCLE_1)
	s_or_b32 exec_lo, exec_lo, s15
.LBB4_1996:                             ;   in Loop: Header=BB4_129 Depth=2
	s_delay_alu instid0(SALU_CYCLE_1) | instskip(NEXT) | instid1(SALU_CYCLE_1)
	s_or_b32 exec_lo, exec_lo, s14
	s_mov_b32 s14, exec_lo
	v_cmpx_ne_u16_e32 0, v14
	s_cbranch_execz .LBB4_2006
; %bb.1997:                             ;   in Loop: Header=BB4_129 Depth=2
	v_bfrev_b32_e32 v15, 1
	s_mov_b32 s15, exec_lo
	v_cmpx_ne_u16_e32 0x80, v14
	s_cbranch_execz .LBB4_2005
; %bb.1998:                             ;   in Loop: Header=BB4_129 Depth=2
	v_and_b32_e32 v72, 0xffff, v14
	s_delay_alu instid0(VALU_DEP_1) | instskip(SKIP_1) | instid1(VALU_DEP_2)
	v_and_b32_e32 v15, 0x7c, v72
	v_and_b32_e32 v63, 3, v72
	v_cmp_ne_u32_e32 vcc_lo, 0x7c, v15
                                        ; implicit-def: $vgpr15
	s_and_saveexec_b32 s42, vcc_lo
	s_delay_alu instid0(SALU_CYCLE_1)
	s_xor_b32 s42, exec_lo, s42
	s_cbranch_execz .LBB4_2002
; %bb.1999:                             ;   in Loop: Header=BB4_129 Depth=2
	v_bfe_u32 v15, v72, 2, 5
	s_mov_b32 s43, exec_lo
	s_delay_alu instid0(VALU_DEP_1)
	v_cmpx_eq_u32_e32 0, v15
; %bb.2000:                             ;   in Loop: Header=BB4_129 Depth=2
	v_clz_i32_u32_e32 v15, v63
	s_delay_alu instid0(VALU_DEP_1) | instskip(SKIP_1) | instid1(VALU_DEP_2)
	v_min_u32_e32 v82, 32, v15
	v_mov_b32_e32 v15, v55
	v_subrev_nc_u32_e32 v83, 29, v82
	s_delay_alu instid0(VALU_DEP_1) | instskip(NEXT) | instid1(VALU_DEP_1)
	v_lshlrev_b64_e32 v[72:73], v83, v[14:15]
	v_dual_sub_nc_u32 v15, 30, v82 :: v_dual_bitop2_b32 v63, 3, v72 bitop3:0x40
; %bb.2001:                             ;   in Loop: Header=BB4_129 Depth=2
	s_or_b32 exec_lo, exec_lo, s43
	v_lshlrev_b32_e32 v82, 16, v10
	s_delay_alu instid0(VALU_DEP_1) | instskip(NEXT) | instid1(VALU_DEP_1)
	v_and_b32_e32 v82, 0x80000000, v82
	v_lshl_add_u32 v15, v15, 23, v82
	s_delay_alu instid0(VALU_DEP_1) | instskip(NEXT) | instid1(VALU_DEP_1)
	v_lshl_or_b32 v15, v63, 21, v15
                                        ; implicit-def: $vgpr63
	v_add_nc_u32_e32 v15, 0x38000000, v15
.LBB4_2002:                             ;   in Loop: Header=BB4_129 Depth=2
	s_and_not1_saveexec_b32 s42, s42
; %bb.2003:                             ;   in Loop: Header=BB4_129 Depth=2
	v_cmp_lt_i16_e32 vcc_lo, -1, v10
	v_cndmask_b32_e32 v15, 0xff800000, v126, vcc_lo
	v_cmp_eq_u32_e32 vcc_lo, 0, v63
	s_delay_alu instid0(VALU_DEP_2)
	v_cndmask_b32_e32 v15, 0x7f800001, v15, vcc_lo
; %bb.2004:                             ;   in Loop: Header=BB4_129 Depth=2
	s_or_b32 exec_lo, exec_lo, s42
.LBB4_2005:                             ;   in Loop: Header=BB4_129 Depth=2
	s_delay_alu instid0(SALU_CYCLE_1)
	s_or_b32 exec_lo, exec_lo, s15
.LBB4_2006:                             ;   in Loop: Header=BB4_129 Depth=2
	s_delay_alu instid0(SALU_CYCLE_1) | instskip(NEXT) | instid1(VALU_DEP_1)
	s_or_b32 exec_lo, exec_lo, s14
	v_max_num_f32_e32 v15, v15, v15
	v_max_num_f32_e32 v19, v19, v19
	s_mov_b32 s14, 0
	s_delay_alu instid0(VALU_DEP_1)
	v_max_num_f32_e32 v15, v19, v15
.LBB4_2007:                             ;   in Loop: Header=BB4_129 Depth=2
	s_and_b32 vcc_lo, exec_lo, s14
	s_cbranch_vccz .LBB4_2029
; %bb.2008:                             ;   in Loop: Header=BB4_129 Depth=2
	v_dual_mov_b32 v15, 0 :: v_dual_mov_b32 v19, 0
	s_and_saveexec_b32 s14, s10
	s_cbranch_execz .LBB4_2018
; %bb.2009:                             ;   in Loop: Header=BB4_129 Depth=2
	v_bfrev_b32_e32 v19, 1
	s_mov_b32 s10, exec_lo
	v_cmpx_ne_u16_e32 0x80, v18
	s_cbranch_execz .LBB4_2017
; %bb.2010:                             ;   in Loop: Header=BB4_129 Depth=2
	v_and_b32_e32 v19, 0x7c, v11
	v_and_b32_e32 v63, 3, v11
	s_delay_alu instid0(VALU_DEP_2) | instskip(SKIP_1) | instid1(SALU_CYCLE_1)
	v_cmp_ne_u32_e32 vcc_lo, 0x7c, v19
                                        ; implicit-def: $vgpr19
	s_and_saveexec_b32 s15, vcc_lo
	s_xor_b32 s15, exec_lo, s15
	s_cbranch_execz .LBB4_2014
; %bb.2011:                             ;   in Loop: Header=BB4_129 Depth=2
	v_bfe_u32 v11, v11, 2, 5
	s_mov_b32 s42, exec_lo
	s_delay_alu instid0(VALU_DEP_1)
	v_cmpx_eq_u32_e32 0, v11
	s_cbranch_execz .LBB4_2013
; %bb.2012:                             ;   in Loop: Header=BB4_129 Depth=2
	v_clz_i32_u32_e32 v11, v63
	s_delay_alu instid0(VALU_DEP_1) | instskip(SKIP_1) | instid1(VALU_DEP_2)
	v_min_u32_e32 v11, 32, v11
	v_mov_b32_e32 v19, v55
	v_subrev_nc_u32_e32 v82, 29, v11
	v_sub_nc_u32_e32 v11, 30, v11
	s_delay_alu instid0(VALU_DEP_2) | instskip(NEXT) | instid1(VALU_DEP_1)
	v_lshlrev_b64_e32 v[18:19], v82, v[18:19]
	v_and_b32_e32 v63, 3, v18
.LBB4_2013:                             ;   in Loop: Header=BB4_129 Depth=2
	s_or_b32 exec_lo, exec_lo, s42
	v_lshlrev_b32_e32 v18, 16, v54
	s_delay_alu instid0(VALU_DEP_1) | instskip(NEXT) | instid1(VALU_DEP_1)
	v_and_b32_e32 v18, 0x80000000, v18
	v_lshl_add_u32 v11, v11, 23, v18
	s_delay_alu instid0(VALU_DEP_1) | instskip(NEXT) | instid1(VALU_DEP_1)
	v_lshl_or_b32 v11, v63, 21, v11
                                        ; implicit-def: $vgpr63
	v_add_nc_u32_e32 v19, 0x38000000, v11
.LBB4_2014:                             ;   in Loop: Header=BB4_129 Depth=2
	s_and_not1_saveexec_b32 s15, s15
; %bb.2015:                             ;   in Loop: Header=BB4_129 Depth=2
	v_cmp_lt_i16_e32 vcc_lo, -1, v54
	v_cndmask_b32_e32 v11, 0xff800000, v126, vcc_lo
	v_cmp_eq_u32_e32 vcc_lo, 0, v63
	s_delay_alu instid0(VALU_DEP_2)
	v_cndmask_b32_e32 v19, 0x7f800001, v11, vcc_lo
; %bb.2016:                             ;   in Loop: Header=BB4_129 Depth=2
	s_or_b32 exec_lo, exec_lo, s15
.LBB4_2017:                             ;   in Loop: Header=BB4_129 Depth=2
	s_delay_alu instid0(SALU_CYCLE_1)
	s_or_b32 exec_lo, exec_lo, s10
.LBB4_2018:                             ;   in Loop: Header=BB4_129 Depth=2
	s_delay_alu instid0(SALU_CYCLE_1) | instskip(NEXT) | instid1(SALU_CYCLE_1)
	s_or_b32 exec_lo, exec_lo, s14
	s_mov_b32 s10, exec_lo
	v_cmpx_ne_u16_e32 0, v14
	s_cbranch_execz .LBB4_2028
; %bb.2019:                             ;   in Loop: Header=BB4_129 Depth=2
	v_bfrev_b32_e32 v15, 1
	s_mov_b32 s14, exec_lo
	v_cmpx_ne_u16_e32 0x80, v14
	s_cbranch_execz .LBB4_2027
; %bb.2020:                             ;   in Loop: Header=BB4_129 Depth=2
	v_and_b32_e32 v11, 0xffff, v14
	s_delay_alu instid0(VALU_DEP_1) | instskip(SKIP_1) | instid1(VALU_DEP_2)
	v_and_b32_e32 v15, 0x7c, v11
	v_and_b32_e32 v18, 3, v11
	v_cmp_ne_u32_e32 vcc_lo, 0x7c, v15
                                        ; implicit-def: $vgpr15
	s_and_saveexec_b32 s15, vcc_lo
	s_delay_alu instid0(SALU_CYCLE_1)
	s_xor_b32 s15, exec_lo, s15
	s_cbranch_execz .LBB4_2024
; %bb.2021:                             ;   in Loop: Header=BB4_129 Depth=2
	v_bfe_u32 v11, v11, 2, 5
	s_mov_b32 s42, exec_lo
	s_delay_alu instid0(VALU_DEP_1)
	v_cmpx_eq_u32_e32 0, v11
	s_cbranch_execz .LBB4_2023
; %bb.2022:                             ;   in Loop: Header=BB4_129 Depth=2
	v_clz_i32_u32_e32 v11, v18
	s_delay_alu instid0(VALU_DEP_1) | instskip(SKIP_1) | instid1(VALU_DEP_2)
	v_min_u32_e32 v11, 32, v11
	v_mov_b32_e32 v15, v55
	v_subrev_nc_u32_e32 v18, 29, v11
	v_sub_nc_u32_e32 v11, 30, v11
	s_delay_alu instid0(VALU_DEP_2) | instskip(NEXT) | instid1(VALU_DEP_1)
	v_lshlrev_b64_e32 v[14:15], v18, v[14:15]
	v_and_b32_e32 v18, 3, v14
.LBB4_2023:                             ;   in Loop: Header=BB4_129 Depth=2
	s_or_b32 exec_lo, exec_lo, s42
	v_lshlrev_b32_e32 v10, 16, v10
	s_delay_alu instid0(VALU_DEP_1) | instskip(NEXT) | instid1(VALU_DEP_1)
	v_and_b32_e32 v10, 0x80000000, v10
	v_lshl_add_u32 v10, v11, 23, v10
	s_delay_alu instid0(VALU_DEP_1) | instskip(NEXT) | instid1(VALU_DEP_1)
	v_lshl_or_b32 v10, v18, 21, v10
                                        ; implicit-def: $vgpr18
	v_add_nc_u32_e32 v15, 0x38000000, v10
                                        ; implicit-def: $vgpr10_vgpr11
.LBB4_2024:                             ;   in Loop: Header=BB4_129 Depth=2
	s_and_not1_saveexec_b32 s15, s15
; %bb.2025:                             ;   in Loop: Header=BB4_129 Depth=2
	v_cmp_lt_i16_e32 vcc_lo, -1, v10
	v_cndmask_b32_e32 v10, 0xff800000, v126, vcc_lo
	v_cmp_eq_u32_e32 vcc_lo, 0, v18
	s_delay_alu instid0(VALU_DEP_2)
	v_cndmask_b32_e32 v15, 0x7f800001, v10, vcc_lo
; %bb.2026:                             ;   in Loop: Header=BB4_129 Depth=2
	s_or_b32 exec_lo, exec_lo, s15
.LBB4_2027:                             ;   in Loop: Header=BB4_129 Depth=2
	s_delay_alu instid0(SALU_CYCLE_1)
	s_or_b32 exec_lo, exec_lo, s14
.LBB4_2028:                             ;   in Loop: Header=BB4_129 Depth=2
	s_delay_alu instid0(SALU_CYCLE_1) | instskip(NEXT) | instid1(VALU_DEP_1)
	s_or_b32 exec_lo, exec_lo, s10
	v_max_num_f32_e32 v10, v15, v15
	v_max_num_f32_e32 v11, v19, v19
	s_delay_alu instid0(VALU_DEP_1)
	v_min_num_f32_e32 v15, v11, v10
.LBB4_2029:                             ;   in Loop: Header=BB4_129 Depth=2
	s_delay_alu instid0(VALU_DEP_1) | instskip(SKIP_2) | instid1(VALU_DEP_2)
	v_and_b32_e32 v10, 0x7f800000, v15
	v_mov_b32_e32 v11, v55
	v_and_b32_e32 v54, 0x7fffff, v15
                                        ; implicit-def: $vgpr18
	v_cmp_ne_u64_e32 vcc_lo, 0x7f800000, v[10:11]
	v_lshrrev_b32_e32 v10, 24, v15
	s_and_saveexec_b32 s10, vcc_lo
	s_delay_alu instid0(SALU_CYCLE_1)
	s_xor_b32 s14, exec_lo, s10
	s_cbranch_execz .LBB4_2043
; %bb.2030:                             ;   in Loop: Header=BB4_129 Depth=2
	v_and_b32_e32 v18, 0x7fffffff, v15
	v_mov_b32_e32 v19, v55
	s_delay_alu instid0(VALU_DEP_1) | instskip(SKIP_2) | instid1(SALU_CYCLE_1)
	v_cmp_gt_u64_e32 vcc_lo, 0x47600001, v[18:19]
	v_and_b32_e32 v19, 0x80, v10
                                        ; implicit-def: $vgpr18
	s_and_saveexec_b32 s10, vcc_lo
	s_xor_b32 s15, exec_lo, s10
	s_cbranch_execz .LBB4_2040
; %bb.2031:                             ;   in Loop: Header=BB4_129 Depth=2
	v_mov_b32_e32 v18, 0
	s_mov_b32 s42, exec_lo
	v_cmpx_ne_u32_e32 0, v15
	s_cbranch_execz .LBB4_2039
; %bb.2032:                             ;   in Loop: Header=BB4_129 Depth=2
	v_bfe_u32 v18, v15, 23, 8
	v_or_b32_e32 v14, 0x800000, v54
	s_delay_alu instid0(VALU_DEP_2) | instskip(SKIP_1) | instid1(VALU_DEP_2)
	v_sub_nc_u32_e32 v10, 0x71, v18
	v_cmp_gt_u32_e32 vcc_lo, 0x72, v18
	v_cndmask_b32_e32 v10, 0, v10, vcc_lo
	v_cmp_eq_u32_e32 vcc_lo, 0, v18
	s_delay_alu instid0(VALU_DEP_2) | instskip(NEXT) | instid1(VALU_DEP_1)
	v_cndmask_b32_e64 v63, v10, 0x70, vcc_lo
	v_dual_cndmask_b32 v54, v14, v54, vcc_lo :: v_dual_add_nc_u32 v10, 21, v63
	v_add_nc_u32_e32 v15, 20, v63
	s_delay_alu instid0(VALU_DEP_2) | instskip(NEXT) | instid1(VALU_DEP_2)
	v_lshlrev_b64_e64 v[10:11], v10, -1
	v_lshlrev_b64_e64 v[14:15], v15, 1
	s_delay_alu instid0(VALU_DEP_2) | instskip(NEXT) | instid1(VALU_DEP_3)
	v_bfi_b32 v73, v11, 0, 0
	v_bfi_b32 v72, v10, 0, v54
	v_lshrrev_b64 v[10:11], v63, v[54:55]
	s_delay_alu instid0(VALU_DEP_2) | instskip(NEXT) | instid1(VALU_DEP_2)
	v_cmp_eq_u64_e64 s10, v[72:73], v[14:15]
	v_mov_b64_e32 v[14:15], v[10:11]
	s_and_saveexec_b32 s43, s10
; %bb.2033:                             ;   in Loop: Header=BB4_129 Depth=2
	v_bfe_u32 v54, v10, 21, 1
	s_delay_alu instid0(VALU_DEP_1) | instskip(NEXT) | instid1(VALU_DEP_1)
	v_add_nc_u64_e32 v[14:15], v[10:11], v[54:55]
	v_add_nc_u64_e32 v[14:15], -1, v[14:15]
; %bb.2034:                             ;   in Loop: Header=BB4_129 Depth=2
	s_or_b32 exec_lo, exec_lo, s43
	v_add_nc_u32_e32 v11, 0xffffff81, v18
	v_lshrrev_b32_e32 v15, 23, v10
	s_mov_b32 s10, exec_lo
	s_delay_alu instid0(VALU_DEP_2) | instskip(NEXT) | instid1(VALU_DEP_1)
	v_cndmask_b32_e64 v11, v11, 0xffffff82, vcc_lo
	v_add3_u32 v15, v63, v11, v15
	v_and_b32_e32 v11, 0x1fffff, v14
                                        ; implicit-def: $vgpr14
	s_delay_alu instid0(VALU_DEP_1) | instskip(NEXT) | instid1(VALU_DEP_1)
	v_dual_add_nc_u32 v18, 14, v15 :: v_dual_add_nc_u32 v54, v11, v10
                                        ; implicit-def: $vgpr10_vgpr11
	v_cmpx_ne_u32_e32 0, v18
	s_xor_b32 s10, exec_lo, s10
; %bb.2035:                             ;   in Loop: Header=BB4_129 Depth=2
	s_delay_alu instid0(VALU_DEP_2) | instskip(SKIP_1) | instid1(VALU_DEP_1)
	v_cmp_lt_u64_e32 vcc_lo, 0xffffff, v[54:55]
	v_add_nc_u32_e32 v10, 15, v15
	v_cndmask_b32_e32 v14, v18, v10, vcc_lo
	v_cndmask_b32_e64 v10, 0, 1, vcc_lo
	s_delay_alu instid0(VALU_DEP_1)
	v_lshrrev_b64 v[10:11], v10, v[54:55]
; %bb.2036:                             ;   in Loop: Header=BB4_129 Depth=2
	s_and_not1_saveexec_b32 s10, s10
; %bb.2037:                             ;   in Loop: Header=BB4_129 Depth=2
	v_mov_b64_e32 v[10:11], v[54:55]
	v_bfe_u32 v14, v54, 23, 1
; %bb.2038:                             ;   in Loop: Header=BB4_129 Depth=2
	s_or_b32 exec_lo, exec_lo, s10
	s_delay_alu instid0(VALU_DEP_2) | instskip(NEXT) | instid1(VALU_DEP_2)
	v_lshrrev_b64 v[10:11], 21, v[10:11]
	v_cmp_gt_i32_e32 vcc_lo, 32, v14
	v_min_i32_e32 v15, 31, v14
	v_cmp_eq_u32_e64 s10, 0, v14
	s_delay_alu instid0(VALU_DEP_4) | instskip(NEXT) | instid1(VALU_DEP_3)
	v_cndmask_b32_e32 v11, 0, v11, vcc_lo
	v_dual_cndmask_b32 v10, 3, v10 :: v_dual_lshlrev_b32 v15, 2, v15
	s_delay_alu instid0(VALU_DEP_1) | instskip(NEXT) | instid1(VALU_DEP_2)
	v_and_b32_e32 v15, 0xfc, v15
	v_cmp_eq_u64_e32 vcc_lo, 0, v[10:11]
	s_delay_alu instid0(VALU_DEP_2)
	v_and_or_b32 v10, v10, 3, v15
	s_and_b32 s10, s10, vcc_lo
	s_delay_alu instid0(VALU_DEP_1) | instid1(SALU_CYCLE_1)
	v_cndmask_b32_e64 v10, v10, 0, s10
	s_delay_alu instid0(VALU_DEP_1)
	v_or_b32_e32 v18, v10, v19
.LBB4_2039:                             ;   in Loop: Header=BB4_129 Depth=2
	s_or_b32 exec_lo, exec_lo, s42
                                        ; implicit-def: $vgpr19
.LBB4_2040:                             ;   in Loop: Header=BB4_129 Depth=2
	s_and_not1_saveexec_b32 s10, s15
; %bb.2041:                             ;   in Loop: Header=BB4_129 Depth=2
	v_or_b32_e32 v18, 0x7b, v19
; %bb.2042:                             ;   in Loop: Header=BB4_129 Depth=2
	s_or_b32 exec_lo, exec_lo, s10
                                        ; implicit-def: $vgpr15
                                        ; implicit-def: $vgpr10
.LBB4_2043:                             ;   in Loop: Header=BB4_129 Depth=2
	s_and_not1_saveexec_b32 s10, s14
	s_cbranch_execz .LBB4_2049
; %bb.2044:                             ;   in Loop: Header=BB4_129 Depth=2
	s_mov_b32 s14, exec_lo
                                        ; implicit-def: $vgpr18
	v_cmpx_ne_u64_e32 0, v[54:55]
	s_xor_b32 s14, exec_lo, s14
; %bb.2045:                             ;   in Loop: Header=BB4_129 Depth=2
	v_or_b32_e32 v18, 0x7f, v10
                                        ; implicit-def: $vgpr15
; %bb.2046:                             ;   in Loop: Header=BB4_129 Depth=2
	s_and_not1_saveexec_b32 s14, s14
; %bb.2047:                             ;   in Loop: Header=BB4_129 Depth=2
	v_cmp_lt_i32_e32 vcc_lo, -1, v15
	v_cndmask_b32_e32 v18, 0xfc, v122, vcc_lo
; %bb.2048:                             ;   in Loop: Header=BB4_129 Depth=2
	s_or_b32 exec_lo, exec_lo, s14
.LBB4_2049:                             ;   in Loop: Header=BB4_129 Depth=2
	s_delay_alu instid0(SALU_CYCLE_1) | instskip(SKIP_4) | instid1(VALU_DEP_2)
	s_or_b32 exec_lo, exec_lo, s10
	v_lshrrev_b32_e32 v14, 16, v17
	v_lshrrev_b32_e32 v10, 16, v13
	s_and_not1_b32 vcc_lo, exec_lo, s13
	s_mov_b32 s14, -1
                                        ; implicit-def: $vgpr63
	v_and_b32_e32 v11, 0xff, v14
	s_delay_alu instid0(VALU_DEP_1)
	v_cmp_ne_u16_e64 s10, 0, v11
	s_cbranch_vccnz .LBB4_2071
; %bb.2050:                             ;   in Loop: Header=BB4_129 Depth=2
	v_dual_mov_b32 v19, 0 :: v_dual_mov_b32 v15, 0
	s_and_saveexec_b32 s14, s10
	s_cbranch_execz .LBB4_2060
; %bb.2051:                             ;   in Loop: Header=BB4_129 Depth=2
	v_bfrev_b32_e32 v15, 1
	s_mov_b32 s15, exec_lo
	v_cmpx_ne_u16_e32 0x80, v11
	s_cbranch_execz .LBB4_2059
; %bb.2052:                             ;   in Loop: Header=BB4_129 Depth=2
	v_and_b32_e32 v15, 0x7c0000, v17
	v_bfe_u32 v54, v17, 16, 2
	s_delay_alu instid0(VALU_DEP_2) | instskip(SKIP_1) | instid1(SALU_CYCLE_1)
	v_cmp_ne_u32_e32 vcc_lo, 0x7c0000, v15
                                        ; implicit-def: $vgpr15
	s_and_saveexec_b32 s42, vcc_lo
	s_xor_b32 s42, exec_lo, s42
	s_cbranch_execz .LBB4_2056
; %bb.2053:                             ;   in Loop: Header=BB4_129 Depth=2
	v_bfe_u32 v15, v17, 18, 5
	s_mov_b32 s43, exec_lo
	s_delay_alu instid0(VALU_DEP_1)
	v_cmpx_eq_u32_e32 0, v15
; %bb.2054:                             ;   in Loop: Header=BB4_129 Depth=2
	v_clz_i32_u32_e32 v15, v54
	s_delay_alu instid0(VALU_DEP_1) | instskip(NEXT) | instid1(VALU_DEP_1)
	v_min_u32_e32 v15, 32, v15
	v_subrev_nc_u32_e32 v54, 29, v15
	s_delay_alu instid0(VALU_DEP_1) | instskip(NEXT) | instid1(VALU_DEP_1)
	v_lshlrev_b64_e32 v[72:73], v54, v[14:15]
	v_dual_sub_nc_u32 v15, 30, v15 :: v_dual_bitop2_b32 v54, 3, v72 bitop3:0x40
; %bb.2055:                             ;   in Loop: Header=BB4_129 Depth=2
	s_or_b32 exec_lo, exec_lo, s43
	v_lshlrev_b32_e32 v82, 24, v14
	s_delay_alu instid0(VALU_DEP_1) | instskip(NEXT) | instid1(VALU_DEP_1)
	v_and_b32_e32 v82, 0x80000000, v82
	v_lshl_add_u32 v15, v15, 23, v82
	s_delay_alu instid0(VALU_DEP_1) | instskip(NEXT) | instid1(VALU_DEP_1)
	v_lshl_or_b32 v15, v54, 21, v15
                                        ; implicit-def: $vgpr54
	v_add_nc_u32_e32 v15, 0x38000000, v15
.LBB4_2056:                             ;   in Loop: Header=BB4_129 Depth=2
	s_and_not1_saveexec_b32 s42, s42
; %bb.2057:                             ;   in Loop: Header=BB4_129 Depth=2
	v_bfe_i32 v15, v14, 0, 8
	s_delay_alu instid0(VALU_DEP_1) | instskip(SKIP_2) | instid1(VALU_DEP_2)
	v_cmp_lt_i16_e32 vcc_lo, -1, v15
	v_cndmask_b32_e32 v15, 0xff800000, v126, vcc_lo
	v_cmp_eq_u32_e32 vcc_lo, 0, v54
	v_cndmask_b32_e32 v15, 0x7f800001, v15, vcc_lo
; %bb.2058:                             ;   in Loop: Header=BB4_129 Depth=2
	s_or_b32 exec_lo, exec_lo, s42
.LBB4_2059:                             ;   in Loop: Header=BB4_129 Depth=2
	s_delay_alu instid0(SALU_CYCLE_1)
	s_or_b32 exec_lo, exec_lo, s15
.LBB4_2060:                             ;   in Loop: Header=BB4_129 Depth=2
	s_delay_alu instid0(SALU_CYCLE_1) | instskip(SKIP_2) | instid1(VALU_DEP_1)
	s_or_b32 exec_lo, exec_lo, s14
	v_and_b32_e32 v54, 0xff, v10
	s_mov_b32 s14, exec_lo
	v_cmpx_ne_u16_e32 0, v54
	s_cbranch_execz .LBB4_2070
; %bb.2061:                             ;   in Loop: Header=BB4_129 Depth=2
	v_bfrev_b32_e32 v19, 1
	s_mov_b32 s15, exec_lo
	v_cmpx_ne_u16_e32 0x80, v54
	s_cbranch_execz .LBB4_2069
; %bb.2062:                             ;   in Loop: Header=BB4_129 Depth=2
	v_and_b32_e32 v19, 0x7c0000, v13
	v_bfe_u32 v54, v13, 16, 2
	s_delay_alu instid0(VALU_DEP_2) | instskip(SKIP_1) | instid1(SALU_CYCLE_1)
	v_cmp_ne_u32_e32 vcc_lo, 0x7c0000, v19
                                        ; implicit-def: $vgpr19
	s_and_saveexec_b32 s42, vcc_lo
	s_xor_b32 s42, exec_lo, s42
	s_cbranch_execz .LBB4_2066
; %bb.2063:                             ;   in Loop: Header=BB4_129 Depth=2
	v_bfe_u32 v19, v13, 18, 5
	s_mov_b32 s43, exec_lo
	s_delay_alu instid0(VALU_DEP_1)
	v_cmpx_eq_u32_e32 0, v19
; %bb.2064:                             ;   in Loop: Header=BB4_129 Depth=2
	v_clz_i32_u32_e32 v19, v54
	s_delay_alu instid0(VALU_DEP_1) | instskip(NEXT) | instid1(VALU_DEP_1)
	v_min_u32_e32 v19, 32, v19
	v_subrev_nc_u32_e32 v54, 29, v19
	s_delay_alu instid0(VALU_DEP_1) | instskip(NEXT) | instid1(VALU_DEP_1)
	v_lshlrev_b64_e32 v[72:73], v54, v[10:11]
	v_dual_sub_nc_u32 v19, 30, v19 :: v_dual_bitop2_b32 v54, 3, v72 bitop3:0x40
; %bb.2065:                             ;   in Loop: Header=BB4_129 Depth=2
	s_or_b32 exec_lo, exec_lo, s43
	v_lshlrev_b32_e32 v82, 24, v10
	s_delay_alu instid0(VALU_DEP_1) | instskip(NEXT) | instid1(VALU_DEP_1)
	v_and_b32_e32 v82, 0x80000000, v82
	v_lshl_add_u32 v19, v19, 23, v82
	s_delay_alu instid0(VALU_DEP_1) | instskip(NEXT) | instid1(VALU_DEP_1)
	v_lshl_or_b32 v19, v54, 21, v19
                                        ; implicit-def: $vgpr54
	v_add_nc_u32_e32 v19, 0x38000000, v19
.LBB4_2066:                             ;   in Loop: Header=BB4_129 Depth=2
	s_and_not1_saveexec_b32 s42, s42
; %bb.2067:                             ;   in Loop: Header=BB4_129 Depth=2
	v_bfe_i32 v19, v10, 0, 8
	s_delay_alu instid0(VALU_DEP_1) | instskip(SKIP_2) | instid1(VALU_DEP_2)
	v_cmp_lt_i16_e32 vcc_lo, -1, v19
	v_cndmask_b32_e32 v19, 0xff800000, v126, vcc_lo
	v_cmp_eq_u32_e32 vcc_lo, 0, v54
	v_cndmask_b32_e32 v19, 0x7f800001, v19, vcc_lo
; %bb.2068:                             ;   in Loop: Header=BB4_129 Depth=2
	s_or_b32 exec_lo, exec_lo, s42
.LBB4_2069:                             ;   in Loop: Header=BB4_129 Depth=2
	s_delay_alu instid0(SALU_CYCLE_1)
	s_or_b32 exec_lo, exec_lo, s15
.LBB4_2070:                             ;   in Loop: Header=BB4_129 Depth=2
	s_delay_alu instid0(SALU_CYCLE_1) | instskip(NEXT) | instid1(VALU_DEP_1)
	s_or_b32 exec_lo, exec_lo, s14
	v_max_num_f32_e32 v19, v19, v19
	v_max_num_f32_e32 v15, v15, v15
	s_mov_b32 s14, 0
	s_delay_alu instid0(VALU_DEP_1)
	v_max_num_f32_e32 v63, v15, v19
.LBB4_2071:                             ;   in Loop: Header=BB4_129 Depth=2
	s_and_b32 vcc_lo, exec_lo, s14
	s_cbranch_vccz .LBB4_2093
; %bb.2072:                             ;   in Loop: Header=BB4_129 Depth=2
	v_dual_mov_b32 v19, 0 :: v_dual_mov_b32 v15, 0
	s_and_saveexec_b32 s14, s10
	s_cbranch_execz .LBB4_2082
; %bb.2073:                             ;   in Loop: Header=BB4_129 Depth=2
	v_bfrev_b32_e32 v15, 1
	s_mov_b32 s10, exec_lo
	v_cmpx_ne_u16_e32 0x80, v11
	s_cbranch_execz .LBB4_2081
; %bb.2074:                             ;   in Loop: Header=BB4_129 Depth=2
	v_and_b32_e32 v15, 0x7c0000, v17
	v_bfe_u32 v11, v17, 16, 2
	s_delay_alu instid0(VALU_DEP_2) | instskip(SKIP_1) | instid1(SALU_CYCLE_1)
	v_cmp_ne_u32_e32 vcc_lo, 0x7c0000, v15
                                        ; implicit-def: $vgpr15
	s_and_saveexec_b32 s15, vcc_lo
	s_xor_b32 s15, exec_lo, s15
	s_cbranch_execz .LBB4_2078
; %bb.2075:                             ;   in Loop: Header=BB4_129 Depth=2
	v_bfe_u32 v15, v17, 18, 5
	s_mov_b32 s42, exec_lo
	s_delay_alu instid0(VALU_DEP_1)
	v_cmpx_eq_u32_e32 0, v15
; %bb.2076:                             ;   in Loop: Header=BB4_129 Depth=2
	v_clz_i32_u32_e32 v11, v11
	s_delay_alu instid0(VALU_DEP_1) | instskip(NEXT) | instid1(VALU_DEP_1)
	v_min_u32_e32 v11, 32, v11
	v_subrev_nc_u32_e32 v15, 29, v11
	s_delay_alu instid0(VALU_DEP_1) | instskip(NEXT) | instid1(VALU_DEP_1)
	v_lshlrev_b64_e32 v[72:73], v15, v[14:15]
	v_dual_sub_nc_u32 v15, 30, v11 :: v_dual_bitop2_b32 v11, 3, v72 bitop3:0x40
; %bb.2077:                             ;   in Loop: Header=BB4_129 Depth=2
	s_or_b32 exec_lo, exec_lo, s42
	v_lshlrev_b32_e32 v14, 24, v14
	s_delay_alu instid0(VALU_DEP_1) | instskip(NEXT) | instid1(VALU_DEP_1)
	v_and_b32_e32 v14, 0x80000000, v14
	v_lshl_add_u32 v14, v15, 23, v14
	s_delay_alu instid0(VALU_DEP_1) | instskip(NEXT) | instid1(VALU_DEP_1)
	v_lshl_or_b32 v11, v11, 21, v14
                                        ; implicit-def: $vgpr14
	v_add_nc_u32_e32 v15, 0x38000000, v11
                                        ; implicit-def: $vgpr11
.LBB4_2078:                             ;   in Loop: Header=BB4_129 Depth=2
	s_and_not1_saveexec_b32 s15, s15
; %bb.2079:                             ;   in Loop: Header=BB4_129 Depth=2
	v_bfe_i32 v14, v14, 0, 8
	s_delay_alu instid0(VALU_DEP_1) | instskip(SKIP_2) | instid1(VALU_DEP_2)
	v_cmp_lt_i16_e32 vcc_lo, -1, v14
	v_cndmask_b32_e32 v14, 0xff800000, v126, vcc_lo
	v_cmp_eq_u32_e32 vcc_lo, 0, v11
	v_cndmask_b32_e32 v15, 0x7f800001, v14, vcc_lo
; %bb.2080:                             ;   in Loop: Header=BB4_129 Depth=2
	s_or_b32 exec_lo, exec_lo, s15
.LBB4_2081:                             ;   in Loop: Header=BB4_129 Depth=2
	s_delay_alu instid0(SALU_CYCLE_1)
	s_or_b32 exec_lo, exec_lo, s10
.LBB4_2082:                             ;   in Loop: Header=BB4_129 Depth=2
	s_delay_alu instid0(SALU_CYCLE_1) | instskip(SKIP_2) | instid1(VALU_DEP_1)
	s_or_b32 exec_lo, exec_lo, s14
	v_and_b32_e32 v11, 0xff, v10
	s_mov_b32 s10, exec_lo
	v_cmpx_ne_u16_e32 0, v11
	s_cbranch_execz .LBB4_2092
; %bb.2083:                             ;   in Loop: Header=BB4_129 Depth=2
	v_bfrev_b32_e32 v19, 1
	s_mov_b32 s14, exec_lo
	v_cmpx_ne_u16_e32 0x80, v11
	s_cbranch_execz .LBB4_2091
; %bb.2084:                             ;   in Loop: Header=BB4_129 Depth=2
	v_and_b32_e32 v14, 0x7c0000, v13
	v_bfe_u32 v11, v13, 16, 2
	s_mov_b32 s15, exec_lo
                                        ; implicit-def: $vgpr19
	s_delay_alu instid0(VALU_DEP_2)
	v_cmpx_ne_u32_e32 0x7c0000, v14
	s_xor_b32 s15, exec_lo, s15
	s_cbranch_execz .LBB4_2088
; %bb.2085:                             ;   in Loop: Header=BB4_129 Depth=2
	v_bfe_u32 v14, v13, 18, 5
	s_mov_b32 s42, exec_lo
	s_delay_alu instid0(VALU_DEP_1)
	v_cmpx_eq_u32_e32 0, v14
; %bb.2086:                             ;   in Loop: Header=BB4_129 Depth=2
	v_clz_i32_u32_e32 v11, v11
	s_delay_alu instid0(VALU_DEP_1) | instskip(NEXT) | instid1(VALU_DEP_1)
	v_min_u32_e32 v11, 32, v11
	v_subrev_nc_u32_e32 v14, 29, v11
	s_delay_alu instid0(VALU_DEP_1) | instskip(NEXT) | instid1(VALU_DEP_1)
	v_lshlrev_b64_e32 v[72:73], v14, v[10:11]
	v_dual_sub_nc_u32 v14, 30, v11 :: v_dual_bitop2_b32 v11, 3, v72 bitop3:0x40
; %bb.2087:                             ;   in Loop: Header=BB4_129 Depth=2
	s_or_b32 exec_lo, exec_lo, s42
	v_lshlrev_b32_e32 v10, 24, v10
	s_delay_alu instid0(VALU_DEP_1) | instskip(NEXT) | instid1(VALU_DEP_1)
	v_and_b32_e32 v10, 0x80000000, v10
	v_lshl_add_u32 v10, v14, 23, v10
	s_delay_alu instid0(VALU_DEP_1) | instskip(NEXT) | instid1(VALU_DEP_1)
	v_lshl_or_b32 v10, v11, 21, v10
                                        ; implicit-def: $vgpr11
	v_add_nc_u32_e32 v19, 0x38000000, v10
                                        ; implicit-def: $vgpr10
.LBB4_2088:                             ;   in Loop: Header=BB4_129 Depth=2
	s_and_not1_saveexec_b32 s15, s15
; %bb.2089:                             ;   in Loop: Header=BB4_129 Depth=2
	v_bfe_i32 v10, v10, 0, 8
	s_delay_alu instid0(VALU_DEP_1) | instskip(SKIP_2) | instid1(VALU_DEP_2)
	v_cmp_lt_i16_e32 vcc_lo, -1, v10
	v_cndmask_b32_e32 v10, 0xff800000, v126, vcc_lo
	v_cmp_eq_u32_e32 vcc_lo, 0, v11
	v_cndmask_b32_e32 v19, 0x7f800001, v10, vcc_lo
; %bb.2090:                             ;   in Loop: Header=BB4_129 Depth=2
	s_or_b32 exec_lo, exec_lo, s15
.LBB4_2091:                             ;   in Loop: Header=BB4_129 Depth=2
	s_delay_alu instid0(SALU_CYCLE_1)
	s_or_b32 exec_lo, exec_lo, s14
.LBB4_2092:                             ;   in Loop: Header=BB4_129 Depth=2
	s_delay_alu instid0(SALU_CYCLE_1) | instskip(NEXT) | instid1(VALU_DEP_1)
	s_or_b32 exec_lo, exec_lo, s10
	v_max_num_f32_e32 v10, v19, v19
	v_max_num_f32_e32 v11, v15, v15
	s_delay_alu instid0(VALU_DEP_1)
	v_min_num_f32_e32 v63, v11, v10
.LBB4_2093:                             ;   in Loop: Header=BB4_129 Depth=2
	s_delay_alu instid0(VALU_DEP_1) | instskip(SKIP_2) | instid1(VALU_DEP_2)
	v_and_b32_e32 v10, 0x7f800000, v63
	v_mov_b32_e32 v11, v55
	v_and_b32_e32 v54, 0x7fffff, v63
                                        ; implicit-def: $vgpr15
	v_cmp_ne_u64_e32 vcc_lo, 0x7f800000, v[10:11]
	v_lshrrev_b32_e32 v10, 24, v63
	s_and_saveexec_b32 s10, vcc_lo
	s_delay_alu instid0(SALU_CYCLE_1)
	s_xor_b32 s14, exec_lo, s10
	s_cbranch_execz .LBB4_2107
; %bb.2094:                             ;   in Loop: Header=BB4_129 Depth=2
	v_and_b32_e32 v14, 0x7fffffff, v63
	v_mov_b32_e32 v15, v55
	v_and_b32_e32 v19, 0x80, v10
	s_delay_alu instid0(VALU_DEP_2) | instskip(SKIP_1) | instid1(SALU_CYCLE_1)
	v_cmp_gt_u64_e32 vcc_lo, 0x47600001, v[14:15]
                                        ; implicit-def: $vgpr15
	s_and_saveexec_b32 s10, vcc_lo
	s_xor_b32 s15, exec_lo, s10
	s_cbranch_execz .LBB4_2104
; %bb.2095:                             ;   in Loop: Header=BB4_129 Depth=2
	v_mov_b32_e32 v15, 0
	s_mov_b32 s42, exec_lo
	v_cmpx_ne_u32_e32 0, v63
	s_cbranch_execz .LBB4_2103
; %bb.2096:                             ;   in Loop: Header=BB4_129 Depth=2
	v_bfe_u32 v63, v63, 23, 8
	v_or_b32_e32 v14, 0x800000, v54
	s_delay_alu instid0(VALU_DEP_2) | instskip(SKIP_1) | instid1(VALU_DEP_2)
	v_sub_nc_u32_e32 v10, 0x71, v63
	v_cmp_gt_u32_e32 vcc_lo, 0x72, v63
	v_cndmask_b32_e32 v10, 0, v10, vcc_lo
	v_cmp_eq_u32_e32 vcc_lo, 0, v63
	s_delay_alu instid0(VALU_DEP_2) | instskip(NEXT) | instid1(VALU_DEP_1)
	v_cndmask_b32_e64 v72, v10, 0x70, vcc_lo
	v_dual_cndmask_b32 v54, v14, v54, vcc_lo :: v_dual_add_nc_u32 v10, 21, v72
	v_add_nc_u32_e32 v15, 20, v72
	s_delay_alu instid0(VALU_DEP_2) | instskip(NEXT) | instid1(VALU_DEP_2)
	v_lshlrev_b64_e64 v[10:11], v10, -1
	v_lshlrev_b64_e64 v[14:15], v15, 1
	s_delay_alu instid0(VALU_DEP_2) | instskip(NEXT) | instid1(VALU_DEP_3)
	v_bfi_b32 v75, v11, 0, 0
	v_bfi_b32 v74, v10, 0, v54
	v_lshrrev_b64 v[10:11], v72, v[54:55]
	s_delay_alu instid0(VALU_DEP_2) | instskip(NEXT) | instid1(VALU_DEP_2)
	v_cmp_eq_u64_e64 s10, v[74:75], v[14:15]
	v_mov_b64_e32 v[14:15], v[10:11]
	s_and_saveexec_b32 s43, s10
; %bb.2097:                             ;   in Loop: Header=BB4_129 Depth=2
	v_bfe_u32 v54, v10, 21, 1
	s_delay_alu instid0(VALU_DEP_1) | instskip(NEXT) | instid1(VALU_DEP_1)
	v_add_nc_u64_e32 v[14:15], v[10:11], v[54:55]
	v_add_nc_u64_e32 v[14:15], -1, v[14:15]
; %bb.2098:                             ;   in Loop: Header=BB4_129 Depth=2
	s_or_b32 exec_lo, exec_lo, s43
	v_add_nc_u32_e32 v11, 0xffffff81, v63
	v_lshrrev_b32_e32 v15, 23, v10
	s_mov_b32 s10, exec_lo
	s_delay_alu instid0(VALU_DEP_2) | instskip(NEXT) | instid1(VALU_DEP_1)
	v_cndmask_b32_e64 v11, v11, 0xffffff82, vcc_lo
	v_add3_u32 v15, v72, v11, v15
	v_and_b32_e32 v11, 0x1fffff, v14
                                        ; implicit-def: $vgpr14
	s_delay_alu instid0(VALU_DEP_1) | instskip(NEXT) | instid1(VALU_DEP_1)
	v_dual_add_nc_u32 v63, 14, v15 :: v_dual_add_nc_u32 v54, v11, v10
                                        ; implicit-def: $vgpr10_vgpr11
	v_cmpx_ne_u32_e32 0, v63
	s_xor_b32 s10, exec_lo, s10
; %bb.2099:                             ;   in Loop: Header=BB4_129 Depth=2
	s_delay_alu instid0(VALU_DEP_2) | instskip(SKIP_1) | instid1(VALU_DEP_1)
	v_cmp_lt_u64_e32 vcc_lo, 0xffffff, v[54:55]
	v_add_nc_u32_e32 v10, 15, v15
	v_cndmask_b32_e32 v14, v63, v10, vcc_lo
	v_cndmask_b32_e64 v10, 0, 1, vcc_lo
	s_delay_alu instid0(VALU_DEP_1)
	v_lshrrev_b64 v[10:11], v10, v[54:55]
; %bb.2100:                             ;   in Loop: Header=BB4_129 Depth=2
	s_and_not1_saveexec_b32 s10, s10
; %bb.2101:                             ;   in Loop: Header=BB4_129 Depth=2
	v_mov_b64_e32 v[10:11], v[54:55]
	v_bfe_u32 v14, v54, 23, 1
; %bb.2102:                             ;   in Loop: Header=BB4_129 Depth=2
	s_or_b32 exec_lo, exec_lo, s10
	s_delay_alu instid0(VALU_DEP_2) | instskip(NEXT) | instid1(VALU_DEP_2)
	v_lshrrev_b64 v[10:11], 21, v[10:11]
	v_cmp_gt_i32_e32 vcc_lo, 32, v14
	v_min_i32_e32 v15, 31, v14
	v_cmp_eq_u32_e64 s10, 0, v14
	s_delay_alu instid0(VALU_DEP_4) | instskip(NEXT) | instid1(VALU_DEP_3)
	v_cndmask_b32_e32 v11, 0, v11, vcc_lo
	v_dual_cndmask_b32 v10, 3, v10 :: v_dual_lshlrev_b32 v15, 2, v15
	s_delay_alu instid0(VALU_DEP_1) | instskip(NEXT) | instid1(VALU_DEP_2)
	v_and_b32_e32 v15, 0xfc, v15
	v_cmp_eq_u64_e32 vcc_lo, 0, v[10:11]
	s_delay_alu instid0(VALU_DEP_2)
	v_and_or_b32 v10, v10, 3, v15
	s_and_b32 s10, s10, vcc_lo
	s_delay_alu instid0(VALU_DEP_1) | instid1(SALU_CYCLE_1)
	v_cndmask_b32_e64 v10, v10, 0, s10
	s_delay_alu instid0(VALU_DEP_1)
	v_or_b32_e32 v15, v10, v19
.LBB4_2103:                             ;   in Loop: Header=BB4_129 Depth=2
	s_or_b32 exec_lo, exec_lo, s42
                                        ; implicit-def: $vgpr19
.LBB4_2104:                             ;   in Loop: Header=BB4_129 Depth=2
	s_and_not1_saveexec_b32 s10, s15
; %bb.2105:                             ;   in Loop: Header=BB4_129 Depth=2
	v_or_b32_e32 v15, 0x7b, v19
; %bb.2106:                             ;   in Loop: Header=BB4_129 Depth=2
	s_or_b32 exec_lo, exec_lo, s10
                                        ; implicit-def: $vgpr63
                                        ; implicit-def: $vgpr10
.LBB4_2107:                             ;   in Loop: Header=BB4_129 Depth=2
	s_and_not1_saveexec_b32 s10, s14
	s_cbranch_execz .LBB4_2113
; %bb.2108:                             ;   in Loop: Header=BB4_129 Depth=2
	s_mov_b32 s14, exec_lo
                                        ; implicit-def: $vgpr15
	v_cmpx_ne_u64_e32 0, v[54:55]
	s_xor_b32 s14, exec_lo, s14
; %bb.2109:                             ;   in Loop: Header=BB4_129 Depth=2
	v_or_b32_e32 v15, 0x7f, v10
                                        ; implicit-def: $vgpr63
; %bb.2110:                             ;   in Loop: Header=BB4_129 Depth=2
	s_and_not1_saveexec_b32 s14, s14
; %bb.2111:                             ;   in Loop: Header=BB4_129 Depth=2
	v_cmp_lt_i32_e32 vcc_lo, -1, v63
	v_cndmask_b32_e32 v15, 0xfc, v122, vcc_lo
; %bb.2112:                             ;   in Loop: Header=BB4_129 Depth=2
	s_or_b32 exec_lo, exec_lo, s14
.LBB4_2113:                             ;   in Loop: Header=BB4_129 Depth=2
	s_delay_alu instid0(SALU_CYCLE_1)
	s_or_b32 exec_lo, exec_lo, s10
	v_cmp_lt_u64_e64 s10, s[16:17], v[16:17]
	v_lshrrev_b32_e32 v14, 24, v17
	v_lshrrev_b32_e32 v10, 24, v13
	s_and_not1_b32 vcc_lo, exec_lo, s13
	s_mov_b32 s14, -1
                                        ; implicit-def: $vgpr11
	s_cbranch_vccnz .LBB4_2135
; %bb.2114:                             ;   in Loop: Header=BB4_129 Depth=2
	v_dual_mov_b32 v19, 0 :: v_dual_mov_b32 v11, 0
	s_and_saveexec_b32 s14, s10
	s_cbranch_execz .LBB4_2124
; %bb.2115:                             ;   in Loop: Header=BB4_129 Depth=2
	v_bfrev_b32_e32 v11, 1
	s_mov_b32 s15, exec_lo
	v_cmpx_ne_u32_e32 0x80, v14
	s_cbranch_execz .LBB4_2123
; %bb.2116:                             ;   in Loop: Header=BB4_129 Depth=2
	v_and_b32_e32 v11, 0x7c000000, v17
	v_bfe_u32 v54, v17, 24, 2
	s_delay_alu instid0(VALU_DEP_2) | instskip(SKIP_1) | instid1(SALU_CYCLE_1)
	v_cmp_ne_u32_e32 vcc_lo, 0x7c000000, v11
                                        ; implicit-def: $vgpr11
	s_and_saveexec_b32 s42, vcc_lo
	s_xor_b32 s42, exec_lo, s42
	s_cbranch_execz .LBB4_2120
; %bb.2117:                             ;   in Loop: Header=BB4_129 Depth=2
	v_bfe_u32 v11, v17, 26, 5
	s_mov_b32 s43, exec_lo
	s_delay_alu instid0(VALU_DEP_1)
	v_cmpx_eq_u32_e32 0, v11
; %bb.2118:                             ;   in Loop: Header=BB4_129 Depth=2
	v_clz_i32_u32_e32 v11, v54
	s_delay_alu instid0(VALU_DEP_1) | instskip(NEXT) | instid1(VALU_DEP_1)
	v_min_u32_e32 v11, 32, v11
	v_subrev_nc_u32_e32 v54, 29, v11
	s_delay_alu instid0(VALU_DEP_1) | instskip(NEXT) | instid1(VALU_DEP_1)
	v_lshlrev_b64_e32 v[72:73], v54, v[14:15]
	v_dual_sub_nc_u32 v11, 30, v11 :: v_dual_bitop2_b32 v54, 3, v72 bitop3:0x40
; %bb.2119:                             ;   in Loop: Header=BB4_129 Depth=2
	s_or_b32 exec_lo, exec_lo, s43
	v_and_b32_e32 v82, 0x80000000, v17
	s_delay_alu instid0(VALU_DEP_1) | instskip(NEXT) | instid1(VALU_DEP_1)
	v_lshl_add_u32 v11, v11, 23, v82
	v_lshl_or_b32 v11, v54, 21, v11
                                        ; implicit-def: $vgpr54
	s_delay_alu instid0(VALU_DEP_1)
	v_add_nc_u32_e32 v11, 0x38000000, v11
.LBB4_2120:                             ;   in Loop: Header=BB4_129 Depth=2
	s_and_not1_saveexec_b32 s42, s42
; %bb.2121:                             ;   in Loop: Header=BB4_129 Depth=2
	v_cmp_lt_i64_e32 vcc_lo, -1, v[16:17]
	v_cndmask_b32_e32 v11, 0xff800000, v126, vcc_lo
	v_cmp_eq_u32_e32 vcc_lo, 0, v54
	s_delay_alu instid0(VALU_DEP_2)
	v_cndmask_b32_e32 v11, 0x7f800001, v11, vcc_lo
; %bb.2122:                             ;   in Loop: Header=BB4_129 Depth=2
	s_or_b32 exec_lo, exec_lo, s42
.LBB4_2123:                             ;   in Loop: Header=BB4_129 Depth=2
	s_delay_alu instid0(SALU_CYCLE_1)
	s_or_b32 exec_lo, exec_lo, s15
.LBB4_2124:                             ;   in Loop: Header=BB4_129 Depth=2
	s_delay_alu instid0(SALU_CYCLE_1) | instskip(NEXT) | instid1(SALU_CYCLE_1)
	s_or_b32 exec_lo, exec_lo, s14
	s_mov_b32 s14, exec_lo
	v_cmpx_lt_u64_e64 s[16:17], v[12:13]
	s_cbranch_execz .LBB4_2134
; %bb.2125:                             ;   in Loop: Header=BB4_129 Depth=2
	v_bfrev_b32_e32 v19, 1
	s_mov_b32 s15, exec_lo
	v_cmpx_ne_u32_e32 0x80, v10
	s_cbranch_execz .LBB4_2133
; %bb.2126:                             ;   in Loop: Header=BB4_129 Depth=2
	v_and_b32_e32 v19, 0x7c000000, v13
	v_bfe_u32 v54, v13, 24, 2
	s_delay_alu instid0(VALU_DEP_2) | instskip(SKIP_1) | instid1(SALU_CYCLE_1)
	v_cmp_ne_u32_e32 vcc_lo, 0x7c000000, v19
                                        ; implicit-def: $vgpr19
	s_and_saveexec_b32 s42, vcc_lo
	s_xor_b32 s42, exec_lo, s42
	s_cbranch_execz .LBB4_2130
; %bb.2127:                             ;   in Loop: Header=BB4_129 Depth=2
	v_bfe_u32 v19, v13, 26, 5
	s_mov_b32 s43, exec_lo
	s_delay_alu instid0(VALU_DEP_1)
	v_cmpx_eq_u32_e32 0, v19
; %bb.2128:                             ;   in Loop: Header=BB4_129 Depth=2
	v_clz_i32_u32_e32 v19, v54
	s_delay_alu instid0(VALU_DEP_1) | instskip(NEXT) | instid1(VALU_DEP_1)
	v_min_u32_e32 v19, 32, v19
	v_subrev_nc_u32_e32 v54, 29, v19
	s_delay_alu instid0(VALU_DEP_1) | instskip(NEXT) | instid1(VALU_DEP_1)
	v_lshlrev_b64_e32 v[72:73], v54, v[10:11]
	v_dual_sub_nc_u32 v19, 30, v19 :: v_dual_bitop2_b32 v54, 3, v72 bitop3:0x40
; %bb.2129:                             ;   in Loop: Header=BB4_129 Depth=2
	s_or_b32 exec_lo, exec_lo, s43
	v_and_b32_e32 v82, 0x80000000, v13
	s_delay_alu instid0(VALU_DEP_1) | instskip(NEXT) | instid1(VALU_DEP_1)
	v_lshl_add_u32 v19, v19, 23, v82
	v_lshl_or_b32 v19, v54, 21, v19
                                        ; implicit-def: $vgpr54
	s_delay_alu instid0(VALU_DEP_1)
	v_add_nc_u32_e32 v19, 0x38000000, v19
.LBB4_2130:                             ;   in Loop: Header=BB4_129 Depth=2
	s_and_not1_saveexec_b32 s42, s42
; %bb.2131:                             ;   in Loop: Header=BB4_129 Depth=2
	v_cmp_lt_i64_e32 vcc_lo, -1, v[12:13]
	v_cndmask_b32_e32 v19, 0xff800000, v126, vcc_lo
	v_cmp_eq_u32_e32 vcc_lo, 0, v54
	s_delay_alu instid0(VALU_DEP_2)
	v_cndmask_b32_e32 v19, 0x7f800001, v19, vcc_lo
; %bb.2132:                             ;   in Loop: Header=BB4_129 Depth=2
	s_or_b32 exec_lo, exec_lo, s42
.LBB4_2133:                             ;   in Loop: Header=BB4_129 Depth=2
	s_delay_alu instid0(SALU_CYCLE_1)
	s_or_b32 exec_lo, exec_lo, s15
.LBB4_2134:                             ;   in Loop: Header=BB4_129 Depth=2
	s_delay_alu instid0(SALU_CYCLE_1) | instskip(NEXT) | instid1(VALU_DEP_1)
	s_or_b32 exec_lo, exec_lo, s14
	v_max_num_f32_e32 v19, v19, v19
	v_max_num_f32_e32 v11, v11, v11
	s_mov_b32 s14, 0
	s_delay_alu instid0(VALU_DEP_1)
	v_max_num_f32_e32 v11, v11, v19
.LBB4_2135:                             ;   in Loop: Header=BB4_129 Depth=2
	s_and_b32 vcc_lo, exec_lo, s14
	s_cbranch_vccz .LBB4_2157
; %bb.2136:                             ;   in Loop: Header=BB4_129 Depth=2
	v_dual_mov_b32 v19, 0 :: v_dual_mov_b32 v11, 0
	s_and_saveexec_b32 s14, s10
	s_cbranch_execz .LBB4_2146
; %bb.2137:                             ;   in Loop: Header=BB4_129 Depth=2
	v_bfrev_b32_e32 v11, 1
	s_mov_b32 s10, exec_lo
	v_cmpx_ne_u32_e32 0x80, v14
	s_cbranch_execz .LBB4_2145
; %bb.2138:                             ;   in Loop: Header=BB4_129 Depth=2
	v_and_b32_e32 v11, 0x7c000000, v17
	v_bfe_u32 v54, v17, 24, 2
	s_delay_alu instid0(VALU_DEP_2) | instskip(SKIP_1) | instid1(SALU_CYCLE_1)
	v_cmp_ne_u32_e32 vcc_lo, 0x7c000000, v11
                                        ; implicit-def: $vgpr11
	s_and_saveexec_b32 s15, vcc_lo
	s_xor_b32 s15, exec_lo, s15
	s_cbranch_execz .LBB4_2142
; %bb.2139:                             ;   in Loop: Header=BB4_129 Depth=2
	v_bfe_u32 v11, v17, 26, 5
	s_mov_b32 s42, exec_lo
	s_delay_alu instid0(VALU_DEP_1)
	v_cmpx_eq_u32_e32 0, v11
; %bb.2140:                             ;   in Loop: Header=BB4_129 Depth=2
	v_clz_i32_u32_e32 v11, v54
	s_delay_alu instid0(VALU_DEP_1) | instskip(NEXT) | instid1(VALU_DEP_1)
	v_min_u32_e32 v11, 32, v11
	v_subrev_nc_u32_e32 v16, 29, v11
	s_delay_alu instid0(VALU_DEP_1) | instskip(NEXT) | instid1(VALU_DEP_1)
	v_lshlrev_b64_e32 v[72:73], v16, v[14:15]
	v_dual_sub_nc_u32 v11, 30, v11 :: v_dual_bitop2_b32 v54, 3, v72 bitop3:0x40
; %bb.2141:                             ;   in Loop: Header=BB4_129 Depth=2
	s_or_b32 exec_lo, exec_lo, s42
	v_and_b32_e32 v14, 0x80000000, v17
                                        ; implicit-def: $vgpr16_vgpr17
	s_delay_alu instid0(VALU_DEP_1) | instskip(NEXT) | instid1(VALU_DEP_1)
	v_lshl_add_u32 v11, v11, 23, v14
	v_lshl_or_b32 v11, v54, 21, v11
                                        ; implicit-def: $vgpr54
	s_delay_alu instid0(VALU_DEP_1)
	v_add_nc_u32_e32 v11, 0x38000000, v11
.LBB4_2142:                             ;   in Loop: Header=BB4_129 Depth=2
	s_and_not1_saveexec_b32 s15, s15
; %bb.2143:                             ;   in Loop: Header=BB4_129 Depth=2
	v_cmp_lt_i64_e32 vcc_lo, -1, v[16:17]
	v_cndmask_b32_e32 v11, 0xff800000, v126, vcc_lo
	v_cmp_eq_u32_e32 vcc_lo, 0, v54
	s_delay_alu instid0(VALU_DEP_2)
	v_cndmask_b32_e32 v11, 0x7f800001, v11, vcc_lo
; %bb.2144:                             ;   in Loop: Header=BB4_129 Depth=2
	s_or_b32 exec_lo, exec_lo, s15
.LBB4_2145:                             ;   in Loop: Header=BB4_129 Depth=2
	s_delay_alu instid0(SALU_CYCLE_1)
	s_or_b32 exec_lo, exec_lo, s10
.LBB4_2146:                             ;   in Loop: Header=BB4_129 Depth=2
	s_delay_alu instid0(SALU_CYCLE_1) | instskip(NEXT) | instid1(SALU_CYCLE_1)
	s_or_b32 exec_lo, exec_lo, s14
	s_mov_b32 s10, exec_lo
	v_cmpx_lt_u64_e64 s[16:17], v[12:13]
	s_cbranch_execz .LBB4_2156
; %bb.2147:                             ;   in Loop: Header=BB4_129 Depth=2
	v_bfrev_b32_e32 v19, 1
	s_mov_b32 s14, exec_lo
	v_cmpx_ne_u32_e32 0x80, v10
	s_cbranch_execz .LBB4_2155
; %bb.2148:                             ;   in Loop: Header=BB4_129 Depth=2
	v_and_b32_e32 v16, 0x7c000000, v13
	v_bfe_u32 v14, v13, 24, 2
	s_mov_b32 s15, exec_lo
                                        ; implicit-def: $vgpr19
	s_delay_alu instid0(VALU_DEP_2)
	v_cmpx_ne_u32_e32 0x7c000000, v16
	s_xor_b32 s15, exec_lo, s15
	s_cbranch_execz .LBB4_2152
; %bb.2149:                             ;   in Loop: Header=BB4_129 Depth=2
	v_bfe_u32 v12, v13, 26, 5
	s_mov_b32 s42, exec_lo
	s_delay_alu instid0(VALU_DEP_1)
	v_cmpx_eq_u32_e32 0, v12
; %bb.2150:                             ;   in Loop: Header=BB4_129 Depth=2
	v_clz_i32_u32_e32 v12, v14
	s_delay_alu instid0(VALU_DEP_1) | instskip(NEXT) | instid1(VALU_DEP_1)
	v_min_u32_e32 v12, 32, v12
	v_subrev_nc_u32_e32 v14, 29, v12
	v_sub_nc_u32_e32 v12, 30, v12
	s_delay_alu instid0(VALU_DEP_2) | instskip(NEXT) | instid1(VALU_DEP_1)
	v_lshlrev_b64_e32 v[16:17], v14, v[10:11]
	v_and_b32_e32 v14, 3, v16
; %bb.2151:                             ;   in Loop: Header=BB4_129 Depth=2
	s_or_b32 exec_lo, exec_lo, s42
	v_and_b32_e32 v10, 0x80000000, v13
	s_delay_alu instid0(VALU_DEP_1) | instskip(NEXT) | instid1(VALU_DEP_1)
	v_lshl_add_u32 v10, v12, 23, v10
                                        ; implicit-def: $vgpr12_vgpr13
	v_lshl_or_b32 v10, v14, 21, v10
                                        ; implicit-def: $vgpr14
	s_delay_alu instid0(VALU_DEP_1)
	v_add_nc_u32_e32 v19, 0x38000000, v10
.LBB4_2152:                             ;   in Loop: Header=BB4_129 Depth=2
	s_and_not1_saveexec_b32 s15, s15
; %bb.2153:                             ;   in Loop: Header=BB4_129 Depth=2
	v_cmp_lt_i64_e32 vcc_lo, -1, v[12:13]
	v_cndmask_b32_e32 v10, 0xff800000, v126, vcc_lo
	v_cmp_eq_u32_e32 vcc_lo, 0, v14
	s_delay_alu instid0(VALU_DEP_2)
	v_cndmask_b32_e32 v19, 0x7f800001, v10, vcc_lo
; %bb.2154:                             ;   in Loop: Header=BB4_129 Depth=2
	s_or_b32 exec_lo, exec_lo, s15
.LBB4_2155:                             ;   in Loop: Header=BB4_129 Depth=2
	s_delay_alu instid0(SALU_CYCLE_1)
	s_or_b32 exec_lo, exec_lo, s14
.LBB4_2156:                             ;   in Loop: Header=BB4_129 Depth=2
	s_delay_alu instid0(SALU_CYCLE_1) | instskip(NEXT) | instid1(VALU_DEP_1)
	s_or_b32 exec_lo, exec_lo, s10
	v_max_num_f32_e32 v10, v19, v19
	v_max_num_f32_e32 v11, v11, v11
	s_delay_alu instid0(VALU_DEP_1)
	v_min_num_f32_e32 v11, v11, v10
.LBB4_2157:                             ;   in Loop: Header=BB4_129 Depth=2
	s_delay_alu instid0(VALU_DEP_1) | instskip(SKIP_2) | instid1(VALU_DEP_2)
	v_and_b32_e32 v12, 0x7f800000, v11
	v_mov_b32_e32 v13, v55
	v_and_b32_e32 v54, 0x7fffff, v11
                                        ; implicit-def: $vgpr10
	v_cmp_ne_u64_e32 vcc_lo, 0x7f800000, v[12:13]
	v_lshrrev_b32_e32 v12, 24, v11
	s_and_saveexec_b32 s10, vcc_lo
	s_delay_alu instid0(SALU_CYCLE_1)
	s_xor_b32 s14, exec_lo, s10
	s_cbranch_execz .LBB4_2171
; %bb.2158:                             ;   in Loop: Header=BB4_129 Depth=2
	v_and_b32_e32 v16, 0x7fffffff, v11
	v_mov_b32_e32 v17, v55
	v_and_b32_e32 v14, 0x80, v12
                                        ; implicit-def: $vgpr10
	s_mov_b32 s10, exec_lo
	s_delay_alu instid0(VALU_DEP_2)
	v_cmpx_gt_u64_e32 0x47600001, v[16:17]
	s_xor_b32 s15, exec_lo, s10
	s_cbranch_execz .LBB4_2168
; %bb.2159:                             ;   in Loop: Header=BB4_129 Depth=2
	v_mov_b32_e32 v10, 0
	s_mov_b32 s42, exec_lo
	v_cmpx_ne_u32_e32 0, v11
	s_cbranch_execz .LBB4_2167
; %bb.2160:                             ;   in Loop: Header=BB4_129 Depth=2
	v_bfe_u32 v16, v11, 23, 8
	v_or_b32_e32 v12, 0x800000, v54
	s_delay_alu instid0(VALU_DEP_2) | instskip(SKIP_1) | instid1(VALU_DEP_2)
	v_sub_nc_u32_e32 v10, 0x71, v16
	v_cmp_gt_u32_e32 vcc_lo, 0x72, v16
	v_cndmask_b32_e32 v10, 0, v10, vcc_lo
	v_cmp_eq_u32_e32 vcc_lo, 0, v16
	s_delay_alu instid0(VALU_DEP_2) | instskip(NEXT) | instid1(VALU_DEP_1)
	v_cndmask_b32_e64 v17, v10, 0x70, vcc_lo
	v_dual_cndmask_b32 v54, v12, v54, vcc_lo :: v_dual_add_nc_u32 v10, 21, v17
	v_add_nc_u32_e32 v13, 20, v17
	s_delay_alu instid0(VALU_DEP_2) | instskip(NEXT) | instid1(VALU_DEP_2)
	v_lshlrev_b64_e64 v[10:11], v10, -1
	v_lshlrev_b64_e64 v[12:13], v13, 1
	s_delay_alu instid0(VALU_DEP_2) | instskip(NEXT) | instid1(VALU_DEP_3)
	v_bfi_b32 v73, v11, 0, 0
	v_bfi_b32 v72, v10, 0, v54
	v_lshrrev_b64 v[10:11], v17, v[54:55]
	s_delay_alu instid0(VALU_DEP_2) | instskip(NEXT) | instid1(VALU_DEP_2)
	v_cmp_eq_u64_e64 s10, v[72:73], v[12:13]
	v_mov_b64_e32 v[12:13], v[10:11]
	s_and_saveexec_b32 s43, s10
; %bb.2161:                             ;   in Loop: Header=BB4_129 Depth=2
	v_bfe_u32 v54, v10, 21, 1
	s_delay_alu instid0(VALU_DEP_1) | instskip(NEXT) | instid1(VALU_DEP_1)
	v_add_nc_u64_e32 v[12:13], v[10:11], v[54:55]
	v_add_nc_u64_e32 v[12:13], -1, v[12:13]
; %bb.2162:                             ;   in Loop: Header=BB4_129 Depth=2
	s_or_b32 exec_lo, exec_lo, s43
	v_add_nc_u32_e32 v11, 0xffffff81, v16
	v_lshrrev_b32_e32 v13, 23, v10
	s_mov_b32 s10, exec_lo
	s_delay_alu instid0(VALU_DEP_2) | instskip(NEXT) | instid1(VALU_DEP_1)
	v_cndmask_b32_e64 v11, v11, 0xffffff82, vcc_lo
	v_add3_u32 v13, v17, v11, v13
	v_and_b32_e32 v11, 0x1fffff, v12
                                        ; implicit-def: $vgpr12
	s_delay_alu instid0(VALU_DEP_1) | instskip(NEXT) | instid1(VALU_DEP_1)
	v_dual_add_nc_u32 v16, 14, v13 :: v_dual_add_nc_u32 v54, v11, v10
                                        ; implicit-def: $vgpr10_vgpr11
	v_cmpx_ne_u32_e32 0, v16
	s_xor_b32 s10, exec_lo, s10
; %bb.2163:                             ;   in Loop: Header=BB4_129 Depth=2
	s_delay_alu instid0(VALU_DEP_2) | instskip(SKIP_1) | instid1(VALU_DEP_1)
	v_cmp_lt_u64_e32 vcc_lo, 0xffffff, v[54:55]
	v_add_nc_u32_e32 v10, 15, v13
	v_cndmask_b32_e32 v12, v16, v10, vcc_lo
	v_cndmask_b32_e64 v10, 0, 1, vcc_lo
	s_delay_alu instid0(VALU_DEP_1)
	v_lshrrev_b64 v[10:11], v10, v[54:55]
; %bb.2164:                             ;   in Loop: Header=BB4_129 Depth=2
	s_and_not1_saveexec_b32 s10, s10
; %bb.2165:                             ;   in Loop: Header=BB4_129 Depth=2
	v_mov_b64_e32 v[10:11], v[54:55]
	v_bfe_u32 v12, v54, 23, 1
; %bb.2166:                             ;   in Loop: Header=BB4_129 Depth=2
	s_or_b32 exec_lo, exec_lo, s10
	s_delay_alu instid0(VALU_DEP_2) | instskip(NEXT) | instid1(VALU_DEP_2)
	v_lshrrev_b64 v[10:11], 21, v[10:11]
	v_cmp_gt_i32_e32 vcc_lo, 32, v12
	v_min_i32_e32 v13, 31, v12
	v_cmp_eq_u32_e64 s10, 0, v12
	s_delay_alu instid0(VALU_DEP_2) | instskip(SKIP_1) | instid1(VALU_DEP_2)
	v_dual_cndmask_b32 v11, 0, v11, vcc_lo :: v_dual_lshlrev_b32 v13, 2, v13
	v_cndmask_b32_e32 v10, 3, v10, vcc_lo
	v_and_b32_e32 v13, 0xfc, v13
	s_delay_alu instid0(VALU_DEP_2) | instskip(NEXT) | instid1(VALU_DEP_2)
	v_cmp_eq_u64_e32 vcc_lo, 0, v[10:11]
	v_and_or_b32 v10, v10, 3, v13
	s_and_b32 s10, s10, vcc_lo
	s_delay_alu instid0(VALU_DEP_1) | instid1(SALU_CYCLE_1)
	v_cndmask_b32_e64 v10, v10, 0, s10
	s_delay_alu instid0(VALU_DEP_1)
	v_or_b32_e32 v10, v10, v14
.LBB4_2167:                             ;   in Loop: Header=BB4_129 Depth=2
	s_or_b32 exec_lo, exec_lo, s42
                                        ; implicit-def: $vgpr14
.LBB4_2168:                             ;   in Loop: Header=BB4_129 Depth=2
	s_and_not1_saveexec_b32 s10, s15
; %bb.2169:                             ;   in Loop: Header=BB4_129 Depth=2
	v_or_b32_e32 v10, 0x7b, v14
; %bb.2170:                             ;   in Loop: Header=BB4_129 Depth=2
	s_or_b32 exec_lo, exec_lo, s10
                                        ; implicit-def: $vgpr11
                                        ; implicit-def: $vgpr12
.LBB4_2171:                             ;   in Loop: Header=BB4_129 Depth=2
	s_and_not1_saveexec_b32 s10, s14
	s_cbranch_execz .LBB4_128
; %bb.2172:                             ;   in Loop: Header=BB4_129 Depth=2
	s_mov_b32 s14, exec_lo
                                        ; implicit-def: $vgpr10
	v_cmpx_ne_u64_e32 0, v[54:55]
	s_xor_b32 s14, exec_lo, s14
; %bb.2173:                             ;   in Loop: Header=BB4_129 Depth=2
	v_or_b32_e32 v10, 0x7f, v12
                                        ; implicit-def: $vgpr11
; %bb.2174:                             ;   in Loop: Header=BB4_129 Depth=2
	s_and_not1_saveexec_b32 s14, s14
	s_cbranch_execz .LBB4_127
; %bb.2175:                             ;   in Loop: Header=BB4_129 Depth=2
	v_cmp_lt_i32_e32 vcc_lo, -1, v11
	v_cndmask_b32_e32 v10, 0xfc, v122, vcc_lo
	s_branch .LBB4_127
.LBB4_2176:                             ;   in Loop: Header=BB4_49 Depth=1
	s_or_b32 exec_lo, exec_lo, s12
.LBB4_2177:                             ;   in Loop: Header=BB4_49 Depth=1
	s_delay_alu instid0(SALU_CYCLE_1) | instskip(SKIP_4) | instid1(VALU_DEP_2)
	s_or_b32 exec_lo, exec_lo, s11
	v_and_b32_e32 v10, 0x3ffffc00, v123
	v_mov_b32_e32 v30, 0
	s_mov_b32 s10, 0
	s_mov_b32 s42, exec_lo
                                        ; implicit-def: $vgpr87
                                        ; implicit-def: $vgpr0
	v_cmpx_ne_u32_e64 v123, v10
	s_cbranch_execz .LBB4_3079
; %bb.2178:                             ;   in Loop: Header=BB4_49 Depth=1
	v_lshlrev_b32_e32 v0, 5, v97
	v_bfe_u32 v14, v123, 9, 1
	v_and_b32_e32 v13, 0x3ff, v123
	s_mov_b32 s43, exec_lo
	s_delay_alu instid0(VALU_DEP_3) | instskip(NEXT) | instid1(VALU_DEP_1)
	v_sub_nc_u32_e32 v0, v67, v0
	v_ashrrev_i32_e32 v3, 31, v0
	s_delay_alu instid0(VALU_DEP_1) | instskip(NEXT) | instid1(VALU_DEP_1)
	v_lshrrev_b32_e32 v3, 27, v3
	v_add_nc_u32_e32 v3, v0, v3
	s_delay_alu instid0(VALU_DEP_1) | instskip(SKIP_2) | instid1(VALU_DEP_3)
	v_and_b32_e32 v11, 0xffffffe0, v3
	v_ashrrev_i32_e32 v12, 5, v3
	v_and_b32_e32 v3, 0x1ff, v123
	v_sub_nc_u32_e32 v0, v0, v11
	s_delay_alu instid0(VALU_DEP_2) | instskip(NEXT) | instid1(VALU_DEP_2)
	v_cmp_lt_u32_e64 s10, 15, v3
	v_lshlrev_b32_e32 v11, 4, v0
	s_delay_alu instid0(VALU_DEP_2) | instskip(NEXT) | instid1(VALU_DEP_2)
	v_add_co_ci_u32_e64 v14, null, 0, v14, s10
	v_lshl_add_u32 v11, v12, 9, v11
	s_delay_alu instid0(VALU_DEP_1) | instskip(NEXT) | instid1(VALU_DEP_1)
	v_dual_sub_nc_u32 v30, v14, v12 :: v_dual_sub_nc_u32 v87, v13, v11
	v_cmpx_lt_i32_e32 15, v87
	s_cbranch_execz .LBB4_3078
; %bb.2179:                             ;   in Loop: Header=BB4_49 Depth=1
	s_trap 2
	ds_load_b64 v[12:13], v0
	v_add_nc_u32_e32 v10, v11, v10
	s_bitcmp1_b32 s41, 0
	s_mov_b32 s44, 0
	s_cselect_b32 s45, -1, 0
	s_delay_alu instid0(VALU_DEP_1) | instskip(NEXT) | instid1(VALU_DEP_1)
	v_ashrrev_i32_e32 v11, 31, v10
	v_add_nc_u64_e32 v[18:19], v[10:11], v[98:99]
	v_add_nc_u64_e32 v[22:23], v[10:11], v[100:101]
	s_wait_dscnt 0x0
	v_add_nc_u64_e32 v[20:21], v[12:13], v[10:11]
	s_branch .LBB4_2182
.LBB4_2180:                             ;   in Loop: Header=BB4_2182 Depth=2
	s_or_b32 exec_lo, exec_lo, s12
.LBB4_2181:                             ;   in Loop: Header=BB4_2182 Depth=2
	s_delay_alu instid0(SALU_CYCLE_1)
	s_or_b32 exec_lo, exec_lo, s11
	v_lshl_or_b32 v11, v112, 8, v117
	v_dual_lshlrev_b32 v12, 16, v102 :: v_dual_lshlrev_b32 v13, 24, v103
	v_lshl_or_b32 v15, v114, 8, v97
	v_dual_lshlrev_b32 v16, 16, v115 :: v_dual_lshlrev_b32 v17, 24, v116
	;; [unrolled: 2-line block ×3, first 2 shown]
	v_dual_lshlrev_b32 v83, 24, v10 :: v_dual_sub_nc_u32 v30, v30, v64
	v_lshlrev_b32_e32 v14, 16, v14
	v_lshl_or_b32 v24, v24, 8, v41
	v_or3_b32 v11, v11, v12, v13
	v_or3_b32 v10, v15, v16, v17
	;; [unrolled: 1-line block ×3, first 2 shown]
	v_sub_nc_u32_e32 v87, v87, v70
	v_or3_b32 v13, v24, v14, v83
	v_add_nc_u64_e32 v[18:19], v[18:19], v[70:71]
	v_add_nc_u64_e32 v[20:21], v[20:21], v[70:71]
	s_delay_alu instid0(VALU_DEP_4) | instskip(SKIP_4) | instid1(SALU_CYCLE_1)
	v_cmp_gt_i32_e32 vcc_lo, 16, v87
	global_store_b128 v[22:23], v[10:13], off th:TH_STORE_NT
	s_wait_xcnt 0x0
	v_add_nc_u64_e32 v[22:23], v[22:23], v[70:71]
	s_or_b32 s44, vcc_lo, s44
	s_and_not1_b32 exec_lo, exec_lo, s44
	s_cbranch_execz .LBB4_3077
.LBB4_2182:                             ;   Parent Loop BB4_49 Depth=1
                                        ; =>  This Inner Loop Header: Depth=2
	global_load_b128 v[14:17], v[20:21], off th:TH_LOAD_NT
	global_load_b128 v[10:13], v[18:19], off th:TH_LOAD_NT
	s_mov_b32 s14, -1
	s_wait_loadcnt 0x1
	v_dual_lshlrev_b32 v83, 24, v14 :: v_dual_bitop2_b32 v24, 3, v14 bitop3:0x40
	v_bfe_i32 v112, v14, 0, 8
	v_and_b32_e32 v54, 0x7c, v14
	s_wait_loadcnt 0x0
	v_and_b32_e32 v97, 0xff, v10
	v_clz_i32_u32_e32 v25, v24
	v_bfe_i32 v113, v10, 0, 8
	v_cmp_lt_i16_e32 vcc_lo, -1, v112
	v_cmp_eq_u32_e64 s11, 0x7c, v54
	v_and_or_b32 v54, 0x80000000, v83, s28
	v_min_u32_e32 v82, 32, v25
	v_bfe_u32 v25, v14, 2, 5
	v_cndmask_b32_e32 v103, 0xff800000, v126, vcc_lo
	v_cmp_eq_u32_e32 vcc_lo, 0, v24
	v_cmp_ne_u16_e64 s13, 0, v97
	v_subrev_nc_u32_e32 v102, 29, v82
	v_cmp_eq_u32_e64 s12, 0, v25
	v_cndmask_b32_e32 v97, 0x7f800001, v103, vcc_lo
	s_and_b32 vcc_lo, exec_lo, s45
	v_lshlrev_b64_e32 v[114:115], v102, v[14:15]
	v_sub_nc_u32_e32 v102, 30, v82
	s_delay_alu instid0(VALU_DEP_2)
	v_and_b32_e32 v103, 3, v114
                                        ; implicit-def: $vgpr114
	s_cbranch_vccz .LBB4_2200
; %bb.2183:                             ;   in Loop: Header=BB4_2182 Depth=2
	v_mov_b32_e32 v114, 0
	s_wait_xcnt 0x0
	s_and_saveexec_b32 s14, s13
	s_cbranch_execz .LBB4_2193
; %bb.2184:                             ;   in Loop: Header=BB4_2182 Depth=2
	v_bfrev_b32_e32 v114, 1
	s_mov_b32 s15, exec_lo
	v_cmpx_ne_u16_e32 0xff80, v113
	s_cbranch_execz .LBB4_2192
; %bb.2185:                             ;   in Loop: Header=BB4_2182 Depth=2
	v_and_b32_e32 v82, 0x7c, v10
	v_and_b32_e32 v115, 3, v10
	s_mov_b32 s46, exec_lo
                                        ; implicit-def: $vgpr114
	s_delay_alu instid0(VALU_DEP_2)
	v_cmpx_ne_u32_e32 0x7c, v82
	s_xor_b32 s46, exec_lo, s46
	s_cbranch_execz .LBB4_2189
; %bb.2186:                             ;   in Loop: Header=BB4_2182 Depth=2
	v_bfe_u32 v114, v10, 2, 5
	s_mov_b32 s47, exec_lo
	s_delay_alu instid0(VALU_DEP_1)
	v_cmpx_eq_u32_e32 0, v114
; %bb.2187:                             ;   in Loop: Header=BB4_2182 Depth=2
	v_clz_i32_u32_e32 v82, v115
	s_delay_alu instid0(VALU_DEP_1) | instskip(NEXT) | instid1(VALU_DEP_1)
	v_min_u32_e32 v82, 32, v82
	v_subrev_nc_u32_e32 v83, 29, v82
	s_delay_alu instid0(VALU_DEP_1) | instskip(NEXT) | instid1(VALU_DEP_1)
	v_lshlrev_b64_e32 v[116:117], v83, v[10:11]
	v_dual_sub_nc_u32 v114, 30, v82 :: v_dual_bitop2_b32 v115, 3, v116 bitop3:0x40
; %bb.2188:                             ;   in Loop: Header=BB4_2182 Depth=2
	s_or_b32 exec_lo, exec_lo, s47
	v_lshlrev_b32_e32 v82, 24, v10
	s_delay_alu instid0(VALU_DEP_1) | instskip(NEXT) | instid1(VALU_DEP_1)
	v_and_b32_e32 v82, 0x80000000, v82
	v_lshl_add_u32 v82, v114, 23, v82
	s_delay_alu instid0(VALU_DEP_1) | instskip(NEXT) | instid1(VALU_DEP_1)
	v_lshl_or_b32 v82, v115, 21, v82
                                        ; implicit-def: $vgpr115
	v_add_nc_u32_e32 v114, 0x38000000, v82
.LBB4_2189:                             ;   in Loop: Header=BB4_2182 Depth=2
	s_and_not1_saveexec_b32 s46, s46
; %bb.2190:                             ;   in Loop: Header=BB4_2182 Depth=2
	v_cmp_lt_i16_e32 vcc_lo, -1, v113
	v_cndmask_b32_e32 v82, 0xff800000, v126, vcc_lo
	v_cmp_eq_u32_e32 vcc_lo, 0, v115
	s_delay_alu instid0(VALU_DEP_2)
	v_cndmask_b32_e32 v114, 0x7f800001, v82, vcc_lo
; %bb.2191:                             ;   in Loop: Header=BB4_2182 Depth=2
	s_or_b32 exec_lo, exec_lo, s46
.LBB4_2192:                             ;   in Loop: Header=BB4_2182 Depth=2
	s_delay_alu instid0(SALU_CYCLE_1)
	s_or_b32 exec_lo, exec_lo, s15
.LBB4_2193:                             ;   in Loop: Header=BB4_2182 Depth=2
	s_delay_alu instid0(SALU_CYCLE_1) | instskip(SKIP_3) | instid1(VALU_DEP_1)
	s_or_b32 exec_lo, exec_lo, s14
	v_and_b32_e32 v116, 0xff, v112
	s_mov_b32 s14, 0
	s_mov_b32 s15, exec_lo
	v_cmpx_lt_i16_e32 0x7f, v116
	s_xor_b32 s15, exec_lo, s15
	s_cbranch_execz .LBB4_3029
; %bb.2194:                             ;   in Loop: Header=BB4_2182 Depth=2
	s_mov_b32 s14, -1
	s_mov_b32 s46, exec_lo
	v_cmpx_eq_u16_e32 0x80, v116
; %bb.2195:                             ;   in Loop: Header=BB4_2182 Depth=2
	s_xor_b32 s14, exec_lo, -1
; %bb.2196:                             ;   in Loop: Header=BB4_2182 Depth=2
	s_or_b32 exec_lo, exec_lo, s46
	s_delay_alu instid0(SALU_CYCLE_1)
	s_and_b32 s14, s14, exec_lo
                                        ; implicit-def: $vgpr116
	s_or_saveexec_b32 s15, s15
	v_bfrev_b32_e32 v115, 1
	s_xor_b32 exec_lo, exec_lo, s15
	s_cbranch_execnz .LBB4_3030
.LBB4_2197:                             ;   in Loop: Header=BB4_2182 Depth=2
	s_or_b32 exec_lo, exec_lo, s15
	s_and_saveexec_b32 s15, s14
.LBB4_2198:                             ;   in Loop: Header=BB4_2182 Depth=2
	v_dual_cndmask_b32 v82, v25, v102, s12 :: v_dual_cndmask_b32 v83, v24, v103, s12
	s_delay_alu instid0(VALU_DEP_1) | instskip(NEXT) | instid1(VALU_DEP_1)
	v_lshl_add_u32 v82, v82, 23, v54
	v_lshl_or_b32 v82, v83, 21, v82
	s_delay_alu instid0(VALU_DEP_1)
	v_cndmask_b32_e64 v115, v82, v97, s11
.LBB4_2199:                             ;   in Loop: Header=BB4_2182 Depth=2
	s_or_b32 exec_lo, exec_lo, s15
	s_delay_alu instid0(VALU_DEP_1) | instskip(SKIP_1) | instid1(VALU_DEP_1)
	v_dual_max_num_f32 v82, v115, v115 :: v_dual_max_num_f32 v83, v114, v114
	s_mov_b32 s14, 0
	v_max_num_f32_e32 v114, v83, v82
.LBB4_2200:                             ;   in Loop: Header=BB4_2182 Depth=2
	s_and_b32 vcc_lo, exec_lo, s14
	s_cbranch_vccz .LBB4_2218
; %bb.2201:                             ;   in Loop: Header=BB4_2182 Depth=2
	v_mov_b32_e32 v114, 0
	s_wait_xcnt 0x0
	s_and_saveexec_b32 s14, s13
	s_cbranch_execz .LBB4_2211
; %bb.2202:                             ;   in Loop: Header=BB4_2182 Depth=2
	v_bfrev_b32_e32 v114, 1
	s_mov_b32 s13, exec_lo
	v_cmpx_ne_u16_e32 0xff80, v113
	s_cbranch_execz .LBB4_2210
; %bb.2203:                             ;   in Loop: Header=BB4_2182 Depth=2
	v_and_b32_e32 v82, 0x7c, v10
	v_and_b32_e32 v115, 3, v10
	s_mov_b32 s15, exec_lo
                                        ; implicit-def: $vgpr114
	s_delay_alu instid0(VALU_DEP_2)
	v_cmpx_ne_u32_e32 0x7c, v82
	s_xor_b32 s15, exec_lo, s15
	s_cbranch_execz .LBB4_2207
; %bb.2204:                             ;   in Loop: Header=BB4_2182 Depth=2
	v_bfe_u32 v113, v10, 2, 5
	s_mov_b32 s46, exec_lo
	s_delay_alu instid0(VALU_DEP_1)
	v_cmpx_eq_u32_e32 0, v113
; %bb.2205:                             ;   in Loop: Header=BB4_2182 Depth=2
	v_clz_i32_u32_e32 v82, v115
	s_delay_alu instid0(VALU_DEP_1) | instskip(NEXT) | instid1(VALU_DEP_1)
	v_min_u32_e32 v82, 32, v82
	v_subrev_nc_u32_e32 v83, 29, v82
	v_sub_nc_u32_e32 v113, 30, v82
	s_delay_alu instid0(VALU_DEP_2) | instskip(NEXT) | instid1(VALU_DEP_1)
	v_lshlrev_b64_e32 v[114:115], v83, v[10:11]
	v_and_b32_e32 v115, 3, v114
; %bb.2206:                             ;   in Loop: Header=BB4_2182 Depth=2
	s_or_b32 exec_lo, exec_lo, s46
	v_lshlrev_b32_e32 v82, 24, v10
	s_delay_alu instid0(VALU_DEP_1) | instskip(NEXT) | instid1(VALU_DEP_1)
	v_and_b32_e32 v82, 0x80000000, v82
	v_lshl_add_u32 v82, v113, 23, v82
                                        ; implicit-def: $vgpr113
	s_delay_alu instid0(VALU_DEP_1) | instskip(NEXT) | instid1(VALU_DEP_1)
	v_lshl_or_b32 v82, v115, 21, v82
                                        ; implicit-def: $vgpr115
	v_add_nc_u32_e32 v114, 0x38000000, v82
.LBB4_2207:                             ;   in Loop: Header=BB4_2182 Depth=2
	s_and_not1_saveexec_b32 s15, s15
; %bb.2208:                             ;   in Loop: Header=BB4_2182 Depth=2
	v_cmp_lt_i16_e32 vcc_lo, -1, v113
	v_cndmask_b32_e32 v82, 0xff800000, v126, vcc_lo
	v_cmp_eq_u32_e32 vcc_lo, 0, v115
	s_delay_alu instid0(VALU_DEP_2)
	v_cndmask_b32_e32 v114, 0x7f800001, v82, vcc_lo
; %bb.2209:                             ;   in Loop: Header=BB4_2182 Depth=2
	s_or_b32 exec_lo, exec_lo, s15
.LBB4_2210:                             ;   in Loop: Header=BB4_2182 Depth=2
	s_delay_alu instid0(SALU_CYCLE_1)
	s_or_b32 exec_lo, exec_lo, s13
.LBB4_2211:                             ;   in Loop: Header=BB4_2182 Depth=2
	s_delay_alu instid0(SALU_CYCLE_1) | instskip(SKIP_3) | instid1(VALU_DEP_1)
	s_or_b32 exec_lo, exec_lo, s14
	v_and_b32_e32 v113, 0xff, v112
	s_mov_b32 s13, 0
	s_mov_b32 s14, exec_lo
	v_cmpx_lt_i16_e32 0x7f, v113
	s_xor_b32 s14, exec_lo, s14
	s_cbranch_execz .LBB4_3031
; %bb.2212:                             ;   in Loop: Header=BB4_2182 Depth=2
	s_mov_b32 s13, -1
	s_mov_b32 s15, exec_lo
	v_cmpx_eq_u16_e32 0x80, v113
; %bb.2213:                             ;   in Loop: Header=BB4_2182 Depth=2
	s_xor_b32 s13, exec_lo, -1
; %bb.2214:                             ;   in Loop: Header=BB4_2182 Depth=2
	s_or_b32 exec_lo, exec_lo, s15
	s_delay_alu instid0(SALU_CYCLE_1)
	s_and_b32 s13, s13, exec_lo
                                        ; implicit-def: $vgpr113
	s_or_saveexec_b32 s14, s14
	v_bfrev_b32_e32 v112, 1
	s_xor_b32 exec_lo, exec_lo, s14
	s_cbranch_execnz .LBB4_3032
.LBB4_2215:                             ;   in Loop: Header=BB4_2182 Depth=2
	s_or_b32 exec_lo, exec_lo, s14
	s_and_saveexec_b32 s14, s13
.LBB4_2216:                             ;   in Loop: Header=BB4_2182 Depth=2
	v_dual_cndmask_b32 v25, v25, v102, s12 :: v_dual_cndmask_b32 v24, v24, v103, s12
	s_delay_alu instid0(VALU_DEP_1) | instskip(NEXT) | instid1(VALU_DEP_1)
	v_lshl_add_u32 v25, v25, 23, v54
	v_lshl_or_b32 v24, v24, 21, v25
	s_delay_alu instid0(VALU_DEP_1)
	v_cndmask_b32_e64 v112, v24, v97, s11
.LBB4_2217:                             ;   in Loop: Header=BB4_2182 Depth=2
	s_or_b32 exec_lo, exec_lo, s14
	s_delay_alu instid0(VALU_DEP_1) | instskip(NEXT) | instid1(VALU_DEP_1)
	v_dual_max_num_f32 v24, v112, v112 :: v_dual_max_num_f32 v25, v114, v114
	v_min_num_f32_e32 v114, v25, v24
.LBB4_2218:                             ;   in Loop: Header=BB4_2182 Depth=2
	s_delay_alu instid0(VALU_DEP_1) | instskip(SKIP_2) | instid1(VALU_DEP_2)
	v_and_b32_e32 v24, 0x7f800000, v114
	v_mov_b32_e32 v25, v55
	v_and_b32_e32 v54, 0x7fffff, v114
                                        ; implicit-def: $vgpr97
	v_cmp_ne_u64_e32 vcc_lo, 0x7f800000, v[24:25]
	v_lshrrev_b32_e32 v24, 24, v114
	s_wait_xcnt 0x0
	s_and_saveexec_b32 s11, vcc_lo
	s_delay_alu instid0(SALU_CYCLE_1)
	s_xor_b32 s12, exec_lo, s11
	s_cbranch_execz .LBB4_2232
; %bb.2219:                             ;   in Loop: Header=BB4_2182 Depth=2
	v_and_b32_e32 v102, 0x7fffffff, v114
	v_mov_b32_e32 v103, v55
	v_and_b32_e32 v112, 0x80, v24
                                        ; implicit-def: $vgpr97
	s_mov_b32 s11, exec_lo
	s_delay_alu instid0(VALU_DEP_2)
	v_cmpx_gt_u64_e32 0x47600001, v[102:103]
	s_xor_b32 s13, exec_lo, s11
	s_cbranch_execz .LBB4_2229
; %bb.2220:                             ;   in Loop: Header=BB4_2182 Depth=2
	v_mov_b32_e32 v97, 0
	s_mov_b32 s14, exec_lo
	v_cmpx_ne_u32_e32 0, v114
	s_cbranch_execz .LBB4_2228
; %bb.2221:                             ;   in Loop: Header=BB4_2182 Depth=2
	v_bfe_u32 v97, v114, 23, 8
	v_or_b32_e32 v82, 0x800000, v54
	s_delay_alu instid0(VALU_DEP_2) | instskip(SKIP_1) | instid1(VALU_DEP_2)
	v_sub_nc_u32_e32 v24, 0x71, v97
	v_cmp_gt_u32_e32 vcc_lo, 0x72, v97
	v_cndmask_b32_e32 v24, 0, v24, vcc_lo
	v_cmp_eq_u32_e32 vcc_lo, 0, v97
	s_delay_alu instid0(VALU_DEP_2) | instskip(NEXT) | instid1(VALU_DEP_1)
	v_cndmask_b32_e64 v113, v24, 0x70, vcc_lo
	v_dual_cndmask_b32 v54, v82, v54, vcc_lo :: v_dual_add_nc_u32 v24, 21, v113
	v_add_nc_u32_e32 v83, 20, v113
	s_delay_alu instid0(VALU_DEP_2) | instskip(NEXT) | instid1(VALU_DEP_2)
	v_lshlrev_b64_e64 v[24:25], v24, -1
	v_lshlrev_b64_e64 v[102:103], v83, 1
	s_delay_alu instid0(VALU_DEP_2) | instskip(NEXT) | instid1(VALU_DEP_3)
	v_bfi_b32 v115, v25, 0, 0
	v_bfi_b32 v114, v24, 0, v54
	v_lshrrev_b64 v[24:25], v113, v[54:55]
	s_delay_alu instid0(VALU_DEP_2) | instskip(NEXT) | instid1(VALU_DEP_2)
	v_cmp_eq_u64_e64 s11, v[114:115], v[102:103]
	v_mov_b64_e32 v[102:103], v[24:25]
	s_and_saveexec_b32 s15, s11
; %bb.2222:                             ;   in Loop: Header=BB4_2182 Depth=2
	v_bfe_u32 v54, v24, 21, 1
	s_delay_alu instid0(VALU_DEP_1) | instskip(NEXT) | instid1(VALU_DEP_1)
	v_add_nc_u64_e32 v[102:103], v[24:25], v[54:55]
	v_add_nc_u64_e32 v[102:103], -1, v[102:103]
; %bb.2223:                             ;   in Loop: Header=BB4_2182 Depth=2
	s_or_b32 exec_lo, exec_lo, s15
	v_add_nc_u32_e32 v25, 0xffffff81, v97
	v_lshrrev_b32_e32 v54, 23, v24
	s_mov_b32 s11, exec_lo
                                        ; implicit-def: $vgpr97
	s_delay_alu instid0(VALU_DEP_2) | instskip(NEXT) | instid1(VALU_DEP_1)
	v_cndmask_b32_e64 v25, v25, 0xffffff82, vcc_lo
	v_add3_u32 v103, v113, v25, v54
	v_and_b32_e32 v25, 0x1fffff, v102
	s_delay_alu instid0(VALU_DEP_1) | instskip(NEXT) | instid1(VALU_DEP_1)
	v_dual_add_nc_u32 v102, 14, v103 :: v_dual_add_nc_u32 v54, v25, v24
                                        ; implicit-def: $vgpr24_vgpr25
	v_cmpx_ne_u32_e32 0, v102
	s_xor_b32 s11, exec_lo, s11
; %bb.2224:                             ;   in Loop: Header=BB4_2182 Depth=2
	s_delay_alu instid0(VALU_DEP_2) | instskip(SKIP_1) | instid1(VALU_DEP_1)
	v_cmp_lt_u64_e32 vcc_lo, 0xffffff, v[54:55]
	v_add_nc_u32_e32 v24, 15, v103
	v_cndmask_b32_e32 v97, v102, v24, vcc_lo
	v_cndmask_b32_e64 v24, 0, 1, vcc_lo
	s_delay_alu instid0(VALU_DEP_1)
	v_lshrrev_b64 v[24:25], v24, v[54:55]
; %bb.2225:                             ;   in Loop: Header=BB4_2182 Depth=2
	s_and_not1_saveexec_b32 s11, s11
; %bb.2226:                             ;   in Loop: Header=BB4_2182 Depth=2
	v_mov_b64_e32 v[24:25], v[54:55]
	v_bfe_u32 v97, v54, 23, 1
; %bb.2227:                             ;   in Loop: Header=BB4_2182 Depth=2
	s_or_b32 exec_lo, exec_lo, s11
	s_delay_alu instid0(VALU_DEP_2) | instskip(NEXT) | instid1(VALU_DEP_2)
	v_lshrrev_b64 v[24:25], 21, v[24:25]
	v_cmp_gt_i32_e32 vcc_lo, 32, v97
	v_min_i32_e32 v54, 31, v97
	v_cmp_eq_u32_e64 s11, 0, v97
	s_delay_alu instid0(VALU_DEP_2) | instskip(SKIP_1) | instid1(VALU_DEP_2)
	v_dual_cndmask_b32 v24, 3, v24, vcc_lo :: v_dual_lshlrev_b32 v54, 2, v54
	v_cndmask_b32_e32 v25, 0, v25, vcc_lo
	v_and_b32_e32 v54, 0xfc, v54
	s_delay_alu instid0(VALU_DEP_2) | instskip(NEXT) | instid1(VALU_DEP_2)
	v_cmp_eq_u64_e32 vcc_lo, 0, v[24:25]
	v_and_or_b32 v24, v24, 3, v54
	s_and_b32 s11, s11, vcc_lo
	s_delay_alu instid0(VALU_DEP_1) | instid1(SALU_CYCLE_1)
	v_cndmask_b32_e64 v24, v24, 0, s11
	s_delay_alu instid0(VALU_DEP_1)
	v_or_b32_e32 v97, v24, v112
.LBB4_2228:                             ;   in Loop: Header=BB4_2182 Depth=2
	s_or_b32 exec_lo, exec_lo, s14
                                        ; implicit-def: $vgpr112
.LBB4_2229:                             ;   in Loop: Header=BB4_2182 Depth=2
	s_and_not1_saveexec_b32 s11, s13
; %bb.2230:                             ;   in Loop: Header=BB4_2182 Depth=2
	v_or_b32_e32 v97, 0x7b, v112
; %bb.2231:                             ;   in Loop: Header=BB4_2182 Depth=2
	s_or_b32 exec_lo, exec_lo, s11
                                        ; implicit-def: $vgpr114
                                        ; implicit-def: $vgpr24
.LBB4_2232:                             ;   in Loop: Header=BB4_2182 Depth=2
	s_and_not1_saveexec_b32 s11, s12
	s_cbranch_execz .LBB4_2238
; %bb.2233:                             ;   in Loop: Header=BB4_2182 Depth=2
	s_mov_b32 s12, exec_lo
                                        ; implicit-def: $vgpr97
	v_cmpx_ne_u64_e32 0, v[54:55]
	s_xor_b32 s12, exec_lo, s12
; %bb.2234:                             ;   in Loop: Header=BB4_2182 Depth=2
	v_or_b32_e32 v97, 0x7f, v24
                                        ; implicit-def: $vgpr114
; %bb.2235:                             ;   in Loop: Header=BB4_2182 Depth=2
	s_and_not1_saveexec_b32 s12, s12
; %bb.2236:                             ;   in Loop: Header=BB4_2182 Depth=2
	v_cmp_lt_i32_e32 vcc_lo, -1, v114
	v_cndmask_b32_e32 v97, 0xfc, v122, vcc_lo
; %bb.2237:                             ;   in Loop: Header=BB4_2182 Depth=2
	s_or_b32 exec_lo, exec_lo, s12
.LBB4_2238:                             ;   in Loop: Header=BB4_2182 Depth=2
	s_delay_alu instid0(SALU_CYCLE_1) | instskip(SKIP_3) | instid1(VALU_DEP_2)
	s_or_b32 exec_lo, exec_lo, s11
	v_lshrrev_b16 v54, 8, v14
	v_cmp_lt_i16_e32 vcc_lo, -1, v14
	s_mov_b32 s14, -1
	v_and_b32_e32 v25, 0xffff, v54
	v_cndmask_b32_e32 v83, 0xff800000, v126, vcc_lo
	s_delay_alu instid0(VALU_DEP_2) | instskip(SKIP_2) | instid1(VALU_DEP_3)
	v_dual_lshlrev_b32 v112, 24, v54 :: v_dual_bitop2_b32 v102, 3, v25 bitop3:0x40
	v_and_b32_e32 v114, 0x7c, v25
	v_bfe_u32 v103, v25, 2, 5
                                        ; implicit-def: $vgpr25
	v_and_or_b32 v112, 0x80000000, v112, s28
	s_delay_alu instid0(VALU_DEP_4) | instskip(SKIP_3) | instid1(VALU_DEP_4)
	v_clz_i32_u32_e32 v24, v102
	v_cmp_eq_u32_e32 vcc_lo, 0, v102
	v_cmp_eq_u32_e64 s11, 0x7c, v114
	v_cmp_eq_u32_e64 s12, 0, v103
	v_min_u32_e32 v82, 32, v24
	v_lshrrev_b16 v24, 8, v10
	s_delay_alu instid0(VALU_DEP_2) | instskip(NEXT) | instid1(VALU_DEP_2)
	v_subrev_nc_u32_e32 v113, 29, v82
	v_and_b32_e32 v116, 0xffff, v24
	v_cmp_ne_u16_e64 s13, 0, v24
	v_sub_nc_u32_e32 v114, 30, v82
	s_delay_alu instid0(VALU_DEP_4) | instskip(SKIP_2) | instid1(VALU_DEP_2)
	v_lshlrev_b64_e32 v[118:119], v113, v[54:55]
	v_cndmask_b32_e32 v113, 0x7f800001, v83, vcc_lo
	s_and_b32 vcc_lo, exec_lo, s45
	v_and_b32_e32 v115, 3, v118
	s_cbranch_vccz .LBB4_2256
; %bb.2239:                             ;   in Loop: Header=BB4_2182 Depth=2
	v_mov_b32_e32 v25, 0
	s_and_saveexec_b32 s14, s13
	s_cbranch_execz .LBB4_2249
; %bb.2240:                             ;   in Loop: Header=BB4_2182 Depth=2
	v_bfrev_b32_e32 v25, 1
	s_mov_b32 s15, exec_lo
	v_cmpx_ne_u16_e32 0x80, v24
	s_cbranch_execz .LBB4_2248
; %bb.2241:                             ;   in Loop: Header=BB4_2182 Depth=2
	v_and_b32_e32 v25, 0x7c, v116
	v_and_b32_e32 v117, 3, v116
	s_delay_alu instid0(VALU_DEP_2) | instskip(SKIP_1) | instid1(SALU_CYCLE_1)
	v_cmp_ne_u32_e32 vcc_lo, 0x7c, v25
                                        ; implicit-def: $vgpr25
	s_and_saveexec_b32 s46, vcc_lo
	s_xor_b32 s46, exec_lo, s46
	s_cbranch_execz .LBB4_2245
; %bb.2242:                             ;   in Loop: Header=BB4_2182 Depth=2
	v_bfe_u32 v25, v116, 2, 5
	s_mov_b32 s47, exec_lo
	s_delay_alu instid0(VALU_DEP_1)
	v_cmpx_eq_u32_e32 0, v25
	s_cbranch_execz .LBB4_2244
; %bb.2243:                             ;   in Loop: Header=BB4_2182 Depth=2
	v_clz_i32_u32_e32 v25, v117
	s_delay_alu instid0(VALU_DEP_1) | instskip(SKIP_1) | instid1(VALU_DEP_2)
	v_min_u32_e32 v82, 32, v25
	v_mov_b32_e32 v25, v55
	v_subrev_nc_u32_e32 v83, 29, v82
	s_delay_alu instid0(VALU_DEP_1) | instskip(SKIP_1) | instid1(VALU_DEP_2)
	v_lshlrev_b64_e32 v[118:119], v83, v[24:25]
	v_sub_nc_u32_e32 v25, 30, v82
	v_and_b32_e32 v117, 3, v118
.LBB4_2244:                             ;   in Loop: Header=BB4_2182 Depth=2
	s_or_b32 exec_lo, exec_lo, s47
	v_lshlrev_b32_e32 v82, 16, v10
	s_delay_alu instid0(VALU_DEP_1) | instskip(NEXT) | instid1(VALU_DEP_1)
	v_and_b32_e32 v82, 0x80000000, v82
	v_lshl_add_u32 v25, v25, 23, v82
	s_delay_alu instid0(VALU_DEP_1) | instskip(NEXT) | instid1(VALU_DEP_1)
	v_lshl_or_b32 v25, v117, 21, v25
                                        ; implicit-def: $vgpr117
	v_add_nc_u32_e32 v25, 0x38000000, v25
.LBB4_2245:                             ;   in Loop: Header=BB4_2182 Depth=2
	s_and_not1_saveexec_b32 s46, s46
; %bb.2246:                             ;   in Loop: Header=BB4_2182 Depth=2
	v_cmp_lt_i16_e32 vcc_lo, -1, v10
	v_cndmask_b32_e32 v25, 0xff800000, v126, vcc_lo
	v_cmp_eq_u32_e32 vcc_lo, 0, v117
	s_delay_alu instid0(VALU_DEP_2)
	v_cndmask_b32_e32 v25, 0x7f800001, v25, vcc_lo
; %bb.2247:                             ;   in Loop: Header=BB4_2182 Depth=2
	s_or_b32 exec_lo, exec_lo, s46
.LBB4_2248:                             ;   in Loop: Header=BB4_2182 Depth=2
	s_delay_alu instid0(SALU_CYCLE_1)
	s_or_b32 exec_lo, exec_lo, s15
.LBB4_2249:                             ;   in Loop: Header=BB4_2182 Depth=2
	s_delay_alu instid0(SALU_CYCLE_1)
	s_or_b32 exec_lo, exec_lo, s14
	s_mov_b32 s14, 0
	s_mov_b32 s15, exec_lo
	v_cmpx_lt_i16_e32 0x7f, v54
	s_xor_b32 s15, exec_lo, s15
	s_cbranch_execz .LBB4_3033
; %bb.2250:                             ;   in Loop: Header=BB4_2182 Depth=2
	s_mov_b32 s14, -1
	s_mov_b32 s46, exec_lo
	v_cmpx_eq_u16_e32 0x80, v54
; %bb.2251:                             ;   in Loop: Header=BB4_2182 Depth=2
	s_xor_b32 s14, exec_lo, -1
; %bb.2252:                             ;   in Loop: Header=BB4_2182 Depth=2
	s_or_b32 exec_lo, exec_lo, s46
	s_delay_alu instid0(SALU_CYCLE_1)
	s_and_b32 s14, s14, exec_lo
	s_or_saveexec_b32 s15, s15
	v_bfrev_b32_e32 v117, 1
	s_xor_b32 exec_lo, exec_lo, s15
	s_cbranch_execnz .LBB4_3034
.LBB4_2253:                             ;   in Loop: Header=BB4_2182 Depth=2
	s_or_b32 exec_lo, exec_lo, s15
	s_and_saveexec_b32 s15, s14
.LBB4_2254:                             ;   in Loop: Header=BB4_2182 Depth=2
	v_dual_cndmask_b32 v82, v103, v114, s12 :: v_dual_cndmask_b32 v83, v102, v115, s12
	s_delay_alu instid0(VALU_DEP_1) | instskip(NEXT) | instid1(VALU_DEP_1)
	v_lshl_add_u32 v82, v82, 23, v112
	v_lshl_or_b32 v82, v83, 21, v82
	s_delay_alu instid0(VALU_DEP_1)
	v_cndmask_b32_e64 v117, v82, v113, s11
.LBB4_2255:                             ;   in Loop: Header=BB4_2182 Depth=2
	s_or_b32 exec_lo, exec_lo, s15
	s_delay_alu instid0(VALU_DEP_1) | instskip(SKIP_2) | instid1(VALU_DEP_1)
	v_max_num_f32_e32 v82, v117, v117
	v_max_num_f32_e32 v25, v25, v25
	s_mov_b32 s14, 0
	v_max_num_f32_e32 v25, v25, v82
.LBB4_2256:                             ;   in Loop: Header=BB4_2182 Depth=2
	s_and_b32 vcc_lo, exec_lo, s14
	s_cbranch_vccz .LBB4_2274
; %bb.2257:                             ;   in Loop: Header=BB4_2182 Depth=2
	v_mov_b32_e32 v25, 0
	s_and_saveexec_b32 s14, s13
	s_cbranch_execz .LBB4_2267
; %bb.2258:                             ;   in Loop: Header=BB4_2182 Depth=2
	v_bfrev_b32_e32 v25, 1
	s_mov_b32 s13, exec_lo
	v_cmpx_ne_u16_e32 0x80, v24
	s_cbranch_execz .LBB4_2266
; %bb.2259:                             ;   in Loop: Header=BB4_2182 Depth=2
	v_and_b32_e32 v25, 0x7c, v116
	v_and_b32_e32 v117, 3, v116
	s_delay_alu instid0(VALU_DEP_2) | instskip(SKIP_1) | instid1(SALU_CYCLE_1)
	v_cmp_ne_u32_e32 vcc_lo, 0x7c, v25
                                        ; implicit-def: $vgpr25
	s_and_saveexec_b32 s15, vcc_lo
	s_xor_b32 s15, exec_lo, s15
	s_cbranch_execz .LBB4_2263
; %bb.2260:                             ;   in Loop: Header=BB4_2182 Depth=2
	v_bfe_u32 v25, v116, 2, 5
	s_mov_b32 s46, exec_lo
	s_delay_alu instid0(VALU_DEP_1)
	v_cmpx_eq_u32_e32 0, v25
; %bb.2261:                             ;   in Loop: Header=BB4_2182 Depth=2
	v_clz_i32_u32_e32 v25, v117
	s_delay_alu instid0(VALU_DEP_1) | instskip(SKIP_1) | instid1(VALU_DEP_2)
	v_min_u32_e32 v82, 32, v25
	v_mov_b32_e32 v25, v55
	v_subrev_nc_u32_e32 v83, 29, v82
	s_delay_alu instid0(VALU_DEP_1) | instskip(NEXT) | instid1(VALU_DEP_1)
	v_lshlrev_b64_e32 v[24:25], v83, v[24:25]
	v_dual_sub_nc_u32 v25, 30, v82 :: v_dual_bitop2_b32 v117, 3, v24 bitop3:0x40
; %bb.2262:                             ;   in Loop: Header=BB4_2182 Depth=2
	s_or_b32 exec_lo, exec_lo, s46
	v_lshlrev_b32_e32 v24, 16, v10
	s_delay_alu instid0(VALU_DEP_1) | instskip(NEXT) | instid1(VALU_DEP_1)
	v_and_b32_e32 v24, 0x80000000, v24
	v_lshl_add_u32 v24, v25, 23, v24
	s_delay_alu instid0(VALU_DEP_1) | instskip(NEXT) | instid1(VALU_DEP_1)
	v_lshl_or_b32 v24, v117, 21, v24
                                        ; implicit-def: $vgpr117
	v_add_nc_u32_e32 v25, 0x38000000, v24
.LBB4_2263:                             ;   in Loop: Header=BB4_2182 Depth=2
	s_and_not1_saveexec_b32 s15, s15
; %bb.2264:                             ;   in Loop: Header=BB4_2182 Depth=2
	v_cmp_lt_i16_e32 vcc_lo, -1, v10
	v_cndmask_b32_e32 v24, 0xff800000, v126, vcc_lo
	v_cmp_eq_u32_e32 vcc_lo, 0, v117
	s_delay_alu instid0(VALU_DEP_2)
	v_cndmask_b32_e32 v25, 0x7f800001, v24, vcc_lo
; %bb.2265:                             ;   in Loop: Header=BB4_2182 Depth=2
	s_or_b32 exec_lo, exec_lo, s15
.LBB4_2266:                             ;   in Loop: Header=BB4_2182 Depth=2
	s_delay_alu instid0(SALU_CYCLE_1)
	s_or_b32 exec_lo, exec_lo, s13
.LBB4_2267:                             ;   in Loop: Header=BB4_2182 Depth=2
	s_delay_alu instid0(SALU_CYCLE_1)
	s_or_b32 exec_lo, exec_lo, s14
	s_mov_b32 s13, 0
	s_mov_b32 s14, exec_lo
	v_cmpx_lt_i16_e32 0x7f, v54
	s_xor_b32 s14, exec_lo, s14
	s_cbranch_execz .LBB4_3035
; %bb.2268:                             ;   in Loop: Header=BB4_2182 Depth=2
	s_mov_b32 s13, -1
	s_mov_b32 s15, exec_lo
	v_cmpx_eq_u16_e32 0x80, v54
; %bb.2269:                             ;   in Loop: Header=BB4_2182 Depth=2
	s_xor_b32 s13, exec_lo, -1
; %bb.2270:                             ;   in Loop: Header=BB4_2182 Depth=2
	s_or_b32 exec_lo, exec_lo, s15
	s_delay_alu instid0(SALU_CYCLE_1)
	s_and_b32 s13, s13, exec_lo
	s_or_saveexec_b32 s14, s14
	v_bfrev_b32_e32 v24, 1
	s_xor_b32 exec_lo, exec_lo, s14
	s_cbranch_execnz .LBB4_3036
.LBB4_2271:                             ;   in Loop: Header=BB4_2182 Depth=2
	s_or_b32 exec_lo, exec_lo, s14
	s_and_saveexec_b32 s14, s13
.LBB4_2272:                             ;   in Loop: Header=BB4_2182 Depth=2
	v_dual_cndmask_b32 v24, v103, v114, s12 :: v_dual_cndmask_b32 v54, v102, v115, s12
	s_delay_alu instid0(VALU_DEP_1) | instskip(NEXT) | instid1(VALU_DEP_1)
	v_lshl_add_u32 v24, v24, 23, v112
	v_lshl_or_b32 v24, v54, 21, v24
	s_delay_alu instid0(VALU_DEP_1)
	v_cndmask_b32_e64 v24, v24, v113, s11
.LBB4_2273:                             ;   in Loop: Header=BB4_2182 Depth=2
	s_or_b32 exec_lo, exec_lo, s14
	s_delay_alu instid0(VALU_DEP_1) | instskip(NEXT) | instid1(VALU_DEP_1)
	v_dual_max_num_f32 v24, v24, v24 :: v_dual_max_num_f32 v25, v25, v25
	v_min_num_f32_e32 v25, v25, v24
.LBB4_2274:                             ;   in Loop: Header=BB4_2182 Depth=2
	s_delay_alu instid0(VALU_DEP_1) | instskip(SKIP_3) | instid1(VALU_DEP_2)
	v_and_b32_e32 v102, 0x7f800000, v25
	v_dual_mov_b32 v103, v55 :: v_dual_lshrrev_b32 v24, 24, v25
	v_and_b32_e32 v54, 0x7fffff, v25
                                        ; implicit-def: $vgpr114
	s_mov_b32 s11, exec_lo
	v_cmpx_ne_u64_e32 0x7f800000, v[102:103]
	s_xor_b32 s12, exec_lo, s11
	s_cbranch_execz .LBB4_2288
; %bb.2275:                             ;   in Loop: Header=BB4_2182 Depth=2
	v_and_b32_e32 v102, 0x7fffffff, v25
	v_mov_b32_e32 v103, v55
	v_and_b32_e32 v112, 0x80, v24
                                        ; implicit-def: $vgpr114
	s_mov_b32 s11, exec_lo
	s_delay_alu instid0(VALU_DEP_2)
	v_cmpx_gt_u64_e32 0x47600001, v[102:103]
	s_xor_b32 s13, exec_lo, s11
	s_cbranch_execz .LBB4_2285
; %bb.2276:                             ;   in Loop: Header=BB4_2182 Depth=2
	v_mov_b32_e32 v114, 0
	s_mov_b32 s14, exec_lo
	v_cmpx_ne_u32_e32 0, v25
	s_cbranch_execz .LBB4_2284
; %bb.2277:                             ;   in Loop: Header=BB4_2182 Depth=2
	v_bfe_u32 v113, v25, 23, 8
	v_or_b32_e32 v82, 0x800000, v54
	s_delay_alu instid0(VALU_DEP_2) | instskip(SKIP_1) | instid1(VALU_DEP_2)
	v_sub_nc_u32_e32 v24, 0x71, v113
	v_cmp_gt_u32_e32 vcc_lo, 0x72, v113
	v_cndmask_b32_e32 v24, 0, v24, vcc_lo
	v_cmp_eq_u32_e32 vcc_lo, 0, v113
	s_delay_alu instid0(VALU_DEP_2) | instskip(SKIP_1) | instid1(VALU_DEP_2)
	v_cndmask_b32_e64 v114, v24, 0x70, vcc_lo
	v_cndmask_b32_e32 v54, v82, v54, vcc_lo
	v_dual_add_nc_u32 v24, 21, v114 :: v_dual_add_nc_u32 v83, 20, v114
	s_delay_alu instid0(VALU_DEP_1) | instskip(NEXT) | instid1(VALU_DEP_2)
	v_lshlrev_b64_e64 v[24:25], v24, -1
	v_lshlrev_b64_e64 v[102:103], v83, 1
	s_delay_alu instid0(VALU_DEP_2) | instskip(NEXT) | instid1(VALU_DEP_3)
	v_bfi_b32 v117, v25, 0, 0
	v_bfi_b32 v116, v24, 0, v54
	v_lshrrev_b64 v[24:25], v114, v[54:55]
	s_delay_alu instid0(VALU_DEP_2) | instskip(NEXT) | instid1(VALU_DEP_2)
	v_cmp_eq_u64_e64 s11, v[116:117], v[102:103]
	v_mov_b64_e32 v[102:103], v[24:25]
	s_and_saveexec_b32 s15, s11
; %bb.2278:                             ;   in Loop: Header=BB4_2182 Depth=2
	v_bfe_u32 v54, v24, 21, 1
	s_delay_alu instid0(VALU_DEP_1) | instskip(NEXT) | instid1(VALU_DEP_1)
	v_add_nc_u64_e32 v[102:103], v[24:25], v[54:55]
	v_add_nc_u64_e32 v[102:103], -1, v[102:103]
; %bb.2279:                             ;   in Loop: Header=BB4_2182 Depth=2
	s_or_b32 exec_lo, exec_lo, s15
	v_add_nc_u32_e32 v25, 0xffffff81, v113
	v_lshrrev_b32_e32 v54, 23, v24
	s_mov_b32 s11, exec_lo
	s_delay_alu instid0(VALU_DEP_2) | instskip(NEXT) | instid1(VALU_DEP_1)
	v_cndmask_b32_e64 v25, v25, 0xffffff82, vcc_lo
	v_add3_u32 v103, v114, v25, v54
	v_and_b32_e32 v25, 0x1fffff, v102
                                        ; implicit-def: $vgpr102
	s_delay_alu instid0(VALU_DEP_1) | instskip(NEXT) | instid1(VALU_DEP_1)
	v_dual_add_nc_u32 v113, 14, v103 :: v_dual_add_nc_u32 v54, v25, v24
                                        ; implicit-def: $vgpr24_vgpr25
	v_cmpx_ne_u32_e32 0, v113
	s_xor_b32 s11, exec_lo, s11
; %bb.2280:                             ;   in Loop: Header=BB4_2182 Depth=2
	s_delay_alu instid0(VALU_DEP_2) | instskip(SKIP_1) | instid1(VALU_DEP_1)
	v_cmp_lt_u64_e32 vcc_lo, 0xffffff, v[54:55]
	v_add_nc_u32_e32 v24, 15, v103
	v_cndmask_b32_e32 v102, v113, v24, vcc_lo
	v_cndmask_b32_e64 v24, 0, 1, vcc_lo
	s_delay_alu instid0(VALU_DEP_1)
	v_lshrrev_b64 v[24:25], v24, v[54:55]
; %bb.2281:                             ;   in Loop: Header=BB4_2182 Depth=2
	s_and_not1_saveexec_b32 s11, s11
; %bb.2282:                             ;   in Loop: Header=BB4_2182 Depth=2
	v_mov_b64_e32 v[24:25], v[54:55]
	v_bfe_u32 v102, v54, 23, 1
; %bb.2283:                             ;   in Loop: Header=BB4_2182 Depth=2
	s_or_b32 exec_lo, exec_lo, s11
	s_delay_alu instid0(VALU_DEP_2) | instskip(NEXT) | instid1(VALU_DEP_2)
	v_lshrrev_b64 v[24:25], 21, v[24:25]
	v_cmp_gt_i32_e32 vcc_lo, 32, v102
	v_min_i32_e32 v54, 31, v102
	v_cmp_eq_u32_e64 s11, 0, v102
	s_delay_alu instid0(VALU_DEP_2) | instskip(SKIP_1) | instid1(VALU_DEP_2)
	v_dual_cndmask_b32 v25, 0, v25 :: v_dual_lshlrev_b32 v54, 2, v54
	v_cndmask_b32_e32 v24, 3, v24, vcc_lo
	v_and_b32_e32 v54, 0xfc, v54
	s_delay_alu instid0(VALU_DEP_2) | instskip(NEXT) | instid1(VALU_DEP_2)
	v_cmp_eq_u64_e32 vcc_lo, 0, v[24:25]
	v_and_or_b32 v24, v24, 3, v54
	s_and_b32 s11, s11, vcc_lo
	s_delay_alu instid0(VALU_DEP_1) | instid1(SALU_CYCLE_1)
	v_cndmask_b32_e64 v24, v24, 0, s11
	s_delay_alu instid0(VALU_DEP_1)
	v_or_b32_e32 v114, v24, v112
.LBB4_2284:                             ;   in Loop: Header=BB4_2182 Depth=2
	s_or_b32 exec_lo, exec_lo, s14
                                        ; implicit-def: $vgpr112
.LBB4_2285:                             ;   in Loop: Header=BB4_2182 Depth=2
	s_and_not1_saveexec_b32 s11, s13
; %bb.2286:                             ;   in Loop: Header=BB4_2182 Depth=2
	v_or_b32_e32 v114, 0x7b, v112
; %bb.2287:                             ;   in Loop: Header=BB4_2182 Depth=2
	s_or_b32 exec_lo, exec_lo, s11
                                        ; implicit-def: $vgpr25
                                        ; implicit-def: $vgpr24
.LBB4_2288:                             ;   in Loop: Header=BB4_2182 Depth=2
	s_and_not1_saveexec_b32 s11, s12
	s_cbranch_execz .LBB4_2294
; %bb.2289:                             ;   in Loop: Header=BB4_2182 Depth=2
	s_mov_b32 s12, exec_lo
                                        ; implicit-def: $vgpr114
	v_cmpx_ne_u64_e32 0, v[54:55]
	s_xor_b32 s12, exec_lo, s12
; %bb.2290:                             ;   in Loop: Header=BB4_2182 Depth=2
	v_or_b32_e32 v114, 0x7f, v24
                                        ; implicit-def: $vgpr25
; %bb.2291:                             ;   in Loop: Header=BB4_2182 Depth=2
	s_and_not1_saveexec_b32 s12, s12
; %bb.2292:                             ;   in Loop: Header=BB4_2182 Depth=2
	v_cmp_lt_i32_e32 vcc_lo, -1, v25
	v_cndmask_b32_e32 v114, 0xfc, v122, vcc_lo
; %bb.2293:                             ;   in Loop: Header=BB4_2182 Depth=2
	s_or_b32 exec_lo, exec_lo, s12
.LBB4_2294:                             ;   in Loop: Header=BB4_2182 Depth=2
	s_delay_alu instid0(SALU_CYCLE_1) | instskip(SKIP_4) | instid1(VALU_DEP_4)
	s_or_b32 exec_lo, exec_lo, s11
	v_bfe_u32 v25, v14, 16, 2
	v_dual_lshrrev_b32 v102, 16, v14 :: v_dual_lshlrev_b32 v103, 8, v14
	v_and_b32_e32 v83, 0x7c0000, v14
	v_bfe_u32 v54, v14, 18, 5
	v_clz_i32_u32_e32 v24, v25
	s_delay_alu instid0(VALU_DEP_4)
	v_bfe_i32 v115, v102, 0, 8
	s_mov_b32 s14, -1
	v_cmp_eq_u32_e64 s11, 0x7c0000, v83
	v_cmp_eq_u32_e64 s12, 0, v54
	v_min_u32_e32 v82, 32, v24
	v_cmp_lt_i16_e32 vcc_lo, -1, v115
                                        ; implicit-def: $vgpr117
	s_delay_alu instid0(VALU_DEP_2) | instskip(SKIP_3) | instid1(VALU_DEP_4)
	v_subrev_nc_u32_e32 v112, 29, v82
	v_cndmask_b32_e32 v83, 0xff800000, v126, vcc_lo
	v_cmp_eq_u32_e32 vcc_lo, 0, v25
	v_lshrrev_b32_e32 v24, 16, v10
	v_lshlrev_b64_e32 v[118:119], v112, v[102:103]
	v_and_or_b32 v102, 0x80000000, v103, s28
	v_cndmask_b32_e32 v103, 0x7f800001, v83, vcc_lo
	s_delay_alu instid0(VALU_DEP_4) | instskip(SKIP_3) | instid1(VALU_DEP_3)
	v_and_b32_e32 v116, 0xff, v24
	v_sub_nc_u32_e32 v112, 30, v82
	s_and_b32 vcc_lo, exec_lo, s45
	v_and_b32_e32 v113, 3, v118
	v_cmp_ne_u16_e64 s13, 0, v116
	s_cbranch_vccz .LBB4_2312
; %bb.2295:                             ;   in Loop: Header=BB4_2182 Depth=2
	v_mov_b32_e32 v117, 0
	s_and_saveexec_b32 s14, s13
	s_cbranch_execz .LBB4_2305
; %bb.2296:                             ;   in Loop: Header=BB4_2182 Depth=2
	v_bfrev_b32_e32 v117, 1
	s_mov_b32 s15, exec_lo
	v_cmpx_ne_u16_e32 0x80, v116
	s_cbranch_execz .LBB4_2304
; %bb.2297:                             ;   in Loop: Header=BB4_2182 Depth=2
	v_and_b32_e32 v82, 0x7c0000, v10
	v_bfe_u32 v118, v10, 16, 2
	s_mov_b32 s46, exec_lo
                                        ; implicit-def: $vgpr117
	s_delay_alu instid0(VALU_DEP_2)
	v_cmpx_ne_u32_e32 0x7c0000, v82
	s_xor_b32 s46, exec_lo, s46
	s_cbranch_execz .LBB4_2301
; %bb.2298:                             ;   in Loop: Header=BB4_2182 Depth=2
	v_bfe_u32 v117, v10, 18, 5
	s_mov_b32 s47, exec_lo
	s_delay_alu instid0(VALU_DEP_1)
	v_cmpx_eq_u32_e32 0, v117
; %bb.2299:                             ;   in Loop: Header=BB4_2182 Depth=2
	v_clz_i32_u32_e32 v82, v118
	s_delay_alu instid0(VALU_DEP_1) | instskip(NEXT) | instid1(VALU_DEP_1)
	v_min_u32_e32 v82, 32, v82
	v_subrev_nc_u32_e32 v83, 29, v82
	v_sub_nc_u32_e32 v117, 30, v82
	s_delay_alu instid0(VALU_DEP_2) | instskip(NEXT) | instid1(VALU_DEP_1)
	v_lshlrev_b64_e32 v[118:119], v83, v[24:25]
	v_and_b32_e32 v118, 3, v118
; %bb.2300:                             ;   in Loop: Header=BB4_2182 Depth=2
	s_or_b32 exec_lo, exec_lo, s47
	v_lshlrev_b32_e32 v82, 24, v24
	s_delay_alu instid0(VALU_DEP_1) | instskip(NEXT) | instid1(VALU_DEP_1)
	v_and_b32_e32 v82, 0x80000000, v82
	v_lshl_add_u32 v82, v117, 23, v82
	s_delay_alu instid0(VALU_DEP_1) | instskip(NEXT) | instid1(VALU_DEP_1)
	v_lshl_or_b32 v82, v118, 21, v82
                                        ; implicit-def: $vgpr118
	v_add_nc_u32_e32 v117, 0x38000000, v82
.LBB4_2301:                             ;   in Loop: Header=BB4_2182 Depth=2
	s_and_not1_saveexec_b32 s46, s46
; %bb.2302:                             ;   in Loop: Header=BB4_2182 Depth=2
	v_bfe_i32 v82, v24, 0, 8
	s_delay_alu instid0(VALU_DEP_1) | instskip(SKIP_2) | instid1(VALU_DEP_2)
	v_cmp_lt_i16_e32 vcc_lo, -1, v82
	v_cndmask_b32_e32 v82, 0xff800000, v126, vcc_lo
	v_cmp_eq_u32_e32 vcc_lo, 0, v118
	v_cndmask_b32_e32 v117, 0x7f800001, v82, vcc_lo
; %bb.2303:                             ;   in Loop: Header=BB4_2182 Depth=2
	s_or_b32 exec_lo, exec_lo, s46
.LBB4_2304:                             ;   in Loop: Header=BB4_2182 Depth=2
	s_delay_alu instid0(SALU_CYCLE_1)
	s_or_b32 exec_lo, exec_lo, s15
.LBB4_2305:                             ;   in Loop: Header=BB4_2182 Depth=2
	s_delay_alu instid0(SALU_CYCLE_1) | instskip(SKIP_3) | instid1(VALU_DEP_1)
	s_or_b32 exec_lo, exec_lo, s14
	v_and_b32_e32 v119, 0xff, v115
	s_mov_b32 s14, 0
	s_mov_b32 s15, exec_lo
	v_cmpx_lt_i16_e32 0x7f, v119
	s_xor_b32 s15, exec_lo, s15
	s_cbranch_execz .LBB4_3037
; %bb.2306:                             ;   in Loop: Header=BB4_2182 Depth=2
	s_mov_b32 s14, -1
	s_mov_b32 s46, exec_lo
	v_cmpx_eq_u16_e32 0x80, v119
; %bb.2307:                             ;   in Loop: Header=BB4_2182 Depth=2
	s_xor_b32 s14, exec_lo, -1
; %bb.2308:                             ;   in Loop: Header=BB4_2182 Depth=2
	s_or_b32 exec_lo, exec_lo, s46
	s_delay_alu instid0(SALU_CYCLE_1)
	s_and_b32 s14, s14, exec_lo
                                        ; implicit-def: $vgpr119
	s_or_saveexec_b32 s15, s15
	v_bfrev_b32_e32 v118, 1
	s_xor_b32 exec_lo, exec_lo, s15
	s_cbranch_execnz .LBB4_3038
.LBB4_2309:                             ;   in Loop: Header=BB4_2182 Depth=2
	s_or_b32 exec_lo, exec_lo, s15
	s_and_saveexec_b32 s15, s14
.LBB4_2310:                             ;   in Loop: Header=BB4_2182 Depth=2
	v_dual_cndmask_b32 v82, v54, v112, s12 :: v_dual_cndmask_b32 v83, v25, v113, s12
	s_delay_alu instid0(VALU_DEP_1) | instskip(NEXT) | instid1(VALU_DEP_1)
	v_lshl_add_u32 v82, v82, 23, v102
	v_lshl_or_b32 v82, v83, 21, v82
	s_delay_alu instid0(VALU_DEP_1)
	v_cndmask_b32_e64 v118, v82, v103, s11
.LBB4_2311:                             ;   in Loop: Header=BB4_2182 Depth=2
	s_or_b32 exec_lo, exec_lo, s15
	s_delay_alu instid0(VALU_DEP_1) | instskip(SKIP_1) | instid1(VALU_DEP_1)
	v_dual_max_num_f32 v82, v118, v118 :: v_dual_max_num_f32 v83, v117, v117
	s_mov_b32 s14, 0
	v_max_num_f32_e32 v117, v83, v82
.LBB4_2312:                             ;   in Loop: Header=BB4_2182 Depth=2
	s_and_b32 vcc_lo, exec_lo, s14
	s_cbranch_vccz .LBB4_2330
; %bb.2313:                             ;   in Loop: Header=BB4_2182 Depth=2
	v_mov_b32_e32 v117, 0
	s_and_saveexec_b32 s14, s13
	s_cbranch_execz .LBB4_2323
; %bb.2314:                             ;   in Loop: Header=BB4_2182 Depth=2
	v_bfrev_b32_e32 v117, 1
	s_mov_b32 s13, exec_lo
	v_cmpx_ne_u16_e32 0x80, v116
	s_cbranch_execz .LBB4_2322
; %bb.2315:                             ;   in Loop: Header=BB4_2182 Depth=2
	v_and_b32_e32 v82, 0x7c0000, v10
	v_bfe_u32 v116, v10, 16, 2
	s_mov_b32 s15, exec_lo
                                        ; implicit-def: $vgpr117
	s_delay_alu instid0(VALU_DEP_2)
	v_cmpx_ne_u32_e32 0x7c0000, v82
	s_xor_b32 s15, exec_lo, s15
	s_cbranch_execz .LBB4_2319
; %bb.2316:                             ;   in Loop: Header=BB4_2182 Depth=2
	v_bfe_u32 v117, v10, 18, 5
	s_mov_b32 s46, exec_lo
	s_delay_alu instid0(VALU_DEP_1)
	v_cmpx_eq_u32_e32 0, v117
; %bb.2317:                             ;   in Loop: Header=BB4_2182 Depth=2
	v_clz_i32_u32_e32 v82, v116
	s_delay_alu instid0(VALU_DEP_1) | instskip(NEXT) | instid1(VALU_DEP_1)
	v_min_u32_e32 v82, 32, v82
	v_subrev_nc_u32_e32 v83, 29, v82
	s_delay_alu instid0(VALU_DEP_1) | instskip(NEXT) | instid1(VALU_DEP_1)
	v_lshlrev_b64_e32 v[116:117], v83, v[24:25]
	v_dual_sub_nc_u32 v117, 30, v82 :: v_dual_bitop2_b32 v116, 3, v116 bitop3:0x40
; %bb.2318:                             ;   in Loop: Header=BB4_2182 Depth=2
	s_or_b32 exec_lo, exec_lo, s46
	v_lshlrev_b32_e32 v24, 24, v24
	s_delay_alu instid0(VALU_DEP_1) | instskip(NEXT) | instid1(VALU_DEP_1)
	v_and_b32_e32 v24, 0x80000000, v24
	v_lshl_add_u32 v24, v117, 23, v24
	s_delay_alu instid0(VALU_DEP_1) | instskip(NEXT) | instid1(VALU_DEP_1)
	v_lshl_or_b32 v24, v116, 21, v24
                                        ; implicit-def: $vgpr116
	v_add_nc_u32_e32 v117, 0x38000000, v24
                                        ; implicit-def: $vgpr24
.LBB4_2319:                             ;   in Loop: Header=BB4_2182 Depth=2
	s_and_not1_saveexec_b32 s15, s15
; %bb.2320:                             ;   in Loop: Header=BB4_2182 Depth=2
	v_bfe_i32 v24, v24, 0, 8
	s_delay_alu instid0(VALU_DEP_1) | instskip(SKIP_2) | instid1(VALU_DEP_2)
	v_cmp_lt_i16_e32 vcc_lo, -1, v24
	v_cndmask_b32_e32 v24, 0xff800000, v126, vcc_lo
	v_cmp_eq_u32_e32 vcc_lo, 0, v116
	v_cndmask_b32_e32 v117, 0x7f800001, v24, vcc_lo
; %bb.2321:                             ;   in Loop: Header=BB4_2182 Depth=2
	s_or_b32 exec_lo, exec_lo, s15
.LBB4_2322:                             ;   in Loop: Header=BB4_2182 Depth=2
	s_delay_alu instid0(SALU_CYCLE_1)
	s_or_b32 exec_lo, exec_lo, s13
.LBB4_2323:                             ;   in Loop: Header=BB4_2182 Depth=2
	s_delay_alu instid0(SALU_CYCLE_1) | instskip(SKIP_3) | instid1(VALU_DEP_1)
	s_or_b32 exec_lo, exec_lo, s14
	v_and_b32_e32 v115, 0xff, v115
	s_mov_b32 s13, 0
	s_mov_b32 s14, exec_lo
	v_cmpx_lt_i16_e32 0x7f, v115
	s_xor_b32 s14, exec_lo, s14
	s_cbranch_execz .LBB4_3039
; %bb.2324:                             ;   in Loop: Header=BB4_2182 Depth=2
	s_mov_b32 s13, -1
	s_mov_b32 s15, exec_lo
	v_cmpx_eq_u16_e32 0x80, v115
; %bb.2325:                             ;   in Loop: Header=BB4_2182 Depth=2
	s_xor_b32 s13, exec_lo, -1
; %bb.2326:                             ;   in Loop: Header=BB4_2182 Depth=2
	s_or_b32 exec_lo, exec_lo, s15
	s_delay_alu instid0(SALU_CYCLE_1)
	s_and_b32 s13, s13, exec_lo
                                        ; implicit-def: $vgpr115
	s_or_saveexec_b32 s14, s14
	v_bfrev_b32_e32 v24, 1
	s_xor_b32 exec_lo, exec_lo, s14
	s_cbranch_execnz .LBB4_3040
.LBB4_2327:                             ;   in Loop: Header=BB4_2182 Depth=2
	s_or_b32 exec_lo, exec_lo, s14
	s_and_saveexec_b32 s14, s13
.LBB4_2328:                             ;   in Loop: Header=BB4_2182 Depth=2
	v_dual_cndmask_b32 v24, v54, v112, s12 :: v_dual_cndmask_b32 v25, v25, v113, s12
	s_delay_alu instid0(VALU_DEP_1) | instskip(NEXT) | instid1(VALU_DEP_1)
	v_lshl_add_u32 v24, v24, 23, v102
	v_lshl_or_b32 v24, v25, 21, v24
	s_delay_alu instid0(VALU_DEP_1)
	v_cndmask_b32_e64 v24, v24, v103, s11
.LBB4_2329:                             ;   in Loop: Header=BB4_2182 Depth=2
	s_or_b32 exec_lo, exec_lo, s14
	s_delay_alu instid0(VALU_DEP_1) | instskip(NEXT) | instid1(VALU_DEP_1)
	v_dual_max_num_f32 v24, v24, v24 :: v_dual_max_num_f32 v25, v117, v117
	v_min_num_f32_e32 v117, v25, v24
.LBB4_2330:                             ;   in Loop: Header=BB4_2182 Depth=2
	s_delay_alu instid0(VALU_DEP_1) | instskip(SKIP_2) | instid1(VALU_DEP_2)
	v_and_b32_e32 v24, 0x7f800000, v117
	v_mov_b32_e32 v25, v55
	v_and_b32_e32 v54, 0x7fffff, v117
                                        ; implicit-def: $vgpr115
	v_cmp_ne_u64_e32 vcc_lo, 0x7f800000, v[24:25]
	v_lshrrev_b32_e32 v24, 24, v117
	s_and_saveexec_b32 s11, vcc_lo
	s_delay_alu instid0(SALU_CYCLE_1)
	s_xor_b32 s12, exec_lo, s11
	s_cbranch_execz .LBB4_2344
; %bb.2331:                             ;   in Loop: Header=BB4_2182 Depth=2
	v_and_b32_e32 v102, 0x7fffffff, v117
	v_mov_b32_e32 v103, v55
	v_and_b32_e32 v112, 0x80, v24
                                        ; implicit-def: $vgpr115
	s_mov_b32 s11, exec_lo
	s_delay_alu instid0(VALU_DEP_2)
	v_cmpx_gt_u64_e32 0x47600001, v[102:103]
	s_xor_b32 s13, exec_lo, s11
	s_cbranch_execz .LBB4_2341
; %bb.2332:                             ;   in Loop: Header=BB4_2182 Depth=2
	v_mov_b32_e32 v115, 0
	s_mov_b32 s14, exec_lo
	v_cmpx_ne_u32_e32 0, v117
	s_cbranch_execz .LBB4_2340
; %bb.2333:                             ;   in Loop: Header=BB4_2182 Depth=2
	v_bfe_u32 v113, v117, 23, 8
	v_or_b32_e32 v82, 0x800000, v54
	s_delay_alu instid0(VALU_DEP_2) | instskip(SKIP_1) | instid1(VALU_DEP_2)
	v_sub_nc_u32_e32 v24, 0x71, v113
	v_cmp_gt_u32_e32 vcc_lo, 0x72, v113
	v_cndmask_b32_e32 v24, 0, v24, vcc_lo
	v_cmp_eq_u32_e32 vcc_lo, 0, v113
	s_delay_alu instid0(VALU_DEP_2) | instskip(NEXT) | instid1(VALU_DEP_1)
	v_cndmask_b32_e64 v115, v24, 0x70, vcc_lo
	v_dual_cndmask_b32 v54, v82, v54, vcc_lo :: v_dual_add_nc_u32 v24, 21, v115
	v_add_nc_u32_e32 v83, 20, v115
	s_delay_alu instid0(VALU_DEP_2) | instskip(NEXT) | instid1(VALU_DEP_2)
	v_lshlrev_b64_e64 v[24:25], v24, -1
	v_lshlrev_b64_e64 v[102:103], v83, 1
	s_delay_alu instid0(VALU_DEP_2) | instskip(NEXT) | instid1(VALU_DEP_3)
	v_bfi_b32 v117, v25, 0, 0
	v_bfi_b32 v116, v24, 0, v54
	v_lshrrev_b64 v[24:25], v115, v[54:55]
	s_delay_alu instid0(VALU_DEP_2) | instskip(NEXT) | instid1(VALU_DEP_2)
	v_cmp_eq_u64_e64 s11, v[116:117], v[102:103]
	v_mov_b64_e32 v[102:103], v[24:25]
	s_and_saveexec_b32 s15, s11
; %bb.2334:                             ;   in Loop: Header=BB4_2182 Depth=2
	v_bfe_u32 v54, v24, 21, 1
	s_delay_alu instid0(VALU_DEP_1) | instskip(NEXT) | instid1(VALU_DEP_1)
	v_add_nc_u64_e32 v[102:103], v[24:25], v[54:55]
	v_add_nc_u64_e32 v[102:103], -1, v[102:103]
; %bb.2335:                             ;   in Loop: Header=BB4_2182 Depth=2
	s_or_b32 exec_lo, exec_lo, s15
	v_add_nc_u32_e32 v25, 0xffffff81, v113
	v_lshrrev_b32_e32 v54, 23, v24
	s_mov_b32 s11, exec_lo
	s_delay_alu instid0(VALU_DEP_2) | instskip(NEXT) | instid1(VALU_DEP_1)
	v_cndmask_b32_e64 v25, v25, 0xffffff82, vcc_lo
	v_add3_u32 v103, v115, v25, v54
	v_and_b32_e32 v25, 0x1fffff, v102
                                        ; implicit-def: $vgpr102
	s_delay_alu instid0(VALU_DEP_1) | instskip(NEXT) | instid1(VALU_DEP_1)
	v_dual_add_nc_u32 v113, 14, v103 :: v_dual_add_nc_u32 v54, v25, v24
                                        ; implicit-def: $vgpr24_vgpr25
	v_cmpx_ne_u32_e32 0, v113
	s_xor_b32 s11, exec_lo, s11
; %bb.2336:                             ;   in Loop: Header=BB4_2182 Depth=2
	s_delay_alu instid0(VALU_DEP_2) | instskip(SKIP_1) | instid1(VALU_DEP_1)
	v_cmp_lt_u64_e32 vcc_lo, 0xffffff, v[54:55]
	v_add_nc_u32_e32 v24, 15, v103
	v_cndmask_b32_e32 v102, v113, v24, vcc_lo
	v_cndmask_b32_e64 v24, 0, 1, vcc_lo
	s_delay_alu instid0(VALU_DEP_1)
	v_lshrrev_b64 v[24:25], v24, v[54:55]
; %bb.2337:                             ;   in Loop: Header=BB4_2182 Depth=2
	s_and_not1_saveexec_b32 s11, s11
; %bb.2338:                             ;   in Loop: Header=BB4_2182 Depth=2
	v_mov_b64_e32 v[24:25], v[54:55]
	v_bfe_u32 v102, v54, 23, 1
; %bb.2339:                             ;   in Loop: Header=BB4_2182 Depth=2
	s_or_b32 exec_lo, exec_lo, s11
	s_delay_alu instid0(VALU_DEP_2) | instskip(NEXT) | instid1(VALU_DEP_2)
	v_lshrrev_b64 v[24:25], 21, v[24:25]
	v_cmp_gt_i32_e32 vcc_lo, 32, v102
	v_min_i32_e32 v54, 31, v102
	v_cmp_eq_u32_e64 s11, 0, v102
	s_delay_alu instid0(VALU_DEP_2) | instskip(SKIP_1) | instid1(VALU_DEP_2)
	v_dual_cndmask_b32 v25, 0, v25 :: v_dual_lshlrev_b32 v54, 2, v54
	v_cndmask_b32_e32 v24, 3, v24, vcc_lo
	v_and_b32_e32 v54, 0xfc, v54
	s_delay_alu instid0(VALU_DEP_2) | instskip(NEXT) | instid1(VALU_DEP_2)
	v_cmp_eq_u64_e32 vcc_lo, 0, v[24:25]
	v_and_or_b32 v24, v24, 3, v54
	s_and_b32 s11, s11, vcc_lo
	s_delay_alu instid0(VALU_DEP_1) | instid1(SALU_CYCLE_1)
	v_cndmask_b32_e64 v24, v24, 0, s11
	s_delay_alu instid0(VALU_DEP_1)
	v_or_b32_e32 v115, v24, v112
.LBB4_2340:                             ;   in Loop: Header=BB4_2182 Depth=2
	s_or_b32 exec_lo, exec_lo, s14
                                        ; implicit-def: $vgpr112
.LBB4_2341:                             ;   in Loop: Header=BB4_2182 Depth=2
	s_and_not1_saveexec_b32 s11, s13
; %bb.2342:                             ;   in Loop: Header=BB4_2182 Depth=2
	v_or_b32_e32 v115, 0x7b, v112
; %bb.2343:                             ;   in Loop: Header=BB4_2182 Depth=2
	s_or_b32 exec_lo, exec_lo, s11
                                        ; implicit-def: $vgpr117
                                        ; implicit-def: $vgpr24
.LBB4_2344:                             ;   in Loop: Header=BB4_2182 Depth=2
	s_and_not1_saveexec_b32 s11, s12
	s_cbranch_execz .LBB4_2350
; %bb.2345:                             ;   in Loop: Header=BB4_2182 Depth=2
	s_mov_b32 s12, exec_lo
                                        ; implicit-def: $vgpr115
	v_cmpx_ne_u64_e32 0, v[54:55]
	s_xor_b32 s12, exec_lo, s12
; %bb.2346:                             ;   in Loop: Header=BB4_2182 Depth=2
	v_or_b32_e32 v115, 0x7f, v24
                                        ; implicit-def: $vgpr117
; %bb.2347:                             ;   in Loop: Header=BB4_2182 Depth=2
	s_and_not1_saveexec_b32 s12, s12
; %bb.2348:                             ;   in Loop: Header=BB4_2182 Depth=2
	v_cmp_lt_i32_e32 vcc_lo, -1, v117
	v_cndmask_b32_e32 v115, 0xfc, v122, vcc_lo
; %bb.2349:                             ;   in Loop: Header=BB4_2182 Depth=2
	s_or_b32 exec_lo, exec_lo, s12
.LBB4_2350:                             ;   in Loop: Header=BB4_2182 Depth=2
	s_delay_alu instid0(SALU_CYCLE_1)
	s_or_b32 exec_lo, exec_lo, s11
	v_bfe_u32 v25, v14, 24, 2
	v_cmp_lt_i32_e32 vcc_lo, -1, v14
	v_lshrrev_b32_e32 v112, 24, v14
	v_and_b32_e32 v83, 0x7c000000, v14
	v_cmp_gt_u32_e64 s11, 0x1000000, v14
	v_clz_i32_u32_e32 v54, v25
	v_cndmask_b32_e32 v113, 0xff800000, v126, vcc_lo
	v_cmp_eq_u32_e32 vcc_lo, 0, v25
	v_lshrrev_b32_e32 v24, 24, v10
	v_and_or_b32 v102, 0x80000000, v14, s28
	v_min_u32_e32 v82, 32, v54
	v_bfe_u32 v54, v14, 26, 5
	v_cmp_lt_u32_e64 s15, 0xffffff, v10
	v_cmp_eq_u32_e64 s13, 0x7c000000, v83
	s_mov_b32 s46, -1
	v_subrev_nc_u32_e32 v103, 29, v82
	v_cmp_eq_u32_e64 s14, 0, v54
	s_delay_alu instid0(VALU_DEP_2) | instskip(SKIP_2) | instid1(VALU_DEP_2)
	v_lshlrev_b64_e32 v[116:117], v103, v[112:113]
	v_cndmask_b32_e32 v103, 0x7f800001, v113, vcc_lo
	s_and_b32 vcc_lo, exec_lo, s45
                                        ; implicit-def: $vgpr117
	v_and_b32_e32 v113, 3, v116
	v_cmp_eq_u32_e64 s12, 0x80, v112
	v_sub_nc_u32_e32 v112, 30, v82
	s_cbranch_vccz .LBB4_2362
; %bb.2351:                             ;   in Loop: Header=BB4_2182 Depth=2
	v_mov_b32_e32 v116, 0
	s_and_saveexec_b32 s46, s15
	s_cbranch_execz .LBB4_2361
; %bb.2352:                             ;   in Loop: Header=BB4_2182 Depth=2
	v_bfrev_b32_e32 v116, 1
	s_mov_b32 s47, exec_lo
	v_cmpx_ne_u32_e32 0x80, v24
	s_cbranch_execz .LBB4_2360
; %bb.2353:                             ;   in Loop: Header=BB4_2182 Depth=2
	v_and_b32_e32 v82, 0x7c000000, v10
	v_bfe_u32 v117, v10, 24, 2
	s_mov_b32 s56, exec_lo
                                        ; implicit-def: $vgpr116
	s_delay_alu instid0(VALU_DEP_2)
	v_cmpx_ne_u32_e32 0x7c000000, v82
	s_xor_b32 s56, exec_lo, s56
	s_cbranch_execz .LBB4_2357
; %bb.2354:                             ;   in Loop: Header=BB4_2182 Depth=2
	v_bfe_u32 v116, v10, 26, 5
	s_mov_b32 s57, exec_lo
	s_delay_alu instid0(VALU_DEP_1)
	v_cmpx_eq_u32_e32 0, v116
; %bb.2355:                             ;   in Loop: Header=BB4_2182 Depth=2
	v_clz_i32_u32_e32 v82, v117
	s_delay_alu instid0(VALU_DEP_1) | instskip(NEXT) | instid1(VALU_DEP_1)
	v_min_u32_e32 v82, 32, v82
	v_subrev_nc_u32_e32 v83, 29, v82
	v_sub_nc_u32_e32 v116, 30, v82
	s_delay_alu instid0(VALU_DEP_2) | instskip(NEXT) | instid1(VALU_DEP_1)
	v_lshlrev_b64_e32 v[118:119], v83, v[24:25]
	v_and_b32_e32 v117, 3, v118
; %bb.2356:                             ;   in Loop: Header=BB4_2182 Depth=2
	s_or_b32 exec_lo, exec_lo, s57
	v_and_b32_e32 v82, 0x80000000, v10
	s_delay_alu instid0(VALU_DEP_1) | instskip(NEXT) | instid1(VALU_DEP_1)
	v_lshl_add_u32 v82, v116, 23, v82
	v_lshl_or_b32 v82, v117, 21, v82
                                        ; implicit-def: $vgpr117
	s_delay_alu instid0(VALU_DEP_1)
	v_add_nc_u32_e32 v116, 0x38000000, v82
.LBB4_2357:                             ;   in Loop: Header=BB4_2182 Depth=2
	s_and_not1_saveexec_b32 s56, s56
; %bb.2358:                             ;   in Loop: Header=BB4_2182 Depth=2
	v_cmp_lt_i32_e32 vcc_lo, -1, v10
	v_cndmask_b32_e32 v82, 0xff800000, v126, vcc_lo
	v_cmp_eq_u32_e32 vcc_lo, 0, v117
	s_delay_alu instid0(VALU_DEP_2)
	v_cndmask_b32_e32 v116, 0x7f800001, v82, vcc_lo
; %bb.2359:                             ;   in Loop: Header=BB4_2182 Depth=2
	s_or_b32 exec_lo, exec_lo, s56
.LBB4_2360:                             ;   in Loop: Header=BB4_2182 Depth=2
	s_delay_alu instid0(SALU_CYCLE_1)
	s_or_b32 exec_lo, exec_lo, s47
.LBB4_2361:                             ;   in Loop: Header=BB4_2182 Depth=2
	s_delay_alu instid0(SALU_CYCLE_1) | instskip(SKIP_2) | instid1(VALU_DEP_1)
	s_or_b32 exec_lo, exec_lo, s46
	v_dual_cndmask_b32 v82, v54, v112, s14 :: v_dual_cndmask_b32 v83, v25, v113, s14
	s_mov_b32 s46, 0
	v_lshl_add_u32 v82, v82, 23, v102
	s_delay_alu instid0(VALU_DEP_1) | instskip(NEXT) | instid1(VALU_DEP_1)
	v_lshl_or_b32 v82, v83, 21, v82
	v_dual_max_num_f32 v83, v116, v116 :: v_dual_cndmask_b32 v82, v82, v103, s13
	s_delay_alu instid0(VALU_DEP_1) | instskip(NEXT) | instid1(VALU_DEP_1)
	v_cndmask_b32_e64 v82, v82, 0x80000000, s12
	v_cndmask_b32_e64 v82, v82, 0, s11
	s_delay_alu instid0(VALU_DEP_1) | instskip(NEXT) | instid1(VALU_DEP_1)
	v_max_num_f32_e32 v82, v82, v82
	v_max_num_f32_e32 v117, v83, v82
.LBB4_2362:                             ;   in Loop: Header=BB4_2182 Depth=2
	s_and_b32 vcc_lo, exec_lo, s46
	s_cbranch_vccz .LBB4_2374
; %bb.2363:                             ;   in Loop: Header=BB4_2182 Depth=2
	v_mov_b32_e32 v116, 0
	s_and_saveexec_b32 s46, s15
	s_cbranch_execz .LBB4_2373
; %bb.2364:                             ;   in Loop: Header=BB4_2182 Depth=2
	v_bfrev_b32_e32 v116, 1
	s_mov_b32 s15, exec_lo
	v_cmpx_ne_u32_e32 0x80, v24
	s_cbranch_execz .LBB4_2372
; %bb.2365:                             ;   in Loop: Header=BB4_2182 Depth=2
	v_and_b32_e32 v82, 0x7c000000, v10
	v_bfe_u32 v117, v10, 24, 2
	s_mov_b32 s47, exec_lo
                                        ; implicit-def: $vgpr116
	s_delay_alu instid0(VALU_DEP_2)
	v_cmpx_ne_u32_e32 0x7c000000, v82
	s_xor_b32 s47, exec_lo, s47
	s_cbranch_execz .LBB4_2369
; %bb.2366:                             ;   in Loop: Header=BB4_2182 Depth=2
	v_bfe_u32 v116, v10, 26, 5
	s_mov_b32 s56, exec_lo
	s_delay_alu instid0(VALU_DEP_1)
	v_cmpx_eq_u32_e32 0, v116
; %bb.2367:                             ;   in Loop: Header=BB4_2182 Depth=2
	v_clz_i32_u32_e32 v82, v117
	s_delay_alu instid0(VALU_DEP_1) | instskip(NEXT) | instid1(VALU_DEP_1)
	v_min_u32_e32 v82, 32, v82
	v_subrev_nc_u32_e32 v83, 29, v82
	v_sub_nc_u32_e32 v116, 30, v82
	s_delay_alu instid0(VALU_DEP_2) | instskip(NEXT) | instid1(VALU_DEP_1)
	v_lshlrev_b64_e32 v[118:119], v83, v[24:25]
	v_and_b32_e32 v117, 3, v118
; %bb.2368:                             ;   in Loop: Header=BB4_2182 Depth=2
	s_or_b32 exec_lo, exec_lo, s56
	v_and_b32_e32 v24, 0x80000000, v10
	s_delay_alu instid0(VALU_DEP_1) | instskip(NEXT) | instid1(VALU_DEP_1)
	v_lshl_add_u32 v24, v116, 23, v24
	v_lshl_or_b32 v24, v117, 21, v24
                                        ; implicit-def: $vgpr117
	s_delay_alu instid0(VALU_DEP_1)
	v_add_nc_u32_e32 v116, 0x38000000, v24
.LBB4_2369:                             ;   in Loop: Header=BB4_2182 Depth=2
	s_and_not1_saveexec_b32 s47, s47
; %bb.2370:                             ;   in Loop: Header=BB4_2182 Depth=2
	v_cmp_lt_i32_e32 vcc_lo, -1, v10
	v_cndmask_b32_e32 v24, 0xff800000, v126, vcc_lo
	v_cmp_eq_u32_e32 vcc_lo, 0, v117
	s_delay_alu instid0(VALU_DEP_2)
	v_cndmask_b32_e32 v116, 0x7f800001, v24, vcc_lo
; %bb.2371:                             ;   in Loop: Header=BB4_2182 Depth=2
	s_or_b32 exec_lo, exec_lo, s47
.LBB4_2372:                             ;   in Loop: Header=BB4_2182 Depth=2
	s_delay_alu instid0(SALU_CYCLE_1)
	s_or_b32 exec_lo, exec_lo, s15
.LBB4_2373:                             ;   in Loop: Header=BB4_2182 Depth=2
	s_delay_alu instid0(SALU_CYCLE_1) | instskip(SKIP_1) | instid1(VALU_DEP_1)
	s_or_b32 exec_lo, exec_lo, s46
	v_dual_cndmask_b32 v24, v54, v112, s14 :: v_dual_cndmask_b32 v25, v25, v113, s14
	v_lshl_add_u32 v24, v24, 23, v102
	s_delay_alu instid0(VALU_DEP_1) | instskip(SKIP_1) | instid1(VALU_DEP_2)
	v_lshl_or_b32 v24, v25, 21, v24
	v_max_num_f32_e32 v25, v116, v116
	v_cndmask_b32_e64 v24, v24, v103, s13
	s_delay_alu instid0(VALU_DEP_1) | instskip(NEXT) | instid1(VALU_DEP_1)
	v_cndmask_b32_e64 v24, v24, 0x80000000, s12
	v_cndmask_b32_e64 v24, v24, 0, s11
	s_delay_alu instid0(VALU_DEP_1) | instskip(NEXT) | instid1(VALU_DEP_1)
	v_max_num_f32_e32 v24, v24, v24
	v_min_num_f32_e32 v117, v25, v24
.LBB4_2374:                             ;   in Loop: Header=BB4_2182 Depth=2
	s_delay_alu instid0(VALU_DEP_1) | instskip(SKIP_2) | instid1(VALU_DEP_2)
	v_and_b32_e32 v24, 0x7f800000, v117
	v_mov_b32_e32 v25, v55
	v_and_b32_e32 v54, 0x7fffff, v117
                                        ; implicit-def: $vgpr116
	v_cmp_ne_u64_e32 vcc_lo, 0x7f800000, v[24:25]
	v_lshrrev_b32_e32 v24, 24, v117
	s_and_saveexec_b32 s11, vcc_lo
	s_delay_alu instid0(SALU_CYCLE_1)
	s_xor_b32 s12, exec_lo, s11
	s_cbranch_execz .LBB4_2388
; %bb.2375:                             ;   in Loop: Header=BB4_2182 Depth=2
	v_and_b32_e32 v102, 0x7fffffff, v117
	v_mov_b32_e32 v103, v55
	v_and_b32_e32 v112, 0x80, v24
                                        ; implicit-def: $vgpr116
	s_mov_b32 s11, exec_lo
	s_delay_alu instid0(VALU_DEP_2)
	v_cmpx_gt_u64_e32 0x47600001, v[102:103]
	s_xor_b32 s13, exec_lo, s11
	s_cbranch_execz .LBB4_2385
; %bb.2376:                             ;   in Loop: Header=BB4_2182 Depth=2
	v_mov_b32_e32 v116, 0
	s_mov_b32 s14, exec_lo
	v_cmpx_ne_u32_e32 0, v117
	s_cbranch_execz .LBB4_2384
; %bb.2377:                             ;   in Loop: Header=BB4_2182 Depth=2
	v_bfe_u32 v113, v117, 23, 8
	v_or_b32_e32 v82, 0x800000, v54
	s_delay_alu instid0(VALU_DEP_2) | instskip(SKIP_1) | instid1(VALU_DEP_2)
	v_sub_nc_u32_e32 v24, 0x71, v113
	v_cmp_gt_u32_e32 vcc_lo, 0x72, v113
	v_cndmask_b32_e32 v24, 0, v24, vcc_lo
	v_cmp_eq_u32_e32 vcc_lo, 0, v113
	v_cndmask_b32_e32 v54, v82, v54, vcc_lo
	s_delay_alu instid0(VALU_DEP_3) | instskip(NEXT) | instid1(VALU_DEP_1)
	v_cndmask_b32_e64 v116, v24, 0x70, vcc_lo
	v_dual_add_nc_u32 v24, 21, v116 :: v_dual_add_nc_u32 v83, 20, v116
	s_delay_alu instid0(VALU_DEP_1) | instskip(NEXT) | instid1(VALU_DEP_2)
	v_lshlrev_b64_e64 v[24:25], v24, -1
	v_lshlrev_b64_e64 v[102:103], v83, 1
	s_delay_alu instid0(VALU_DEP_2) | instskip(NEXT) | instid1(VALU_DEP_3)
	v_bfi_b32 v119, v25, 0, 0
	v_bfi_b32 v118, v24, 0, v54
	v_lshrrev_b64 v[24:25], v116, v[54:55]
	s_delay_alu instid0(VALU_DEP_2) | instskip(NEXT) | instid1(VALU_DEP_2)
	v_cmp_eq_u64_e64 s11, v[118:119], v[102:103]
	v_mov_b64_e32 v[102:103], v[24:25]
	s_and_saveexec_b32 s15, s11
; %bb.2378:                             ;   in Loop: Header=BB4_2182 Depth=2
	v_bfe_u32 v54, v24, 21, 1
	s_delay_alu instid0(VALU_DEP_1) | instskip(NEXT) | instid1(VALU_DEP_1)
	v_add_nc_u64_e32 v[102:103], v[24:25], v[54:55]
	v_add_nc_u64_e32 v[102:103], -1, v[102:103]
; %bb.2379:                             ;   in Loop: Header=BB4_2182 Depth=2
	s_or_b32 exec_lo, exec_lo, s15
	v_add_nc_u32_e32 v25, 0xffffff81, v113
	v_lshrrev_b32_e32 v54, 23, v24
	s_mov_b32 s11, exec_lo
	s_delay_alu instid0(VALU_DEP_2) | instskip(NEXT) | instid1(VALU_DEP_1)
	v_cndmask_b32_e64 v25, v25, 0xffffff82, vcc_lo
	v_add3_u32 v103, v116, v25, v54
	v_and_b32_e32 v25, 0x1fffff, v102
                                        ; implicit-def: $vgpr102
	s_delay_alu instid0(VALU_DEP_1) | instskip(NEXT) | instid1(VALU_DEP_1)
	v_dual_add_nc_u32 v113, 14, v103 :: v_dual_add_nc_u32 v54, v25, v24
                                        ; implicit-def: $vgpr24_vgpr25
	v_cmpx_ne_u32_e32 0, v113
	s_xor_b32 s11, exec_lo, s11
; %bb.2380:                             ;   in Loop: Header=BB4_2182 Depth=2
	s_delay_alu instid0(VALU_DEP_2) | instskip(SKIP_1) | instid1(VALU_DEP_1)
	v_cmp_lt_u64_e32 vcc_lo, 0xffffff, v[54:55]
	v_add_nc_u32_e32 v24, 15, v103
	v_cndmask_b32_e32 v102, v113, v24, vcc_lo
	v_cndmask_b32_e64 v24, 0, 1, vcc_lo
	s_delay_alu instid0(VALU_DEP_1)
	v_lshrrev_b64 v[24:25], v24, v[54:55]
; %bb.2381:                             ;   in Loop: Header=BB4_2182 Depth=2
	s_and_not1_saveexec_b32 s11, s11
; %bb.2382:                             ;   in Loop: Header=BB4_2182 Depth=2
	v_mov_b64_e32 v[24:25], v[54:55]
	v_bfe_u32 v102, v54, 23, 1
; %bb.2383:                             ;   in Loop: Header=BB4_2182 Depth=2
	s_or_b32 exec_lo, exec_lo, s11
	s_delay_alu instid0(VALU_DEP_2) | instskip(NEXT) | instid1(VALU_DEP_2)
	v_lshrrev_b64 v[24:25], 21, v[24:25]
	v_cmp_gt_i32_e32 vcc_lo, 32, v102
	v_min_i32_e32 v54, 31, v102
	v_cmp_eq_u32_e64 s11, 0, v102
	s_delay_alu instid0(VALU_DEP_2) | instskip(SKIP_1) | instid1(VALU_DEP_2)
	v_dual_cndmask_b32 v25, 0, v25 :: v_dual_lshlrev_b32 v54, 2, v54
	v_cndmask_b32_e32 v24, 3, v24, vcc_lo
	v_and_b32_e32 v54, 0xfc, v54
	s_delay_alu instid0(VALU_DEP_2) | instskip(NEXT) | instid1(VALU_DEP_2)
	v_cmp_eq_u64_e32 vcc_lo, 0, v[24:25]
	v_and_or_b32 v24, v24, 3, v54
	s_and_b32 s11, s11, vcc_lo
	s_delay_alu instid0(VALU_DEP_1) | instid1(SALU_CYCLE_1)
	v_cndmask_b32_e64 v24, v24, 0, s11
	s_delay_alu instid0(VALU_DEP_1)
	v_or_b32_e32 v116, v24, v112
.LBB4_2384:                             ;   in Loop: Header=BB4_2182 Depth=2
	s_or_b32 exec_lo, exec_lo, s14
                                        ; implicit-def: $vgpr112
.LBB4_2385:                             ;   in Loop: Header=BB4_2182 Depth=2
	s_and_not1_saveexec_b32 s11, s13
; %bb.2386:                             ;   in Loop: Header=BB4_2182 Depth=2
	v_or_b32_e32 v116, 0x7b, v112
; %bb.2387:                             ;   in Loop: Header=BB4_2182 Depth=2
	s_or_b32 exec_lo, exec_lo, s11
                                        ; implicit-def: $vgpr117
                                        ; implicit-def: $vgpr24
.LBB4_2388:                             ;   in Loop: Header=BB4_2182 Depth=2
	s_and_not1_saveexec_b32 s11, s12
	s_cbranch_execz .LBB4_2394
; %bb.2389:                             ;   in Loop: Header=BB4_2182 Depth=2
	s_mov_b32 s12, exec_lo
                                        ; implicit-def: $vgpr116
	v_cmpx_ne_u64_e32 0, v[54:55]
	s_xor_b32 s12, exec_lo, s12
; %bb.2390:                             ;   in Loop: Header=BB4_2182 Depth=2
	v_or_b32_e32 v116, 0x7f, v24
                                        ; implicit-def: $vgpr117
; %bb.2391:                             ;   in Loop: Header=BB4_2182 Depth=2
	s_and_not1_saveexec_b32 s12, s12
; %bb.2392:                             ;   in Loop: Header=BB4_2182 Depth=2
	v_cmp_lt_i32_e32 vcc_lo, -1, v117
	v_cndmask_b32_e32 v116, 0xfc, v122, vcc_lo
; %bb.2393:                             ;   in Loop: Header=BB4_2182 Depth=2
	s_or_b32 exec_lo, exec_lo, s12
.LBB4_2394:                             ;   in Loop: Header=BB4_2182 Depth=2
	s_delay_alu instid0(SALU_CYCLE_1) | instskip(SKIP_4) | instid1(VALU_DEP_4)
	s_or_b32 exec_lo, exec_lo, s11
	v_dual_mov_b32 v54, v15 :: v_dual_bitop2_b32 v102, 3, v15 bitop3:0x40
	v_bfe_i32 v119, v15, 0, 8
	v_and_b32_e32 v83, 0x7c, v15
	v_bfe_u32 v103, v15, 2, 5
	v_clz_i32_u32_e32 v24, v102
	v_lshlrev_b32_e32 v112, 24, v15
	v_cmp_lt_i16_e32 vcc_lo, -1, v119
	v_and_b32_e32 v40, 0xff, v11
	v_cmp_eq_u32_e64 s11, 0x7c, v83
	v_min_u32_e32 v82, 32, v24
	v_dual_mov_b32 v24, v11 :: v_dual_cndmask_b32 v83, 0xff800000, v126
	v_cmp_eq_u32_e32 vcc_lo, 0, v102
	s_delay_alu instid0(VALU_DEP_3)
	v_dual_mov_b32 v25, v55 :: v_dual_sub_nc_u32 v117, 30, v82
	v_subrev_nc_u32_e32 v113, 29, v82
	v_cmp_eq_u32_e64 s12, 0, v103
	v_and_or_b32 v112, 0x80000000, v112, s28
	v_cmp_ne_u16_e64 s13, 0, v40
	s_mov_b32 s14, -1
	v_lshlrev_b64_e32 v[42:43], v113, v[54:55]
	v_cndmask_b32_e32 v113, 0x7f800001, v83, vcc_lo
	s_and_b32 vcc_lo, exec_lo, s45
                                        ; implicit-def: $vgpr41
	s_delay_alu instid0(VALU_DEP_2)
	v_and_b32_e32 v118, 3, v42
	s_cbranch_vccz .LBB4_2412
; %bb.2395:                             ;   in Loop: Header=BB4_2182 Depth=2
	v_mov_b32_e32 v41, 0
	s_and_saveexec_b32 s14, s13
	s_cbranch_execz .LBB4_2405
; %bb.2396:                             ;   in Loop: Header=BB4_2182 Depth=2
	v_bfrev_b32_e32 v41, 1
	s_mov_b32 s15, exec_lo
	v_cmpx_ne_u16_e32 0x80, v40
	s_cbranch_execz .LBB4_2404
; %bb.2397:                             ;   in Loop: Header=BB4_2182 Depth=2
	v_and_b32_e32 v82, 0x7c, v11
	v_and_b32_e32 v42, 3, v11
	s_mov_b32 s46, exec_lo
                                        ; implicit-def: $vgpr41
	s_delay_alu instid0(VALU_DEP_2)
	v_cmpx_ne_u32_e32 0x7c, v82
	s_xor_b32 s46, exec_lo, s46
	s_cbranch_execz .LBB4_2401
; %bb.2398:                             ;   in Loop: Header=BB4_2182 Depth=2
	v_bfe_u32 v41, v11, 2, 5
	s_mov_b32 s47, exec_lo
	s_delay_alu instid0(VALU_DEP_1)
	v_cmpx_eq_u32_e32 0, v41
; %bb.2399:                             ;   in Loop: Header=BB4_2182 Depth=2
	v_clz_i32_u32_e32 v82, v42
	s_delay_alu instid0(VALU_DEP_1) | instskip(NEXT) | instid1(VALU_DEP_1)
	v_min_u32_e32 v82, 32, v82
	v_subrev_nc_u32_e32 v83, 29, v82
	v_sub_nc_u32_e32 v41, 30, v82
	s_delay_alu instid0(VALU_DEP_2) | instskip(NEXT) | instid1(VALU_DEP_1)
	v_lshlrev_b64_e32 v[42:43], v83, v[24:25]
	v_and_b32_e32 v42, 3, v42
; %bb.2400:                             ;   in Loop: Header=BB4_2182 Depth=2
	s_or_b32 exec_lo, exec_lo, s47
	v_lshlrev_b32_e32 v82, 24, v11
	s_delay_alu instid0(VALU_DEP_1) | instskip(NEXT) | instid1(VALU_DEP_1)
	v_and_b32_e32 v82, 0x80000000, v82
	v_lshl_add_u32 v82, v41, 23, v82
	s_delay_alu instid0(VALU_DEP_1) | instskip(NEXT) | instid1(VALU_DEP_1)
	v_lshl_or_b32 v82, v42, 21, v82
                                        ; implicit-def: $vgpr42
	v_add_nc_u32_e32 v41, 0x38000000, v82
.LBB4_2401:                             ;   in Loop: Header=BB4_2182 Depth=2
	s_and_not1_saveexec_b32 s46, s46
; %bb.2402:                             ;   in Loop: Header=BB4_2182 Depth=2
	v_bfe_i32 v82, v11, 0, 8
	s_delay_alu instid0(VALU_DEP_1) | instskip(SKIP_2) | instid1(VALU_DEP_2)
	v_cmp_lt_i16_e32 vcc_lo, -1, v82
	v_cndmask_b32_e32 v82, 0xff800000, v126, vcc_lo
	v_cmp_eq_u32_e32 vcc_lo, 0, v42
	v_cndmask_b32_e32 v41, 0x7f800001, v82, vcc_lo
; %bb.2403:                             ;   in Loop: Header=BB4_2182 Depth=2
	s_or_b32 exec_lo, exec_lo, s46
.LBB4_2404:                             ;   in Loop: Header=BB4_2182 Depth=2
	s_delay_alu instid0(SALU_CYCLE_1)
	s_or_b32 exec_lo, exec_lo, s15
.LBB4_2405:                             ;   in Loop: Header=BB4_2182 Depth=2
	s_delay_alu instid0(SALU_CYCLE_1) | instskip(SKIP_3) | instid1(VALU_DEP_1)
	s_or_b32 exec_lo, exec_lo, s14
	v_and_b32_e32 v43, 0xff, v119
	s_mov_b32 s14, 0
	s_mov_b32 s15, exec_lo
	v_cmpx_lt_i16_e32 0x7f, v43
	s_xor_b32 s15, exec_lo, s15
	s_cbranch_execz .LBB4_3041
; %bb.2406:                             ;   in Loop: Header=BB4_2182 Depth=2
	s_mov_b32 s14, -1
	s_mov_b32 s46, exec_lo
	v_cmpx_eq_u16_e32 0x80, v43
; %bb.2407:                             ;   in Loop: Header=BB4_2182 Depth=2
	s_xor_b32 s14, exec_lo, -1
; %bb.2408:                             ;   in Loop: Header=BB4_2182 Depth=2
	s_or_b32 exec_lo, exec_lo, s46
	s_delay_alu instid0(SALU_CYCLE_1)
	s_and_b32 s14, s14, exec_lo
                                        ; implicit-def: $vgpr43
	s_or_saveexec_b32 s15, s15
	v_bfrev_b32_e32 v42, 1
	s_xor_b32 exec_lo, exec_lo, s15
	s_cbranch_execnz .LBB4_3042
.LBB4_2409:                             ;   in Loop: Header=BB4_2182 Depth=2
	s_or_b32 exec_lo, exec_lo, s15
	s_and_saveexec_b32 s15, s14
.LBB4_2410:                             ;   in Loop: Header=BB4_2182 Depth=2
	v_dual_cndmask_b32 v82, v103, v117, s12 :: v_dual_cndmask_b32 v83, v102, v118, s12
	s_delay_alu instid0(VALU_DEP_1) | instskip(NEXT) | instid1(VALU_DEP_1)
	v_lshl_add_u32 v82, v82, 23, v112
	v_lshl_or_b32 v82, v83, 21, v82
	s_delay_alu instid0(VALU_DEP_1)
	v_cndmask_b32_e64 v42, v82, v113, s11
.LBB4_2411:                             ;   in Loop: Header=BB4_2182 Depth=2
	s_or_b32 exec_lo, exec_lo, s15
	s_delay_alu instid0(VALU_DEP_1) | instskip(SKIP_1) | instid1(VALU_DEP_1)
	v_dual_max_num_f32 v82, v42, v42 :: v_dual_max_num_f32 v83, v41, v41
	s_mov_b32 s14, 0
	v_max_num_f32_e32 v41, v83, v82
.LBB4_2412:                             ;   in Loop: Header=BB4_2182 Depth=2
	s_and_b32 vcc_lo, exec_lo, s14
	s_cbranch_vccz .LBB4_2430
; %bb.2413:                             ;   in Loop: Header=BB4_2182 Depth=2
	v_mov_b32_e32 v41, 0
	s_and_saveexec_b32 s14, s13
	s_cbranch_execz .LBB4_2423
; %bb.2414:                             ;   in Loop: Header=BB4_2182 Depth=2
	v_bfrev_b32_e32 v41, 1
	s_mov_b32 s13, exec_lo
	v_cmpx_ne_u16_e32 0x80, v40
	s_cbranch_execz .LBB4_2422
; %bb.2415:                             ;   in Loop: Header=BB4_2182 Depth=2
	v_and_b32_e32 v82, 0x7c, v11
	v_and_b32_e32 v40, 3, v11
	s_mov_b32 s15, exec_lo
                                        ; implicit-def: $vgpr41
	s_delay_alu instid0(VALU_DEP_2)
	v_cmpx_ne_u32_e32 0x7c, v82
	s_xor_b32 s15, exec_lo, s15
	s_cbranch_execz .LBB4_2419
; %bb.2416:                             ;   in Loop: Header=BB4_2182 Depth=2
	v_bfe_u32 v41, v11, 2, 5
	s_mov_b32 s46, exec_lo
	s_delay_alu instid0(VALU_DEP_1)
	v_cmpx_eq_u32_e32 0, v41
; %bb.2417:                             ;   in Loop: Header=BB4_2182 Depth=2
	v_clz_i32_u32_e32 v82, v40
	s_delay_alu instid0(VALU_DEP_1) | instskip(NEXT) | instid1(VALU_DEP_1)
	v_min_u32_e32 v82, 32, v82
	v_subrev_nc_u32_e32 v83, 29, v82
	s_delay_alu instid0(VALU_DEP_1) | instskip(NEXT) | instid1(VALU_DEP_1)
	v_lshlrev_b64_e32 v[40:41], v83, v[24:25]
	v_dual_sub_nc_u32 v41, 30, v82 :: v_dual_bitop2_b32 v40, 3, v40 bitop3:0x40
; %bb.2418:                             ;   in Loop: Header=BB4_2182 Depth=2
	s_or_b32 exec_lo, exec_lo, s46
	v_lshlrev_b32_e32 v25, 24, v11
	s_delay_alu instid0(VALU_DEP_1) | instskip(NEXT) | instid1(VALU_DEP_1)
	v_and_b32_e32 v25, 0x80000000, v25
	v_lshl_add_u32 v25, v41, 23, v25
	s_delay_alu instid0(VALU_DEP_1) | instskip(NEXT) | instid1(VALU_DEP_1)
	v_lshl_or_b32 v25, v40, 21, v25
                                        ; implicit-def: $vgpr40
	v_add_nc_u32_e32 v41, 0x38000000, v25
.LBB4_2419:                             ;   in Loop: Header=BB4_2182 Depth=2
	s_and_not1_saveexec_b32 s15, s15
; %bb.2420:                             ;   in Loop: Header=BB4_2182 Depth=2
	v_bfe_i32 v25, v11, 0, 8
	s_delay_alu instid0(VALU_DEP_1) | instskip(SKIP_2) | instid1(VALU_DEP_2)
	v_cmp_lt_i16_e32 vcc_lo, -1, v25
	v_cndmask_b32_e32 v25, 0xff800000, v126, vcc_lo
	v_cmp_eq_u32_e32 vcc_lo, 0, v40
	v_cndmask_b32_e32 v41, 0x7f800001, v25, vcc_lo
; %bb.2421:                             ;   in Loop: Header=BB4_2182 Depth=2
	s_or_b32 exec_lo, exec_lo, s15
.LBB4_2422:                             ;   in Loop: Header=BB4_2182 Depth=2
	s_delay_alu instid0(SALU_CYCLE_1)
	s_or_b32 exec_lo, exec_lo, s13
.LBB4_2423:                             ;   in Loop: Header=BB4_2182 Depth=2
	s_delay_alu instid0(SALU_CYCLE_1) | instskip(SKIP_3) | instid1(VALU_DEP_1)
	s_or_b32 exec_lo, exec_lo, s14
	v_and_b32_e32 v119, 0xff, v119
	s_mov_b32 s13, 0
	s_mov_b32 s14, exec_lo
	v_cmpx_lt_i16_e32 0x7f, v119
	s_xor_b32 s14, exec_lo, s14
	s_cbranch_execz .LBB4_3043
; %bb.2424:                             ;   in Loop: Header=BB4_2182 Depth=2
	s_mov_b32 s13, -1
	s_mov_b32 s15, exec_lo
	v_cmpx_eq_u16_e32 0x80, v119
; %bb.2425:                             ;   in Loop: Header=BB4_2182 Depth=2
	s_xor_b32 s13, exec_lo, -1
; %bb.2426:                             ;   in Loop: Header=BB4_2182 Depth=2
	s_or_b32 exec_lo, exec_lo, s15
	s_delay_alu instid0(SALU_CYCLE_1)
	s_and_b32 s13, s13, exec_lo
                                        ; implicit-def: $vgpr119
	s_or_saveexec_b32 s14, s14
	v_bfrev_b32_e32 v25, 1
	s_xor_b32 exec_lo, exec_lo, s14
	s_cbranch_execnz .LBB4_3044
.LBB4_2427:                             ;   in Loop: Header=BB4_2182 Depth=2
	s_or_b32 exec_lo, exec_lo, s14
	s_and_saveexec_b32 s14, s13
.LBB4_2428:                             ;   in Loop: Header=BB4_2182 Depth=2
	v_dual_cndmask_b32 v25, v103, v117, s12 :: v_dual_cndmask_b32 v82, v102, v118, s12
	s_delay_alu instid0(VALU_DEP_1) | instskip(NEXT) | instid1(VALU_DEP_1)
	v_lshl_add_u32 v25, v25, 23, v112
	v_lshl_or_b32 v25, v82, 21, v25
	s_delay_alu instid0(VALU_DEP_1)
	v_cndmask_b32_e64 v25, v25, v113, s11
.LBB4_2429:                             ;   in Loop: Header=BB4_2182 Depth=2
	s_or_b32 exec_lo, exec_lo, s14
	s_delay_alu instid0(VALU_DEP_1) | instskip(SKIP_1) | instid1(VALU_DEP_1)
	v_max_num_f32_e32 v25, v25, v25
	v_max_num_f32_e32 v82, v41, v41
	v_min_num_f32_e32 v41, v82, v25
.LBB4_2430:                             ;   in Loop: Header=BB4_2182 Depth=2
	s_delay_alu instid0(VALU_DEP_1) | instskip(SKIP_4) | instid1(VALU_DEP_3)
	v_and_b32_e32 v112, 0x7f800000, v41
	v_dual_mov_b32 v113, v55 :: v_dual_mov_b32 v103, v55
	v_and_b32_e32 v102, 0x7fffff, v41
	v_lshrrev_b32_e32 v25, 24, v41
                                        ; implicit-def: $vgpr117
	s_mov_b32 s11, exec_lo
	v_cmpx_ne_u64_e32 0x7f800000, v[112:113]
	s_xor_b32 s12, exec_lo, s11
	s_cbranch_execz .LBB4_2444
; %bb.2431:                             ;   in Loop: Header=BB4_2182 Depth=2
	v_and_b32_e32 v112, 0x7fffffff, v41
	v_mov_b32_e32 v113, v55
	v_and_b32_e32 v25, 0x80, v25
                                        ; implicit-def: $vgpr117
	s_mov_b32 s11, exec_lo
	s_delay_alu instid0(VALU_DEP_2)
	v_cmpx_gt_u64_e32 0x47600001, v[112:113]
	s_xor_b32 s13, exec_lo, s11
	s_cbranch_execz .LBB4_2441
; %bb.2432:                             ;   in Loop: Header=BB4_2182 Depth=2
	v_mov_b32_e32 v117, 0
	s_mov_b32 s14, exec_lo
	v_cmpx_ne_u32_e32 0, v41
	s_cbranch_execz .LBB4_2440
; %bb.2433:                             ;   in Loop: Header=BB4_2182 Depth=2
	v_bfe_u32 v117, v41, 23, 8
	v_or_b32_e32 v83, 0x800000, v102
	s_delay_alu instid0(VALU_DEP_2) | instskip(SKIP_1) | instid1(VALU_DEP_2)
	v_sub_nc_u32_e32 v82, 0x71, v117
	v_cmp_gt_u32_e32 vcc_lo, 0x72, v117
	v_cndmask_b32_e32 v82, 0, v82, vcc_lo
	v_cmp_eq_u32_e32 vcc_lo, 0, v117
	s_delay_alu instid0(VALU_DEP_2) | instskip(SKIP_1) | instid1(VALU_DEP_2)
	v_cndmask_b32_e64 v118, v82, 0x70, vcc_lo
	v_cndmask_b32_e32 v102, v83, v102, vcc_lo
	v_add_nc_u32_e32 v82, 21, v118
	s_delay_alu instid0(VALU_DEP_1) | instskip(SKIP_1) | instid1(VALU_DEP_1)
	v_lshlrev_b64_e64 v[112:113], v82, -1
	v_add_nc_u32_e32 v82, 20, v118
	v_lshlrev_b64_e64 v[40:41], v82, 1
	s_delay_alu instid0(VALU_DEP_3) | instskip(SKIP_2) | instid1(VALU_DEP_1)
	v_bfi_b32 v112, v112, 0, v102
	v_lshrrev_b64 v[102:103], v118, v[102:103]
	v_bfi_b32 v113, v113, 0, 0
	v_cmp_eq_u64_e64 s11, v[112:113], v[40:41]
	s_delay_alu instid0(VALU_DEP_3)
	v_mov_b64_e32 v[112:113], v[102:103]
	s_and_saveexec_b32 s15, s11
; %bb.2434:                             ;   in Loop: Header=BB4_2182 Depth=2
	v_bfe_u32 v112, v102, 21, 1
	v_mov_b32_e32 v113, v55
	s_delay_alu instid0(VALU_DEP_1) | instskip(NEXT) | instid1(VALU_DEP_1)
	v_add_nc_u64_e32 v[112:113], v[102:103], v[112:113]
	v_add_nc_u64_e32 v[112:113], -1, v[112:113]
; %bb.2435:                             ;   in Loop: Header=BB4_2182 Depth=2
	s_or_b32 exec_lo, exec_lo, s15
	v_dual_mov_b32 v103, v55 :: v_dual_add_nc_u32 v82, 0xffffff81, v117
	v_lshrrev_b32_e32 v83, 23, v102
	s_mov_b32 s11, exec_lo
	s_delay_alu instid0(VALU_DEP_2) | instskip(NEXT) | instid1(VALU_DEP_1)
	v_cndmask_b32_e64 v82, v82, 0xffffff82, vcc_lo
	v_add3_u32 v113, v118, v82, v83
	v_and_b32_e32 v82, 0x1fffff, v112
                                        ; implicit-def: $vgpr112
	s_delay_alu instid0(VALU_DEP_1) | instskip(NEXT) | instid1(VALU_DEP_1)
	v_dual_add_nc_u32 v117, 14, v113 :: v_dual_add_nc_u32 v102, v82, v102
	v_cmpx_ne_u32_e32 0, v117
	s_xor_b32 s11, exec_lo, s11
; %bb.2436:                             ;   in Loop: Header=BB4_2182 Depth=2
	s_delay_alu instid0(VALU_DEP_2) | instskip(SKIP_1) | instid1(VALU_DEP_1)
	v_cmp_lt_u64_e32 vcc_lo, 0xffffff, v[102:103]
	v_add_nc_u32_e32 v82, 15, v113
	v_cndmask_b32_e32 v112, v117, v82, vcc_lo
	v_cndmask_b32_e64 v82, 0, 1, vcc_lo
	s_delay_alu instid0(VALU_DEP_1)
	v_lshrrev_b64 v[102:103], v82, v[102:103]
; %bb.2437:                             ;   in Loop: Header=BB4_2182 Depth=2
	s_and_not1_saveexec_b32 s11, s11
; %bb.2438:                             ;   in Loop: Header=BB4_2182 Depth=2
	s_delay_alu instid0(VALU_DEP_1)
	v_bfe_u32 v112, v102, 23, 1
; %bb.2439:                             ;   in Loop: Header=BB4_2182 Depth=2
	s_or_b32 exec_lo, exec_lo, s11
	s_delay_alu instid0(VALU_DEP_2) | instskip(NEXT) | instid1(VALU_DEP_2)
	v_lshrrev_b64 v[102:103], 21, v[102:103]
	v_cmp_gt_i32_e32 vcc_lo, 32, v112
	v_min_i32_e32 v82, 31, v112
	v_cmp_eq_u32_e64 s11, 0, v112
	s_delay_alu instid0(VALU_DEP_2) | instskip(SKIP_1) | instid1(VALU_DEP_2)
	v_dual_cndmask_b32 v103, 0, v103 :: v_dual_lshlrev_b32 v82, 2, v82
	v_cndmask_b32_e32 v102, 3, v102, vcc_lo
	v_and_b32_e32 v82, 0xfc, v82
	s_delay_alu instid0(VALU_DEP_2) | instskip(NEXT) | instid1(VALU_DEP_2)
	v_cmp_eq_u64_e32 vcc_lo, 0, v[102:103]
	v_and_or_b32 v82, v102, 3, v82
	s_and_b32 s11, s11, vcc_lo
	s_delay_alu instid0(VALU_DEP_1) | instid1(SALU_CYCLE_1)
	v_cndmask_b32_e64 v82, v82, 0, s11
	s_delay_alu instid0(VALU_DEP_1)
	v_or_b32_e32 v117, v82, v25
.LBB4_2440:                             ;   in Loop: Header=BB4_2182 Depth=2
	s_or_b32 exec_lo, exec_lo, s14
                                        ; implicit-def: $vgpr25
.LBB4_2441:                             ;   in Loop: Header=BB4_2182 Depth=2
	s_and_not1_saveexec_b32 s11, s13
; %bb.2442:                             ;   in Loop: Header=BB4_2182 Depth=2
	v_or_b32_e32 v117, 0x7b, v25
; %bb.2443:                             ;   in Loop: Header=BB4_2182 Depth=2
	s_or_b32 exec_lo, exec_lo, s11
                                        ; implicit-def: $vgpr41
                                        ; implicit-def: $vgpr102_vgpr103
                                        ; implicit-def: $vgpr25
.LBB4_2444:                             ;   in Loop: Header=BB4_2182 Depth=2
	s_and_not1_saveexec_b32 s11, s12
	s_cbranch_execz .LBB4_2450
; %bb.2445:                             ;   in Loop: Header=BB4_2182 Depth=2
	s_mov_b32 s12, exec_lo
                                        ; implicit-def: $vgpr117
	v_cmpx_ne_u64_e32 0, v[102:103]
	s_xor_b32 s12, exec_lo, s12
; %bb.2446:                             ;   in Loop: Header=BB4_2182 Depth=2
	v_or_b32_e32 v117, 0x7f, v25
                                        ; implicit-def: $vgpr41
; %bb.2447:                             ;   in Loop: Header=BB4_2182 Depth=2
	s_and_not1_saveexec_b32 s12, s12
; %bb.2448:                             ;   in Loop: Header=BB4_2182 Depth=2
	v_cmp_lt_i32_e32 vcc_lo, -1, v41
	v_cndmask_b32_e32 v117, 0xfc, v122, vcc_lo
; %bb.2449:                             ;   in Loop: Header=BB4_2182 Depth=2
	s_or_b32 exec_lo, exec_lo, s12
.LBB4_2450:                             ;   in Loop: Header=BB4_2182 Depth=2
	s_delay_alu instid0(SALU_CYCLE_1)
	s_or_b32 exec_lo, exec_lo, s11
	v_lshrrev_b16 v102, 8, v54
	v_cmp_lt_i16_e32 vcc_lo, -1, v54
	v_lshrrev_b16 v112, 8, v24
	s_mov_b32 s14, -1
	v_mov_b32_e32 v103, v55
	v_and_b32_e32 v82, 0xffff, v102
	v_lshlrev_b32_e32 v119, 24, v102
	v_cmp_ne_u16_e64 s13, 0, v112
	s_delay_alu instid0(VALU_DEP_3) | instskip(SKIP_2) | instid1(VALU_DEP_3)
	v_and_b32_e32 v118, 3, v82
	v_and_b32_e32 v41, 0x7c, v82
	v_bfe_u32 v54, v82, 2, 5
	v_clz_i32_u32_e32 v25, v118
	s_delay_alu instid0(VALU_DEP_3) | instskip(NEXT) | instid1(VALU_DEP_3)
	v_cmp_eq_u32_e64 s11, 0x7c, v41
	v_cmp_eq_u32_e64 s12, 0, v54
	s_delay_alu instid0(VALU_DEP_3) | instskip(SKIP_3) | instid1(VALU_DEP_4)
	v_min_u32_e32 v83, 32, v25
	v_cndmask_b32_e32 v113, 0xff800000, v126, vcc_lo
	v_cmp_eq_u32_e32 vcc_lo, 0, v118
	v_and_b32_e32 v25, 0xffff, v112
	v_subrev_nc_u32_e32 v40, 29, v83
	s_delay_alu instid0(VALU_DEP_1) | instskip(SKIP_3) | instid1(VALU_DEP_3)
	v_lshlrev_b64_e32 v[42:43], v40, v[102:103]
	v_and_or_b32 v103, 0x80000000, v119, s28
	v_dual_cndmask_b32 v119, 0x7f800001, v113 :: v_dual_sub_nc_u32 v40, 30, v83
	s_and_b32 vcc_lo, exec_lo, s45
	v_and_b32_e32 v41, 3, v42
                                        ; implicit-def: $vgpr42
	s_cbranch_vccz .LBB4_2468
; %bb.2451:                             ;   in Loop: Header=BB4_2182 Depth=2
	v_mov_b32_e32 v113, 0
	s_and_saveexec_b32 s14, s13
	s_cbranch_execz .LBB4_2461
; %bb.2452:                             ;   in Loop: Header=BB4_2182 Depth=2
	v_bfrev_b32_e32 v113, 1
	s_mov_b32 s15, exec_lo
	v_cmpx_ne_u16_e32 0x80, v112
	s_cbranch_execz .LBB4_2460
; %bb.2453:                             ;   in Loop: Header=BB4_2182 Depth=2
	v_and_b32_e32 v82, 0x7c, v25
	v_and_b32_e32 v42, 3, v25
	s_mov_b32 s46, exec_lo
                                        ; implicit-def: $vgpr113
	s_delay_alu instid0(VALU_DEP_2)
	v_cmpx_ne_u32_e32 0x7c, v82
	s_xor_b32 s46, exec_lo, s46
	s_cbranch_execz .LBB4_2457
; %bb.2454:                             ;   in Loop: Header=BB4_2182 Depth=2
	v_bfe_u32 v113, v25, 2, 5
	s_mov_b32 s47, exec_lo
	s_delay_alu instid0(VALU_DEP_1)
	v_cmpx_eq_u32_e32 0, v113
	s_cbranch_execz .LBB4_2456
; %bb.2455:                             ;   in Loop: Header=BB4_2182 Depth=2
	v_clz_i32_u32_e32 v82, v42
	v_mov_b32_e32 v113, v55
	s_delay_alu instid0(VALU_DEP_2) | instskip(NEXT) | instid1(VALU_DEP_1)
	v_min_u32_e32 v82, 32, v82
	v_subrev_nc_u32_e32 v83, 29, v82
	s_delay_alu instid0(VALU_DEP_1) | instskip(SKIP_1) | instid1(VALU_DEP_2)
	v_lshlrev_b64_e32 v[42:43], v83, v[112:113]
	v_sub_nc_u32_e32 v113, 30, v82
	v_and_b32_e32 v42, 3, v42
.LBB4_2456:                             ;   in Loop: Header=BB4_2182 Depth=2
	s_or_b32 exec_lo, exec_lo, s47
	v_lshlrev_b32_e32 v82, 16, v24
	s_delay_alu instid0(VALU_DEP_1) | instskip(NEXT) | instid1(VALU_DEP_1)
	v_and_b32_e32 v82, 0x80000000, v82
	v_lshl_add_u32 v82, v113, 23, v82
	s_delay_alu instid0(VALU_DEP_1) | instskip(NEXT) | instid1(VALU_DEP_1)
	v_lshl_or_b32 v82, v42, 21, v82
                                        ; implicit-def: $vgpr42
	v_add_nc_u32_e32 v113, 0x38000000, v82
.LBB4_2457:                             ;   in Loop: Header=BB4_2182 Depth=2
	s_and_not1_saveexec_b32 s46, s46
; %bb.2458:                             ;   in Loop: Header=BB4_2182 Depth=2
	v_cmp_lt_i16_e32 vcc_lo, -1, v24
	v_cndmask_b32_e32 v82, 0xff800000, v126, vcc_lo
	v_cmp_eq_u32_e32 vcc_lo, 0, v42
	s_delay_alu instid0(VALU_DEP_2)
	v_cndmask_b32_e32 v113, 0x7f800001, v82, vcc_lo
; %bb.2459:                             ;   in Loop: Header=BB4_2182 Depth=2
	s_or_b32 exec_lo, exec_lo, s46
.LBB4_2460:                             ;   in Loop: Header=BB4_2182 Depth=2
	s_delay_alu instid0(SALU_CYCLE_1)
	s_or_b32 exec_lo, exec_lo, s15
.LBB4_2461:                             ;   in Loop: Header=BB4_2182 Depth=2
	s_delay_alu instid0(SALU_CYCLE_1)
	s_or_b32 exec_lo, exec_lo, s14
	s_mov_b32 s14, 0
	s_mov_b32 s15, exec_lo
	v_cmpx_lt_i16_e32 0x7f, v102
	s_xor_b32 s15, exec_lo, s15
	s_cbranch_execz .LBB4_3045
; %bb.2462:                             ;   in Loop: Header=BB4_2182 Depth=2
	s_mov_b32 s14, -1
	s_mov_b32 s46, exec_lo
	v_cmpx_eq_u16_e32 0x80, v102
; %bb.2463:                             ;   in Loop: Header=BB4_2182 Depth=2
	s_xor_b32 s14, exec_lo, -1
; %bb.2464:                             ;   in Loop: Header=BB4_2182 Depth=2
	s_or_b32 exec_lo, exec_lo, s46
	s_delay_alu instid0(SALU_CYCLE_1)
	s_and_b32 s14, s14, exec_lo
	s_or_saveexec_b32 s15, s15
	v_bfrev_b32_e32 v42, 1
	s_xor_b32 exec_lo, exec_lo, s15
	s_cbranch_execnz .LBB4_3046
.LBB4_2465:                             ;   in Loop: Header=BB4_2182 Depth=2
	s_or_b32 exec_lo, exec_lo, s15
	s_and_saveexec_b32 s15, s14
.LBB4_2466:                             ;   in Loop: Header=BB4_2182 Depth=2
	v_cndmask_b32_e64 v82, v54, v40, s12
	v_cndmask_b32_e64 v83, v118, v41, s12
	s_delay_alu instid0(VALU_DEP_2) | instskip(NEXT) | instid1(VALU_DEP_1)
	v_lshl_add_u32 v82, v82, 23, v103
	v_lshl_or_b32 v82, v83, 21, v82
	s_delay_alu instid0(VALU_DEP_1)
	v_cndmask_b32_e64 v42, v82, v119, s11
.LBB4_2467:                             ;   in Loop: Header=BB4_2182 Depth=2
	s_or_b32 exec_lo, exec_lo, s15
	s_delay_alu instid0(VALU_DEP_1) | instskip(SKIP_1) | instid1(VALU_DEP_1)
	v_dual_max_num_f32 v82, v42, v42 :: v_dual_max_num_f32 v83, v113, v113
	s_mov_b32 s14, 0
	v_max_num_f32_e32 v42, v83, v82
.LBB4_2468:                             ;   in Loop: Header=BB4_2182 Depth=2
	s_and_b32 vcc_lo, exec_lo, s14
	s_cbranch_vccz .LBB4_2486
; %bb.2469:                             ;   in Loop: Header=BB4_2182 Depth=2
	v_mov_b32_e32 v113, 0
	s_and_saveexec_b32 s14, s13
	s_cbranch_execz .LBB4_2479
; %bb.2470:                             ;   in Loop: Header=BB4_2182 Depth=2
	v_bfrev_b32_e32 v113, 1
	s_mov_b32 s13, exec_lo
	v_cmpx_ne_u16_e32 0x80, v112
	s_cbranch_execz .LBB4_2478
; %bb.2471:                             ;   in Loop: Header=BB4_2182 Depth=2
	v_and_b32_e32 v82, 0x7c, v25
	v_and_b32_e32 v42, 3, v25
	s_mov_b32 s15, exec_lo
                                        ; implicit-def: $vgpr113
	s_delay_alu instid0(VALU_DEP_2)
	v_cmpx_ne_u32_e32 0x7c, v82
	s_xor_b32 s15, exec_lo, s15
	s_cbranch_execz .LBB4_2475
; %bb.2472:                             ;   in Loop: Header=BB4_2182 Depth=2
	v_bfe_u32 v25, v25, 2, 5
	s_mov_b32 s46, exec_lo
	s_delay_alu instid0(VALU_DEP_1)
	v_cmpx_eq_u32_e32 0, v25
	s_cbranch_execz .LBB4_2474
; %bb.2473:                             ;   in Loop: Header=BB4_2182 Depth=2
	v_clz_i32_u32_e32 v25, v42
	s_delay_alu instid0(VALU_DEP_1) | instskip(SKIP_1) | instid1(VALU_DEP_2)
	v_min_u32_e32 v25, 32, v25
	v_mov_b32_e32 v113, v55
	v_subrev_nc_u32_e32 v82, 29, v25
	v_sub_nc_u32_e32 v25, 30, v25
	s_delay_alu instid0(VALU_DEP_2) | instskip(NEXT) | instid1(VALU_DEP_1)
	v_lshlrev_b64_e32 v[112:113], v82, v[112:113]
	v_and_b32_e32 v42, 3, v112
.LBB4_2474:                             ;   in Loop: Header=BB4_2182 Depth=2
	s_or_b32 exec_lo, exec_lo, s46
	v_lshlrev_b32_e32 v24, 16, v24
	s_delay_alu instid0(VALU_DEP_1) | instskip(NEXT) | instid1(VALU_DEP_1)
	v_and_b32_e32 v24, 0x80000000, v24
	v_lshl_add_u32 v24, v25, 23, v24
	s_delay_alu instid0(VALU_DEP_1) | instskip(NEXT) | instid1(VALU_DEP_1)
	v_lshl_or_b32 v24, v42, 21, v24
                                        ; implicit-def: $vgpr42
	v_add_nc_u32_e32 v113, 0x38000000, v24
                                        ; implicit-def: $vgpr24_vgpr25
.LBB4_2475:                             ;   in Loop: Header=BB4_2182 Depth=2
	s_and_not1_saveexec_b32 s15, s15
; %bb.2476:                             ;   in Loop: Header=BB4_2182 Depth=2
	v_cmp_lt_i16_e32 vcc_lo, -1, v24
	v_cndmask_b32_e32 v24, 0xff800000, v126, vcc_lo
	v_cmp_eq_u32_e32 vcc_lo, 0, v42
	s_delay_alu instid0(VALU_DEP_2)
	v_cndmask_b32_e32 v113, 0x7f800001, v24, vcc_lo
; %bb.2477:                             ;   in Loop: Header=BB4_2182 Depth=2
	s_or_b32 exec_lo, exec_lo, s15
.LBB4_2478:                             ;   in Loop: Header=BB4_2182 Depth=2
	s_delay_alu instid0(SALU_CYCLE_1)
	s_or_b32 exec_lo, exec_lo, s13
.LBB4_2479:                             ;   in Loop: Header=BB4_2182 Depth=2
	s_delay_alu instid0(SALU_CYCLE_1)
	s_or_b32 exec_lo, exec_lo, s14
	s_mov_b32 s13, 0
	s_mov_b32 s14, exec_lo
	v_cmpx_lt_i16_e32 0x7f, v102
	s_xor_b32 s14, exec_lo, s14
	s_cbranch_execz .LBB4_3047
; %bb.2480:                             ;   in Loop: Header=BB4_2182 Depth=2
	s_mov_b32 s13, -1
	s_mov_b32 s15, exec_lo
	v_cmpx_eq_u16_e32 0x80, v102
; %bb.2481:                             ;   in Loop: Header=BB4_2182 Depth=2
	s_xor_b32 s13, exec_lo, -1
; %bb.2482:                             ;   in Loop: Header=BB4_2182 Depth=2
	s_or_b32 exec_lo, exec_lo, s15
	s_delay_alu instid0(SALU_CYCLE_1)
	s_and_b32 s13, s13, exec_lo
                                        ; implicit-def: $vgpr102
	s_or_saveexec_b32 s14, s14
	v_bfrev_b32_e32 v24, 1
	s_xor_b32 exec_lo, exec_lo, s14
	s_cbranch_execnz .LBB4_3048
.LBB4_2483:                             ;   in Loop: Header=BB4_2182 Depth=2
	s_or_b32 exec_lo, exec_lo, s14
	s_and_saveexec_b32 s14, s13
.LBB4_2484:                             ;   in Loop: Header=BB4_2182 Depth=2
	v_cndmask_b32_e64 v24, v54, v40, s12
	v_cndmask_b32_e64 v25, v118, v41, s12
	s_delay_alu instid0(VALU_DEP_2) | instskip(NEXT) | instid1(VALU_DEP_1)
	v_lshl_add_u32 v24, v24, 23, v103
	v_lshl_or_b32 v24, v25, 21, v24
	s_delay_alu instid0(VALU_DEP_1)
	v_cndmask_b32_e64 v24, v24, v119, s11
.LBB4_2485:                             ;   in Loop: Header=BB4_2182 Depth=2
	s_or_b32 exec_lo, exec_lo, s14
	s_delay_alu instid0(VALU_DEP_1) | instskip(NEXT) | instid1(VALU_DEP_1)
	v_dual_max_num_f32 v24, v24, v24 :: v_dual_max_num_f32 v25, v113, v113
	v_min_num_f32_e32 v42, v25, v24
.LBB4_2486:                             ;   in Loop: Header=BB4_2182 Depth=2
	s_delay_alu instid0(VALU_DEP_1) | instskip(SKIP_2) | instid1(VALU_DEP_2)
	v_and_b32_e32 v24, 0x7f800000, v42
	v_mov_b32_e32 v25, v55
	v_and_b32_e32 v54, 0x7fffff, v42
                                        ; implicit-def: $vgpr112
	v_cmp_ne_u64_e32 vcc_lo, 0x7f800000, v[24:25]
	v_lshrrev_b32_e32 v24, 24, v42
	s_and_saveexec_b32 s11, vcc_lo
	s_delay_alu instid0(SALU_CYCLE_1)
	s_xor_b32 s12, exec_lo, s11
	s_cbranch_execz .LBB4_2500
; %bb.2487:                             ;   in Loop: Header=BB4_2182 Depth=2
	v_and_b32_e32 v102, 0x7fffffff, v42
	v_mov_b32_e32 v103, v55
	v_and_b32_e32 v113, 0x80, v24
                                        ; implicit-def: $vgpr112
	s_mov_b32 s11, exec_lo
	s_delay_alu instid0(VALU_DEP_2)
	v_cmpx_gt_u64_e32 0x47600001, v[102:103]
	s_xor_b32 s13, exec_lo, s11
	s_cbranch_execz .LBB4_2497
; %bb.2488:                             ;   in Loop: Header=BB4_2182 Depth=2
	v_mov_b32_e32 v112, 0
	s_mov_b32 s14, exec_lo
	v_cmpx_ne_u32_e32 0, v42
	s_cbranch_execz .LBB4_2496
; %bb.2489:                             ;   in Loop: Header=BB4_2182 Depth=2
	v_bfe_u32 v112, v42, 23, 8
	v_or_b32_e32 v82, 0x800000, v54
	s_delay_alu instid0(VALU_DEP_2) | instskip(SKIP_1) | instid1(VALU_DEP_2)
	v_sub_nc_u32_e32 v24, 0x71, v112
	v_cmp_gt_u32_e32 vcc_lo, 0x72, v112
	v_cndmask_b32_e32 v24, 0, v24, vcc_lo
	v_cmp_eq_u32_e32 vcc_lo, 0, v112
	s_delay_alu instid0(VALU_DEP_2) | instskip(SKIP_1) | instid1(VALU_DEP_2)
	v_cndmask_b32_e64 v118, v24, 0x70, vcc_lo
	v_cndmask_b32_e32 v54, v82, v54, vcc_lo
	v_dual_add_nc_u32 v24, 21, v118 :: v_dual_add_nc_u32 v83, 20, v118
	s_delay_alu instid0(VALU_DEP_1) | instskip(NEXT) | instid1(VALU_DEP_2)
	v_lshlrev_b64_e64 v[24:25], v24, -1
	v_lshlrev_b64_e64 v[102:103], v83, 1
	s_delay_alu instid0(VALU_DEP_2) | instskip(NEXT) | instid1(VALU_DEP_3)
	v_bfi_b32 v41, v25, 0, 0
	v_bfi_b32 v40, v24, 0, v54
	v_lshrrev_b64 v[24:25], v118, v[54:55]
	s_delay_alu instid0(VALU_DEP_2) | instskip(NEXT) | instid1(VALU_DEP_2)
	v_cmp_eq_u64_e64 s11, v[40:41], v[102:103]
	v_mov_b64_e32 v[102:103], v[24:25]
	s_and_saveexec_b32 s15, s11
; %bb.2490:                             ;   in Loop: Header=BB4_2182 Depth=2
	v_bfe_u32 v54, v24, 21, 1
	s_delay_alu instid0(VALU_DEP_1) | instskip(NEXT) | instid1(VALU_DEP_1)
	v_add_nc_u64_e32 v[102:103], v[24:25], v[54:55]
	v_add_nc_u64_e32 v[102:103], -1, v[102:103]
; %bb.2491:                             ;   in Loop: Header=BB4_2182 Depth=2
	s_or_b32 exec_lo, exec_lo, s15
	v_add_nc_u32_e32 v25, 0xffffff81, v112
	v_lshrrev_b32_e32 v54, 23, v24
	s_mov_b32 s11, exec_lo
	s_delay_alu instid0(VALU_DEP_2) | instskip(NEXT) | instid1(VALU_DEP_1)
	v_cndmask_b32_e64 v25, v25, 0xffffff82, vcc_lo
	v_add3_u32 v103, v118, v25, v54
	v_and_b32_e32 v25, 0x1fffff, v102
                                        ; implicit-def: $vgpr102
	s_delay_alu instid0(VALU_DEP_1) | instskip(NEXT) | instid1(VALU_DEP_1)
	v_dual_add_nc_u32 v112, 14, v103 :: v_dual_add_nc_u32 v54, v25, v24
                                        ; implicit-def: $vgpr24_vgpr25
	v_cmpx_ne_u32_e32 0, v112
	s_xor_b32 s11, exec_lo, s11
; %bb.2492:                             ;   in Loop: Header=BB4_2182 Depth=2
	s_delay_alu instid0(VALU_DEP_2) | instskip(SKIP_1) | instid1(VALU_DEP_1)
	v_cmp_lt_u64_e32 vcc_lo, 0xffffff, v[54:55]
	v_add_nc_u32_e32 v24, 15, v103
	v_cndmask_b32_e32 v102, v112, v24, vcc_lo
	v_cndmask_b32_e64 v24, 0, 1, vcc_lo
	s_delay_alu instid0(VALU_DEP_1)
	v_lshrrev_b64 v[24:25], v24, v[54:55]
; %bb.2493:                             ;   in Loop: Header=BB4_2182 Depth=2
	s_and_not1_saveexec_b32 s11, s11
; %bb.2494:                             ;   in Loop: Header=BB4_2182 Depth=2
	v_mov_b64_e32 v[24:25], v[54:55]
	v_bfe_u32 v102, v54, 23, 1
; %bb.2495:                             ;   in Loop: Header=BB4_2182 Depth=2
	s_or_b32 exec_lo, exec_lo, s11
	s_delay_alu instid0(VALU_DEP_2) | instskip(NEXT) | instid1(VALU_DEP_2)
	v_lshrrev_b64 v[24:25], 21, v[24:25]
	v_cmp_gt_i32_e32 vcc_lo, 32, v102
	v_min_i32_e32 v54, 31, v102
	v_cmp_eq_u32_e64 s11, 0, v102
	s_delay_alu instid0(VALU_DEP_2) | instskip(SKIP_1) | instid1(VALU_DEP_2)
	v_dual_cndmask_b32 v25, 0, v25 :: v_dual_lshlrev_b32 v54, 2, v54
	v_cndmask_b32_e32 v24, 3, v24, vcc_lo
	v_and_b32_e32 v54, 0xfc, v54
	s_delay_alu instid0(VALU_DEP_2) | instskip(NEXT) | instid1(VALU_DEP_2)
	v_cmp_eq_u64_e32 vcc_lo, 0, v[24:25]
	v_and_or_b32 v24, v24, 3, v54
	s_and_b32 s11, s11, vcc_lo
	s_delay_alu instid0(VALU_DEP_1) | instid1(SALU_CYCLE_1)
	v_cndmask_b32_e64 v24, v24, 0, s11
	s_delay_alu instid0(VALU_DEP_1)
	v_or_b32_e32 v112, v24, v113
.LBB4_2496:                             ;   in Loop: Header=BB4_2182 Depth=2
	s_or_b32 exec_lo, exec_lo, s14
                                        ; implicit-def: $vgpr113
.LBB4_2497:                             ;   in Loop: Header=BB4_2182 Depth=2
	s_and_not1_saveexec_b32 s11, s13
; %bb.2498:                             ;   in Loop: Header=BB4_2182 Depth=2
	v_or_b32_e32 v112, 0x7b, v113
; %bb.2499:                             ;   in Loop: Header=BB4_2182 Depth=2
	s_or_b32 exec_lo, exec_lo, s11
                                        ; implicit-def: $vgpr42
                                        ; implicit-def: $vgpr24
.LBB4_2500:                             ;   in Loop: Header=BB4_2182 Depth=2
	s_and_not1_saveexec_b32 s11, s12
	s_cbranch_execz .LBB4_2506
; %bb.2501:                             ;   in Loop: Header=BB4_2182 Depth=2
	s_mov_b32 s12, exec_lo
                                        ; implicit-def: $vgpr112
	v_cmpx_ne_u64_e32 0, v[54:55]
	s_xor_b32 s12, exec_lo, s12
; %bb.2502:                             ;   in Loop: Header=BB4_2182 Depth=2
	v_or_b32_e32 v112, 0x7f, v24
                                        ; implicit-def: $vgpr42
; %bb.2503:                             ;   in Loop: Header=BB4_2182 Depth=2
	s_and_not1_saveexec_b32 s12, s12
; %bb.2504:                             ;   in Loop: Header=BB4_2182 Depth=2
	v_cmp_lt_i32_e32 vcc_lo, -1, v42
	v_cndmask_b32_e32 v112, 0xfc, v122, vcc_lo
; %bb.2505:                             ;   in Loop: Header=BB4_2182 Depth=2
	s_or_b32 exec_lo, exec_lo, s12
.LBB4_2506:                             ;   in Loop: Header=BB4_2182 Depth=2
	s_delay_alu instid0(SALU_CYCLE_1) | instskip(SKIP_4) | instid1(VALU_DEP_3)
	s_or_b32 exec_lo, exec_lo, s11
	v_bfe_u32 v25, v15, 16, 2
	v_dual_lshrrev_b32 v102, 16, v15 :: v_dual_lshlrev_b32 v103, 8, v15
	v_and_b32_e32 v83, 0x7c0000, v15
	s_mov_b32 s14, -1
	v_clz_i32_u32_e32 v54, v25
	s_delay_alu instid0(VALU_DEP_3) | instskip(NEXT) | instid1(VALU_DEP_3)
	v_bfe_i32 v119, v102, 0, 8
                                        ; implicit-def: $vgpr41
	v_cmp_eq_u32_e64 s11, 0x7c0000, v83
	s_delay_alu instid0(VALU_DEP_3) | instskip(NEXT) | instid1(VALU_DEP_3)
	v_min_u32_e32 v82, 32, v54
	v_cmp_lt_i16_e32 vcc_lo, -1, v119
	v_lshrrev_b32_e32 v24, 16, v11
	v_bfe_u32 v54, v15, 18, 5
	s_delay_alu instid0(VALU_DEP_4) | instskip(SKIP_1) | instid1(VALU_DEP_4)
	v_subrev_nc_u32_e32 v113, 29, v82
	v_cndmask_b32_e32 v83, 0xff800000, v126, vcc_lo
	v_and_b32_e32 v40, 0xff, v24
	v_cmp_eq_u32_e32 vcc_lo, 0, v25
	v_cmp_eq_u32_e64 s12, 0, v54
	v_lshlrev_b64_e32 v[42:43], v113, v[102:103]
	v_and_or_b32 v102, 0x80000000, v103, s28
	v_cmp_ne_u16_e64 s13, 0, v40
	v_sub_nc_u32_e32 v113, 30, v82
	v_cndmask_b32_e32 v103, 0x7f800001, v83, vcc_lo
	s_and_b32 vcc_lo, exec_lo, s45
	v_and_b32_e32 v118, 3, v42
	s_cbranch_vccz .LBB4_2524
; %bb.2507:                             ;   in Loop: Header=BB4_2182 Depth=2
	v_mov_b32_e32 v41, 0
	s_and_saveexec_b32 s14, s13
	s_cbranch_execz .LBB4_2517
; %bb.2508:                             ;   in Loop: Header=BB4_2182 Depth=2
	v_bfrev_b32_e32 v41, 1
	s_mov_b32 s15, exec_lo
	v_cmpx_ne_u16_e32 0x80, v40
	s_cbranch_execz .LBB4_2516
; %bb.2509:                             ;   in Loop: Header=BB4_2182 Depth=2
	v_and_b32_e32 v82, 0x7c0000, v11
	v_bfe_u32 v42, v11, 16, 2
	s_mov_b32 s46, exec_lo
                                        ; implicit-def: $vgpr41
	s_delay_alu instid0(VALU_DEP_2)
	v_cmpx_ne_u32_e32 0x7c0000, v82
	s_xor_b32 s46, exec_lo, s46
	s_cbranch_execz .LBB4_2513
; %bb.2510:                             ;   in Loop: Header=BB4_2182 Depth=2
	v_bfe_u32 v41, v11, 18, 5
	s_mov_b32 s47, exec_lo
	s_delay_alu instid0(VALU_DEP_1)
	v_cmpx_eq_u32_e32 0, v41
; %bb.2511:                             ;   in Loop: Header=BB4_2182 Depth=2
	v_clz_i32_u32_e32 v82, v42
	s_delay_alu instid0(VALU_DEP_1) | instskip(NEXT) | instid1(VALU_DEP_1)
	v_min_u32_e32 v82, 32, v82
	v_subrev_nc_u32_e32 v83, 29, v82
	v_sub_nc_u32_e32 v41, 30, v82
	s_delay_alu instid0(VALU_DEP_2) | instskip(NEXT) | instid1(VALU_DEP_1)
	v_lshlrev_b64_e32 v[42:43], v83, v[24:25]
	v_and_b32_e32 v42, 3, v42
; %bb.2512:                             ;   in Loop: Header=BB4_2182 Depth=2
	s_or_b32 exec_lo, exec_lo, s47
	v_lshlrev_b32_e32 v82, 24, v24
	s_delay_alu instid0(VALU_DEP_1) | instskip(NEXT) | instid1(VALU_DEP_1)
	v_and_b32_e32 v82, 0x80000000, v82
	v_lshl_add_u32 v82, v41, 23, v82
	s_delay_alu instid0(VALU_DEP_1) | instskip(NEXT) | instid1(VALU_DEP_1)
	v_lshl_or_b32 v82, v42, 21, v82
                                        ; implicit-def: $vgpr42
	v_add_nc_u32_e32 v41, 0x38000000, v82
.LBB4_2513:                             ;   in Loop: Header=BB4_2182 Depth=2
	s_and_not1_saveexec_b32 s46, s46
; %bb.2514:                             ;   in Loop: Header=BB4_2182 Depth=2
	v_bfe_i32 v82, v24, 0, 8
	s_delay_alu instid0(VALU_DEP_1) | instskip(SKIP_2) | instid1(VALU_DEP_2)
	v_cmp_lt_i16_e32 vcc_lo, -1, v82
	v_cndmask_b32_e32 v82, 0xff800000, v126, vcc_lo
	v_cmp_eq_u32_e32 vcc_lo, 0, v42
	v_cndmask_b32_e32 v41, 0x7f800001, v82, vcc_lo
; %bb.2515:                             ;   in Loop: Header=BB4_2182 Depth=2
	s_or_b32 exec_lo, exec_lo, s46
.LBB4_2516:                             ;   in Loop: Header=BB4_2182 Depth=2
	s_delay_alu instid0(SALU_CYCLE_1)
	s_or_b32 exec_lo, exec_lo, s15
.LBB4_2517:                             ;   in Loop: Header=BB4_2182 Depth=2
	s_delay_alu instid0(SALU_CYCLE_1) | instskip(SKIP_3) | instid1(VALU_DEP_1)
	s_or_b32 exec_lo, exec_lo, s14
	v_and_b32_e32 v43, 0xff, v119
	s_mov_b32 s14, 0
	s_mov_b32 s15, exec_lo
	v_cmpx_lt_i16_e32 0x7f, v43
	s_xor_b32 s15, exec_lo, s15
	s_cbranch_execz .LBB4_3049
; %bb.2518:                             ;   in Loop: Header=BB4_2182 Depth=2
	s_mov_b32 s14, -1
	s_mov_b32 s46, exec_lo
	v_cmpx_eq_u16_e32 0x80, v43
; %bb.2519:                             ;   in Loop: Header=BB4_2182 Depth=2
	s_xor_b32 s14, exec_lo, -1
; %bb.2520:                             ;   in Loop: Header=BB4_2182 Depth=2
	s_or_b32 exec_lo, exec_lo, s46
	s_delay_alu instid0(SALU_CYCLE_1)
	s_and_b32 s14, s14, exec_lo
                                        ; implicit-def: $vgpr43
	s_or_saveexec_b32 s15, s15
	v_bfrev_b32_e32 v42, 1
	s_xor_b32 exec_lo, exec_lo, s15
	s_cbranch_execnz .LBB4_3050
.LBB4_2521:                             ;   in Loop: Header=BB4_2182 Depth=2
	s_or_b32 exec_lo, exec_lo, s15
	s_and_saveexec_b32 s15, s14
.LBB4_2522:                             ;   in Loop: Header=BB4_2182 Depth=2
	v_dual_cndmask_b32 v82, v54, v113, s12 :: v_dual_cndmask_b32 v83, v25, v118, s12
	s_delay_alu instid0(VALU_DEP_1) | instskip(NEXT) | instid1(VALU_DEP_1)
	v_lshl_add_u32 v82, v82, 23, v102
	v_lshl_or_b32 v82, v83, 21, v82
	s_delay_alu instid0(VALU_DEP_1)
	v_cndmask_b32_e64 v42, v82, v103, s11
.LBB4_2523:                             ;   in Loop: Header=BB4_2182 Depth=2
	s_or_b32 exec_lo, exec_lo, s15
	s_delay_alu instid0(VALU_DEP_1) | instskip(SKIP_1) | instid1(VALU_DEP_1)
	v_dual_max_num_f32 v82, v42, v42 :: v_dual_max_num_f32 v83, v41, v41
	s_mov_b32 s14, 0
	v_max_num_f32_e32 v41, v83, v82
.LBB4_2524:                             ;   in Loop: Header=BB4_2182 Depth=2
	s_and_b32 vcc_lo, exec_lo, s14
	s_cbranch_vccz .LBB4_2542
; %bb.2525:                             ;   in Loop: Header=BB4_2182 Depth=2
	v_mov_b32_e32 v41, 0
	s_and_saveexec_b32 s14, s13
	s_cbranch_execz .LBB4_2535
; %bb.2526:                             ;   in Loop: Header=BB4_2182 Depth=2
	v_bfrev_b32_e32 v41, 1
	s_mov_b32 s13, exec_lo
	v_cmpx_ne_u16_e32 0x80, v40
	s_cbranch_execz .LBB4_2534
; %bb.2527:                             ;   in Loop: Header=BB4_2182 Depth=2
	v_and_b32_e32 v82, 0x7c0000, v11
	v_bfe_u32 v40, v11, 16, 2
	s_mov_b32 s15, exec_lo
                                        ; implicit-def: $vgpr41
	s_delay_alu instid0(VALU_DEP_2)
	v_cmpx_ne_u32_e32 0x7c0000, v82
	s_xor_b32 s15, exec_lo, s15
	s_cbranch_execz .LBB4_2531
; %bb.2528:                             ;   in Loop: Header=BB4_2182 Depth=2
	v_bfe_u32 v41, v11, 18, 5
	s_mov_b32 s46, exec_lo
	s_delay_alu instid0(VALU_DEP_1)
	v_cmpx_eq_u32_e32 0, v41
; %bb.2529:                             ;   in Loop: Header=BB4_2182 Depth=2
	v_clz_i32_u32_e32 v82, v40
	s_delay_alu instid0(VALU_DEP_1) | instskip(NEXT) | instid1(VALU_DEP_1)
	v_min_u32_e32 v82, 32, v82
	v_subrev_nc_u32_e32 v83, 29, v82
	s_delay_alu instid0(VALU_DEP_1) | instskip(NEXT) | instid1(VALU_DEP_1)
	v_lshlrev_b64_e32 v[40:41], v83, v[24:25]
	v_dual_sub_nc_u32 v41, 30, v82 :: v_dual_bitop2_b32 v40, 3, v40 bitop3:0x40
; %bb.2530:                             ;   in Loop: Header=BB4_2182 Depth=2
	s_or_b32 exec_lo, exec_lo, s46
	v_lshlrev_b32_e32 v24, 24, v24
	s_delay_alu instid0(VALU_DEP_1) | instskip(NEXT) | instid1(VALU_DEP_1)
	v_and_b32_e32 v24, 0x80000000, v24
	v_lshl_add_u32 v24, v41, 23, v24
	s_delay_alu instid0(VALU_DEP_1) | instskip(NEXT) | instid1(VALU_DEP_1)
	v_lshl_or_b32 v24, v40, 21, v24
                                        ; implicit-def: $vgpr40
	v_add_nc_u32_e32 v41, 0x38000000, v24
                                        ; implicit-def: $vgpr24
.LBB4_2531:                             ;   in Loop: Header=BB4_2182 Depth=2
	s_and_not1_saveexec_b32 s15, s15
; %bb.2532:                             ;   in Loop: Header=BB4_2182 Depth=2
	v_bfe_i32 v24, v24, 0, 8
	s_delay_alu instid0(VALU_DEP_1) | instskip(SKIP_2) | instid1(VALU_DEP_2)
	v_cmp_lt_i16_e32 vcc_lo, -1, v24
	v_cndmask_b32_e32 v24, 0xff800000, v126, vcc_lo
	v_cmp_eq_u32_e32 vcc_lo, 0, v40
	v_cndmask_b32_e32 v41, 0x7f800001, v24, vcc_lo
; %bb.2533:                             ;   in Loop: Header=BB4_2182 Depth=2
	s_or_b32 exec_lo, exec_lo, s15
.LBB4_2534:                             ;   in Loop: Header=BB4_2182 Depth=2
	s_delay_alu instid0(SALU_CYCLE_1)
	s_or_b32 exec_lo, exec_lo, s13
.LBB4_2535:                             ;   in Loop: Header=BB4_2182 Depth=2
	s_delay_alu instid0(SALU_CYCLE_1) | instskip(SKIP_3) | instid1(VALU_DEP_1)
	s_or_b32 exec_lo, exec_lo, s14
	v_and_b32_e32 v119, 0xff, v119
	s_mov_b32 s13, 0
	s_mov_b32 s14, exec_lo
	v_cmpx_lt_i16_e32 0x7f, v119
	s_xor_b32 s14, exec_lo, s14
	s_cbranch_execz .LBB4_3051
; %bb.2536:                             ;   in Loop: Header=BB4_2182 Depth=2
	s_mov_b32 s13, -1
	s_mov_b32 s15, exec_lo
	v_cmpx_eq_u16_e32 0x80, v119
; %bb.2537:                             ;   in Loop: Header=BB4_2182 Depth=2
	s_xor_b32 s13, exec_lo, -1
; %bb.2538:                             ;   in Loop: Header=BB4_2182 Depth=2
	s_or_b32 exec_lo, exec_lo, s15
	s_delay_alu instid0(SALU_CYCLE_1)
	s_and_b32 s13, s13, exec_lo
                                        ; implicit-def: $vgpr119
	s_or_saveexec_b32 s14, s14
	v_bfrev_b32_e32 v24, 1
	s_xor_b32 exec_lo, exec_lo, s14
	s_cbranch_execnz .LBB4_3052
.LBB4_2539:                             ;   in Loop: Header=BB4_2182 Depth=2
	s_or_b32 exec_lo, exec_lo, s14
	s_and_saveexec_b32 s14, s13
.LBB4_2540:                             ;   in Loop: Header=BB4_2182 Depth=2
	v_dual_cndmask_b32 v24, v54, v113, s12 :: v_dual_cndmask_b32 v25, v25, v118, s12
	s_delay_alu instid0(VALU_DEP_1) | instskip(NEXT) | instid1(VALU_DEP_1)
	v_lshl_add_u32 v24, v24, 23, v102
	v_lshl_or_b32 v24, v25, 21, v24
	s_delay_alu instid0(VALU_DEP_1)
	v_cndmask_b32_e64 v24, v24, v103, s11
.LBB4_2541:                             ;   in Loop: Header=BB4_2182 Depth=2
	s_or_b32 exec_lo, exec_lo, s14
	s_delay_alu instid0(VALU_DEP_1) | instskip(NEXT) | instid1(VALU_DEP_1)
	v_dual_max_num_f32 v24, v24, v24 :: v_dual_max_num_f32 v25, v41, v41
	v_min_num_f32_e32 v41, v25, v24
.LBB4_2542:                             ;   in Loop: Header=BB4_2182 Depth=2
	s_delay_alu instid0(VALU_DEP_1) | instskip(SKIP_2) | instid1(VALU_DEP_2)
	v_and_b32_e32 v24, 0x7f800000, v41
	v_mov_b32_e32 v25, v55
	v_and_b32_e32 v54, 0x7fffff, v41
                                        ; implicit-def: $vgpr102
	v_cmp_ne_u64_e32 vcc_lo, 0x7f800000, v[24:25]
	v_lshrrev_b32_e32 v24, 24, v41
	s_and_saveexec_b32 s11, vcc_lo
	s_delay_alu instid0(SALU_CYCLE_1)
	s_xor_b32 s12, exec_lo, s11
	s_cbranch_execz .LBB4_2556
; %bb.2543:                             ;   in Loop: Header=BB4_2182 Depth=2
	v_and_b32_e32 v102, 0x7fffffff, v41
	v_mov_b32_e32 v103, v55
	v_and_b32_e32 v113, 0x80, v24
	s_delay_alu instid0(VALU_DEP_2) | instskip(SKIP_1) | instid1(SALU_CYCLE_1)
	v_cmp_gt_u64_e32 vcc_lo, 0x47600001, v[102:103]
                                        ; implicit-def: $vgpr102
	s_and_saveexec_b32 s11, vcc_lo
	s_xor_b32 s13, exec_lo, s11
	s_cbranch_execz .LBB4_2553
; %bb.2544:                             ;   in Loop: Header=BB4_2182 Depth=2
	v_mov_b32_e32 v102, 0
	s_mov_b32 s14, exec_lo
	v_cmpx_ne_u32_e32 0, v41
	s_cbranch_execz .LBB4_2552
; %bb.2545:                             ;   in Loop: Header=BB4_2182 Depth=2
	v_bfe_u32 v118, v41, 23, 8
	v_or_b32_e32 v82, 0x800000, v54
	s_delay_alu instid0(VALU_DEP_2) | instskip(SKIP_1) | instid1(VALU_DEP_2)
	v_sub_nc_u32_e32 v24, 0x71, v118
	v_cmp_gt_u32_e32 vcc_lo, 0x72, v118
	v_cndmask_b32_e32 v24, 0, v24, vcc_lo
	v_cmp_eq_u32_e32 vcc_lo, 0, v118
	s_delay_alu instid0(VALU_DEP_2) | instskip(NEXT) | instid1(VALU_DEP_1)
	v_cndmask_b32_e64 v119, v24, 0x70, vcc_lo
	v_dual_cndmask_b32 v54, v82, v54, vcc_lo :: v_dual_add_nc_u32 v24, 21, v119
	v_add_nc_u32_e32 v83, 20, v119
	s_delay_alu instid0(VALU_DEP_2) | instskip(NEXT) | instid1(VALU_DEP_2)
	v_lshlrev_b64_e64 v[24:25], v24, -1
	v_lshlrev_b64_e64 v[102:103], v83, 1
	s_delay_alu instid0(VALU_DEP_2) | instskip(NEXT) | instid1(VALU_DEP_3)
	v_bfi_b32 v41, v25, 0, 0
	v_bfi_b32 v40, v24, 0, v54
	v_lshrrev_b64 v[24:25], v119, v[54:55]
	s_delay_alu instid0(VALU_DEP_2) | instskip(NEXT) | instid1(VALU_DEP_2)
	v_cmp_eq_u64_e64 s11, v[40:41], v[102:103]
	v_mov_b64_e32 v[102:103], v[24:25]
	s_and_saveexec_b32 s15, s11
; %bb.2546:                             ;   in Loop: Header=BB4_2182 Depth=2
	v_bfe_u32 v54, v24, 21, 1
	s_delay_alu instid0(VALU_DEP_1) | instskip(NEXT) | instid1(VALU_DEP_1)
	v_add_nc_u64_e32 v[102:103], v[24:25], v[54:55]
	v_add_nc_u64_e32 v[102:103], -1, v[102:103]
; %bb.2547:                             ;   in Loop: Header=BB4_2182 Depth=2
	s_or_b32 exec_lo, exec_lo, s15
	v_add_nc_u32_e32 v25, 0xffffff81, v118
	v_lshrrev_b32_e32 v54, 23, v24
	s_mov_b32 s11, exec_lo
	s_delay_alu instid0(VALU_DEP_2) | instskip(NEXT) | instid1(VALU_DEP_1)
	v_cndmask_b32_e64 v25, v25, 0xffffff82, vcc_lo
	v_add3_u32 v103, v119, v25, v54
	v_and_b32_e32 v25, 0x1fffff, v102
                                        ; implicit-def: $vgpr102
	s_delay_alu instid0(VALU_DEP_1) | instskip(NEXT) | instid1(VALU_DEP_1)
	v_dual_add_nc_u32 v118, 14, v103 :: v_dual_add_nc_u32 v54, v25, v24
                                        ; implicit-def: $vgpr24_vgpr25
	v_cmpx_ne_u32_e32 0, v118
	s_xor_b32 s11, exec_lo, s11
; %bb.2548:                             ;   in Loop: Header=BB4_2182 Depth=2
	s_delay_alu instid0(VALU_DEP_2) | instskip(SKIP_1) | instid1(VALU_DEP_1)
	v_cmp_lt_u64_e32 vcc_lo, 0xffffff, v[54:55]
	v_add_nc_u32_e32 v24, 15, v103
	v_cndmask_b32_e32 v102, v118, v24, vcc_lo
	v_cndmask_b32_e64 v24, 0, 1, vcc_lo
	s_delay_alu instid0(VALU_DEP_1)
	v_lshrrev_b64 v[24:25], v24, v[54:55]
; %bb.2549:                             ;   in Loop: Header=BB4_2182 Depth=2
	s_and_not1_saveexec_b32 s11, s11
; %bb.2550:                             ;   in Loop: Header=BB4_2182 Depth=2
	v_mov_b64_e32 v[24:25], v[54:55]
	v_bfe_u32 v102, v54, 23, 1
; %bb.2551:                             ;   in Loop: Header=BB4_2182 Depth=2
	s_or_b32 exec_lo, exec_lo, s11
	s_delay_alu instid0(VALU_DEP_2) | instskip(NEXT) | instid1(VALU_DEP_2)
	v_lshrrev_b64 v[24:25], 21, v[24:25]
	v_cmp_gt_i32_e32 vcc_lo, 32, v102
	v_min_i32_e32 v54, 31, v102
	v_cmp_eq_u32_e64 s11, 0, v102
	s_delay_alu instid0(VALU_DEP_2) | instskip(SKIP_1) | instid1(VALU_DEP_2)
	v_dual_cndmask_b32 v25, 0, v25 :: v_dual_lshlrev_b32 v54, 2, v54
	v_cndmask_b32_e32 v24, 3, v24, vcc_lo
	v_and_b32_e32 v54, 0xfc, v54
	s_delay_alu instid0(VALU_DEP_2) | instskip(NEXT) | instid1(VALU_DEP_2)
	v_cmp_eq_u64_e32 vcc_lo, 0, v[24:25]
	v_and_or_b32 v24, v24, 3, v54
	s_and_b32 s11, s11, vcc_lo
	s_delay_alu instid0(VALU_DEP_1) | instid1(SALU_CYCLE_1)
	v_cndmask_b32_e64 v24, v24, 0, s11
	s_delay_alu instid0(VALU_DEP_1)
	v_or_b32_e32 v102, v24, v113
.LBB4_2552:                             ;   in Loop: Header=BB4_2182 Depth=2
	s_or_b32 exec_lo, exec_lo, s14
                                        ; implicit-def: $vgpr113
.LBB4_2553:                             ;   in Loop: Header=BB4_2182 Depth=2
	s_and_not1_saveexec_b32 s11, s13
; %bb.2554:                             ;   in Loop: Header=BB4_2182 Depth=2
	v_or_b32_e32 v102, 0x7b, v113
; %bb.2555:                             ;   in Loop: Header=BB4_2182 Depth=2
	s_or_b32 exec_lo, exec_lo, s11
                                        ; implicit-def: $vgpr41
                                        ; implicit-def: $vgpr24
.LBB4_2556:                             ;   in Loop: Header=BB4_2182 Depth=2
	s_and_not1_saveexec_b32 s11, s12
	s_cbranch_execz .LBB4_2562
; %bb.2557:                             ;   in Loop: Header=BB4_2182 Depth=2
	s_mov_b32 s12, exec_lo
                                        ; implicit-def: $vgpr102
	v_cmpx_ne_u64_e32 0, v[54:55]
	s_xor_b32 s12, exec_lo, s12
; %bb.2558:                             ;   in Loop: Header=BB4_2182 Depth=2
	v_or_b32_e32 v102, 0x7f, v24
                                        ; implicit-def: $vgpr41
; %bb.2559:                             ;   in Loop: Header=BB4_2182 Depth=2
	s_and_not1_saveexec_b32 s12, s12
; %bb.2560:                             ;   in Loop: Header=BB4_2182 Depth=2
	v_cmp_lt_i32_e32 vcc_lo, -1, v41
	v_cndmask_b32_e32 v102, 0xfc, v122, vcc_lo
; %bb.2561:                             ;   in Loop: Header=BB4_2182 Depth=2
	s_or_b32 exec_lo, exec_lo, s12
.LBB4_2562:                             ;   in Loop: Header=BB4_2182 Depth=2
	s_delay_alu instid0(SALU_CYCLE_1)
	s_or_b32 exec_lo, exec_lo, s11
	v_bfe_u32 v25, v15, 24, 2
	v_lshrrev_b32_e32 v118, 24, v15
	v_cmp_lt_i64_e32 vcc_lo, -1, v[14:15]
	v_cmp_gt_u64_e64 s11, s[18:19], v[14:15]
	v_and_b32_e32 v83, 0x7c000000, v15
	v_clz_i32_u32_e32 v54, v25
	v_cmp_lt_u64_e64 s15, s[16:17], v[10:11]
	v_and_or_b32 v103, 0x80000000, v15, s28
	s_mov_b32 s46, -1
	v_cndmask_b32_e32 v14, 0xff800000, v126, vcc_lo
	v_min_u32_e32 v82, 32, v54
	v_bfe_u32 v54, v15, 26, 5
	v_cmp_eq_u32_e32 vcc_lo, 0, v25
	v_lshrrev_b32_e32 v24, 24, v11
	v_cmp_eq_u32_e64 s13, 0x7c000000, v83
	v_subrev_nc_u32_e32 v113, 29, v82
	v_cmp_eq_u32_e64 s14, 0, v54
	v_cndmask_b32_e32 v14, 0x7f800001, v14, vcc_lo
	v_sub_nc_u32_e32 v15, 30, v82
	s_and_b32 vcc_lo, exec_lo, s45
	v_lshlrev_b64_e32 v[40:41], v113, v[118:119]
	s_delay_alu instid0(VALU_DEP_1)
	v_and_b32_e32 v113, 3, v40
	v_cmp_eq_u32_e64 s12, 0x80, v118
                                        ; implicit-def: $vgpr118
	s_cbranch_vccz .LBB4_2574
; %bb.2563:                             ;   in Loop: Header=BB4_2182 Depth=2
	v_mov_b32_e32 v118, 0
	s_and_saveexec_b32 s46, s15
	s_cbranch_execz .LBB4_2573
; %bb.2564:                             ;   in Loop: Header=BB4_2182 Depth=2
	v_bfrev_b32_e32 v118, 1
	s_mov_b32 s47, exec_lo
	v_cmpx_ne_u32_e32 0x80, v24
	s_cbranch_execz .LBB4_2572
; %bb.2565:                             ;   in Loop: Header=BB4_2182 Depth=2
	v_and_b32_e32 v82, 0x7c000000, v11
	v_bfe_u32 v119, v11, 24, 2
	s_mov_b32 s56, exec_lo
                                        ; implicit-def: $vgpr118
	s_delay_alu instid0(VALU_DEP_2)
	v_cmpx_ne_u32_e32 0x7c000000, v82
	s_xor_b32 s56, exec_lo, s56
	s_cbranch_execz .LBB4_2569
; %bb.2566:                             ;   in Loop: Header=BB4_2182 Depth=2
	v_bfe_u32 v118, v11, 26, 5
	s_mov_b32 s57, exec_lo
	s_delay_alu instid0(VALU_DEP_1)
	v_cmpx_eq_u32_e32 0, v118
; %bb.2567:                             ;   in Loop: Header=BB4_2182 Depth=2
	v_clz_i32_u32_e32 v82, v119
	s_delay_alu instid0(VALU_DEP_1) | instskip(NEXT) | instid1(VALU_DEP_1)
	v_min_u32_e32 v82, 32, v82
	v_subrev_nc_u32_e32 v83, 29, v82
	s_delay_alu instid0(VALU_DEP_1) | instskip(NEXT) | instid1(VALU_DEP_1)
	v_lshlrev_b64_e32 v[40:41], v83, v[24:25]
	v_dual_sub_nc_u32 v118, 30, v82 :: v_dual_bitop2_b32 v119, 3, v40 bitop3:0x40
; %bb.2568:                             ;   in Loop: Header=BB4_2182 Depth=2
	s_or_b32 exec_lo, exec_lo, s57
	v_and_b32_e32 v82, 0x80000000, v11
	s_delay_alu instid0(VALU_DEP_1) | instskip(NEXT) | instid1(VALU_DEP_1)
	v_lshl_add_u32 v82, v118, 23, v82
	v_lshl_or_b32 v82, v119, 21, v82
                                        ; implicit-def: $vgpr119
	s_delay_alu instid0(VALU_DEP_1)
	v_add_nc_u32_e32 v118, 0x38000000, v82
.LBB4_2569:                             ;   in Loop: Header=BB4_2182 Depth=2
	s_and_not1_saveexec_b32 s56, s56
; %bb.2570:                             ;   in Loop: Header=BB4_2182 Depth=2
	v_cmp_lt_i64_e32 vcc_lo, -1, v[10:11]
	v_cndmask_b32_e32 v82, 0xff800000, v126, vcc_lo
	v_cmp_eq_u32_e32 vcc_lo, 0, v119
	s_delay_alu instid0(VALU_DEP_2)
	v_cndmask_b32_e32 v118, 0x7f800001, v82, vcc_lo
; %bb.2571:                             ;   in Loop: Header=BB4_2182 Depth=2
	s_or_b32 exec_lo, exec_lo, s56
.LBB4_2572:                             ;   in Loop: Header=BB4_2182 Depth=2
	s_delay_alu instid0(SALU_CYCLE_1)
	s_or_b32 exec_lo, exec_lo, s47
.LBB4_2573:                             ;   in Loop: Header=BB4_2182 Depth=2
	s_delay_alu instid0(SALU_CYCLE_1) | instskip(SKIP_2) | instid1(VALU_DEP_1)
	s_or_b32 exec_lo, exec_lo, s46
	v_dual_cndmask_b32 v82, v54, v15, s14 :: v_dual_cndmask_b32 v83, v25, v113, s14
	s_mov_b32 s46, 0
	v_lshl_add_u32 v82, v82, 23, v103
	s_delay_alu instid0(VALU_DEP_1) | instskip(SKIP_1) | instid1(VALU_DEP_2)
	v_lshl_or_b32 v82, v83, 21, v82
	v_max_num_f32_e32 v83, v118, v118
	v_cndmask_b32_e64 v82, v82, v14, s13
	s_delay_alu instid0(VALU_DEP_1) | instskip(NEXT) | instid1(VALU_DEP_1)
	v_cndmask_b32_e64 v82, v82, 0x80000000, s12
	v_cndmask_b32_e64 v82, v82, 0, s11
	s_delay_alu instid0(VALU_DEP_1) | instskip(NEXT) | instid1(VALU_DEP_1)
	v_max_num_f32_e32 v82, v82, v82
	v_max_num_f32_e32 v118, v83, v82
.LBB4_2574:                             ;   in Loop: Header=BB4_2182 Depth=2
	s_and_b32 vcc_lo, exec_lo, s46
	s_cbranch_vccz .LBB4_2586
; %bb.2575:                             ;   in Loop: Header=BB4_2182 Depth=2
	v_mov_b32_e32 v118, 0
	s_and_saveexec_b32 s46, s15
	s_cbranch_execz .LBB4_2585
; %bb.2576:                             ;   in Loop: Header=BB4_2182 Depth=2
	v_bfrev_b32_e32 v118, 1
	s_mov_b32 s15, exec_lo
	v_cmpx_ne_u32_e32 0x80, v24
	s_cbranch_execz .LBB4_2584
; %bb.2577:                             ;   in Loop: Header=BB4_2182 Depth=2
	v_and_b32_e32 v82, 0x7c000000, v11
	v_bfe_u32 v119, v11, 24, 2
	s_mov_b32 s47, exec_lo
                                        ; implicit-def: $vgpr118
	s_delay_alu instid0(VALU_DEP_2)
	v_cmpx_ne_u32_e32 0x7c000000, v82
	s_xor_b32 s47, exec_lo, s47
	s_cbranch_execz .LBB4_2581
; %bb.2578:                             ;   in Loop: Header=BB4_2182 Depth=2
	v_bfe_u32 v118, v11, 26, 5
	s_mov_b32 s56, exec_lo
	s_delay_alu instid0(VALU_DEP_1)
	v_cmpx_eq_u32_e32 0, v118
; %bb.2579:                             ;   in Loop: Header=BB4_2182 Depth=2
	v_clz_i32_u32_e32 v82, v119
	s_delay_alu instid0(VALU_DEP_1) | instskip(NEXT) | instid1(VALU_DEP_1)
	v_min_u32_e32 v82, 32, v82
	v_subrev_nc_u32_e32 v83, 29, v82
	s_delay_alu instid0(VALU_DEP_1) | instskip(NEXT) | instid1(VALU_DEP_1)
	v_lshlrev_b64_e32 v[40:41], v83, v[24:25]
	v_dual_sub_nc_u32 v118, 30, v82 :: v_dual_bitop2_b32 v119, 3, v40 bitop3:0x40
; %bb.2580:                             ;   in Loop: Header=BB4_2182 Depth=2
	s_or_b32 exec_lo, exec_lo, s56
	v_and_b32_e32 v24, 0x80000000, v11
	s_delay_alu instid0(VALU_DEP_1) | instskip(NEXT) | instid1(VALU_DEP_1)
	v_lshl_add_u32 v24, v118, 23, v24
	v_lshl_or_b32 v24, v119, 21, v24
                                        ; implicit-def: $vgpr119
	s_delay_alu instid0(VALU_DEP_1)
	v_add_nc_u32_e32 v118, 0x38000000, v24
.LBB4_2581:                             ;   in Loop: Header=BB4_2182 Depth=2
	s_and_not1_saveexec_b32 s47, s47
; %bb.2582:                             ;   in Loop: Header=BB4_2182 Depth=2
	v_cmp_lt_i64_e32 vcc_lo, -1, v[10:11]
	v_cndmask_b32_e32 v10, 0xff800000, v126, vcc_lo
	v_cmp_eq_u32_e32 vcc_lo, 0, v119
	s_delay_alu instid0(VALU_DEP_2)
	v_cndmask_b32_e32 v118, 0x7f800001, v10, vcc_lo
; %bb.2583:                             ;   in Loop: Header=BB4_2182 Depth=2
	s_or_b32 exec_lo, exec_lo, s47
.LBB4_2584:                             ;   in Loop: Header=BB4_2182 Depth=2
	s_delay_alu instid0(SALU_CYCLE_1)
	s_or_b32 exec_lo, exec_lo, s15
.LBB4_2585:                             ;   in Loop: Header=BB4_2182 Depth=2
	s_delay_alu instid0(SALU_CYCLE_1) | instskip(SKIP_1) | instid1(VALU_DEP_1)
	s_or_b32 exec_lo, exec_lo, s46
	v_dual_cndmask_b32 v10, v54, v15, s14 :: v_dual_cndmask_b32 v11, v25, v113, s14
	v_lshl_add_u32 v10, v10, 23, v103
	s_delay_alu instid0(VALU_DEP_1) | instskip(SKIP_1) | instid1(VALU_DEP_2)
	v_lshl_or_b32 v10, v11, 21, v10
	v_max_num_f32_e32 v11, v118, v118
	v_cndmask_b32_e64 v10, v10, v14, s13
	s_delay_alu instid0(VALU_DEP_1) | instskip(NEXT) | instid1(VALU_DEP_1)
	v_cndmask_b32_e64 v10, v10, 0x80000000, s12
	v_cndmask_b32_e64 v10, v10, 0, s11
	s_delay_alu instid0(VALU_DEP_1) | instskip(NEXT) | instid1(VALU_DEP_1)
	v_max_num_f32_e32 v10, v10, v10
	v_min_num_f32_e32 v118, v11, v10
.LBB4_2586:                             ;   in Loop: Header=BB4_2182 Depth=2
	s_delay_alu instid0(VALU_DEP_1) | instskip(SKIP_2) | instid1(VALU_DEP_2)
	v_and_b32_e32 v10, 0x7f800000, v118
	v_mov_b32_e32 v11, v55
	v_and_b32_e32 v54, 0x7fffff, v118
                                        ; implicit-def: $vgpr103
	v_cmp_ne_u64_e32 vcc_lo, 0x7f800000, v[10:11]
	v_lshrrev_b32_e32 v10, 24, v118
	s_and_saveexec_b32 s11, vcc_lo
	s_delay_alu instid0(SALU_CYCLE_1)
	s_xor_b32 s12, exec_lo, s11
	s_cbranch_execz .LBB4_2600
; %bb.2587:                             ;   in Loop: Header=BB4_2182 Depth=2
	v_and_b32_e32 v14, 0x7fffffff, v118
	v_mov_b32_e32 v15, v55
	v_and_b32_e32 v24, 0x80, v10
                                        ; implicit-def: $vgpr103
	s_mov_b32 s11, exec_lo
	s_delay_alu instid0(VALU_DEP_2)
	v_cmpx_gt_u64_e32 0x47600001, v[14:15]
	s_xor_b32 s13, exec_lo, s11
	s_cbranch_execz .LBB4_2597
; %bb.2588:                             ;   in Loop: Header=BB4_2182 Depth=2
	v_mov_b32_e32 v103, 0
	s_mov_b32 s14, exec_lo
	v_cmpx_ne_u32_e32 0, v118
	s_cbranch_execz .LBB4_2596
; %bb.2589:                             ;   in Loop: Header=BB4_2182 Depth=2
	v_bfe_u32 v25, v118, 23, 8
	v_or_b32_e32 v14, 0x800000, v54
	s_delay_alu instid0(VALU_DEP_2) | instskip(SKIP_1) | instid1(VALU_DEP_2)
	v_sub_nc_u32_e32 v10, 0x71, v25
	v_cmp_gt_u32_e32 vcc_lo, 0x72, v25
	v_cndmask_b32_e32 v10, 0, v10, vcc_lo
	v_cmp_eq_u32_e32 vcc_lo, 0, v25
	s_delay_alu instid0(VALU_DEP_2) | instskip(NEXT) | instid1(VALU_DEP_1)
	v_cndmask_b32_e64 v103, v10, 0x70, vcc_lo
	v_dual_cndmask_b32 v54, v14, v54, vcc_lo :: v_dual_add_nc_u32 v10, 21, v103
	v_add_nc_u32_e32 v15, 20, v103
	s_delay_alu instid0(VALU_DEP_2) | instskip(NEXT) | instid1(VALU_DEP_2)
	v_lshlrev_b64_e64 v[10:11], v10, -1
	v_lshlrev_b64_e64 v[14:15], v15, 1
	s_delay_alu instid0(VALU_DEP_2) | instskip(NEXT) | instid1(VALU_DEP_3)
	v_bfi_b32 v119, v11, 0, 0
	v_bfi_b32 v118, v10, 0, v54
	v_lshrrev_b64 v[10:11], v103, v[54:55]
	s_delay_alu instid0(VALU_DEP_2) | instskip(NEXT) | instid1(VALU_DEP_2)
	v_cmp_eq_u64_e64 s11, v[118:119], v[14:15]
	v_mov_b64_e32 v[14:15], v[10:11]
	s_and_saveexec_b32 s15, s11
; %bb.2590:                             ;   in Loop: Header=BB4_2182 Depth=2
	v_bfe_u32 v54, v10, 21, 1
	s_delay_alu instid0(VALU_DEP_1) | instskip(NEXT) | instid1(VALU_DEP_1)
	v_add_nc_u64_e32 v[14:15], v[10:11], v[54:55]
	v_add_nc_u64_e32 v[14:15], -1, v[14:15]
; %bb.2591:                             ;   in Loop: Header=BB4_2182 Depth=2
	s_or_b32 exec_lo, exec_lo, s15
	v_add_nc_u32_e32 v11, 0xffffff81, v25
	v_lshrrev_b32_e32 v15, 23, v10
	s_mov_b32 s11, exec_lo
	s_delay_alu instid0(VALU_DEP_2) | instskip(NEXT) | instid1(VALU_DEP_1)
	v_cndmask_b32_e64 v11, v11, 0xffffff82, vcc_lo
	v_add3_u32 v15, v103, v11, v15
	v_and_b32_e32 v11, 0x1fffff, v14
                                        ; implicit-def: $vgpr14
	s_delay_alu instid0(VALU_DEP_1) | instskip(NEXT) | instid1(VALU_DEP_1)
	v_dual_add_nc_u32 v25, 14, v15 :: v_dual_add_nc_u32 v54, v11, v10
                                        ; implicit-def: $vgpr10_vgpr11
	v_cmpx_ne_u32_e32 0, v25
	s_xor_b32 s11, exec_lo, s11
; %bb.2592:                             ;   in Loop: Header=BB4_2182 Depth=2
	s_delay_alu instid0(VALU_DEP_2) | instskip(SKIP_1) | instid1(VALU_DEP_1)
	v_cmp_lt_u64_e32 vcc_lo, 0xffffff, v[54:55]
	v_add_nc_u32_e32 v10, 15, v15
	v_cndmask_b32_e32 v14, v25, v10, vcc_lo
	v_cndmask_b32_e64 v10, 0, 1, vcc_lo
	s_delay_alu instid0(VALU_DEP_1)
	v_lshrrev_b64 v[10:11], v10, v[54:55]
; %bb.2593:                             ;   in Loop: Header=BB4_2182 Depth=2
	s_and_not1_saveexec_b32 s11, s11
; %bb.2594:                             ;   in Loop: Header=BB4_2182 Depth=2
	v_mov_b64_e32 v[10:11], v[54:55]
	v_bfe_u32 v14, v54, 23, 1
; %bb.2595:                             ;   in Loop: Header=BB4_2182 Depth=2
	s_or_b32 exec_lo, exec_lo, s11
	s_delay_alu instid0(VALU_DEP_2) | instskip(NEXT) | instid1(VALU_DEP_2)
	v_lshrrev_b64 v[10:11], 21, v[10:11]
	v_cmp_gt_i32_e32 vcc_lo, 32, v14
	v_min_i32_e32 v15, 31, v14
	v_cmp_eq_u32_e64 s11, 0, v14
	s_delay_alu instid0(VALU_DEP_4) | instskip(NEXT) | instid1(VALU_DEP_3)
	v_cndmask_b32_e32 v11, 0, v11, vcc_lo
	v_dual_cndmask_b32 v10, 3, v10 :: v_dual_lshlrev_b32 v15, 2, v15
	s_delay_alu instid0(VALU_DEP_1) | instskip(NEXT) | instid1(VALU_DEP_2)
	v_and_b32_e32 v15, 0xfc, v15
	v_cmp_eq_u64_e32 vcc_lo, 0, v[10:11]
	s_delay_alu instid0(VALU_DEP_2)
	v_and_or_b32 v10, v10, 3, v15
	s_and_b32 s11, s11, vcc_lo
	s_delay_alu instid0(VALU_DEP_1) | instid1(SALU_CYCLE_1)
	v_cndmask_b32_e64 v10, v10, 0, s11
	s_delay_alu instid0(VALU_DEP_1)
	v_or_b32_e32 v103, v10, v24
.LBB4_2596:                             ;   in Loop: Header=BB4_2182 Depth=2
	s_or_b32 exec_lo, exec_lo, s14
                                        ; implicit-def: $vgpr24
.LBB4_2597:                             ;   in Loop: Header=BB4_2182 Depth=2
	s_and_not1_saveexec_b32 s11, s13
; %bb.2598:                             ;   in Loop: Header=BB4_2182 Depth=2
	v_or_b32_e32 v103, 0x7b, v24
; %bb.2599:                             ;   in Loop: Header=BB4_2182 Depth=2
	s_or_b32 exec_lo, exec_lo, s11
                                        ; implicit-def: $vgpr118
                                        ; implicit-def: $vgpr10
.LBB4_2600:                             ;   in Loop: Header=BB4_2182 Depth=2
	s_and_not1_saveexec_b32 s11, s12
	s_cbranch_execz .LBB4_2606
; %bb.2601:                             ;   in Loop: Header=BB4_2182 Depth=2
	s_mov_b32 s12, exec_lo
                                        ; implicit-def: $vgpr103
	v_cmpx_ne_u64_e32 0, v[54:55]
	s_xor_b32 s12, exec_lo, s12
; %bb.2602:                             ;   in Loop: Header=BB4_2182 Depth=2
	v_or_b32_e32 v103, 0x7f, v10
                                        ; implicit-def: $vgpr118
; %bb.2603:                             ;   in Loop: Header=BB4_2182 Depth=2
	s_and_not1_saveexec_b32 s12, s12
; %bb.2604:                             ;   in Loop: Header=BB4_2182 Depth=2
	v_cmp_lt_i32_e32 vcc_lo, -1, v118
	v_cndmask_b32_e32 v103, 0xfc, v122, vcc_lo
; %bb.2605:                             ;   in Loop: Header=BB4_2182 Depth=2
	s_or_b32 exec_lo, exec_lo, s12
.LBB4_2606:                             ;   in Loop: Header=BB4_2182 Depth=2
	s_delay_alu instid0(SALU_CYCLE_1) | instskip(SKIP_4) | instid1(VALU_DEP_4)
	s_or_b32 exec_lo, exec_lo, s11
	v_dual_lshlrev_b32 v15, 24, v16 :: v_dual_bitop2_b32 v10, 3, v16 bitop3:0x40
	v_bfe_i32 v54, v16, 0, 8
	v_and_b32_e32 v14, 0x7c, v16
	v_and_b32_e32 v25, 0xff, v12
	v_clz_i32_u32_e32 v11, v10
	v_bfe_i32 v113, v12, 0, 8
	v_cmp_lt_i16_e32 vcc_lo, -1, v54
	v_cmp_eq_u32_e64 s11, 0x7c, v14
	v_and_or_b32 v14, 0x80000000, v15, s28
	v_min_u32_e32 v24, 32, v11
	v_bfe_u32 v11, v16, 2, 5
	v_cndmask_b32_e32 v83, 0xff800000, v126, vcc_lo
	v_cmp_eq_u32_e32 vcc_lo, 0, v10
	v_cmp_ne_u16_e64 s13, 0, v25
	v_subrev_nc_u32_e32 v82, 29, v24
	v_cmp_eq_u32_e64 s12, 0, v11
	v_dual_cndmask_b32 v15, 0x7f800001, v83 :: v_dual_sub_nc_u32 v24, 30, v24
	s_and_b32 vcc_lo, exec_lo, s45
	v_lshlrev_b64_e32 v[118:119], v82, v[16:17]
	s_mov_b32 s14, -1
	s_delay_alu instid0(VALU_DEP_1)
	v_and_b32_e32 v25, 3, v118
                                        ; implicit-def: $vgpr118
	s_cbranch_vccz .LBB4_2624
; %bb.2607:                             ;   in Loop: Header=BB4_2182 Depth=2
	v_mov_b32_e32 v118, 0
	s_and_saveexec_b32 s14, s13
	s_cbranch_execz .LBB4_2617
; %bb.2608:                             ;   in Loop: Header=BB4_2182 Depth=2
	v_bfrev_b32_e32 v118, 1
	s_mov_b32 s15, exec_lo
	v_cmpx_ne_u16_e32 0xff80, v113
	s_cbranch_execz .LBB4_2616
; %bb.2609:                             ;   in Loop: Header=BB4_2182 Depth=2
	v_and_b32_e32 v82, 0x7c, v12
	v_and_b32_e32 v119, 3, v12
	s_mov_b32 s46, exec_lo
                                        ; implicit-def: $vgpr118
	s_delay_alu instid0(VALU_DEP_2)
	v_cmpx_ne_u32_e32 0x7c, v82
	s_xor_b32 s46, exec_lo, s46
	s_cbranch_execz .LBB4_2613
; %bb.2610:                             ;   in Loop: Header=BB4_2182 Depth=2
	v_bfe_u32 v118, v12, 2, 5
	s_mov_b32 s47, exec_lo
	s_delay_alu instid0(VALU_DEP_1)
	v_cmpx_eq_u32_e32 0, v118
; %bb.2611:                             ;   in Loop: Header=BB4_2182 Depth=2
	v_clz_i32_u32_e32 v82, v119
	s_delay_alu instid0(VALU_DEP_1) | instskip(NEXT) | instid1(VALU_DEP_1)
	v_min_u32_e32 v82, 32, v82
	v_subrev_nc_u32_e32 v83, 29, v82
	s_delay_alu instid0(VALU_DEP_1) | instskip(NEXT) | instid1(VALU_DEP_1)
	v_lshlrev_b64_e32 v[40:41], v83, v[12:13]
	v_dual_sub_nc_u32 v118, 30, v82 :: v_dual_bitop2_b32 v119, 3, v40 bitop3:0x40
; %bb.2612:                             ;   in Loop: Header=BB4_2182 Depth=2
	s_or_b32 exec_lo, exec_lo, s47
	v_lshlrev_b32_e32 v82, 24, v12
	s_delay_alu instid0(VALU_DEP_1) | instskip(NEXT) | instid1(VALU_DEP_1)
	v_and_b32_e32 v82, 0x80000000, v82
	v_lshl_add_u32 v82, v118, 23, v82
	s_delay_alu instid0(VALU_DEP_1) | instskip(NEXT) | instid1(VALU_DEP_1)
	v_lshl_or_b32 v82, v119, 21, v82
                                        ; implicit-def: $vgpr119
	v_add_nc_u32_e32 v118, 0x38000000, v82
.LBB4_2613:                             ;   in Loop: Header=BB4_2182 Depth=2
	s_and_not1_saveexec_b32 s46, s46
; %bb.2614:                             ;   in Loop: Header=BB4_2182 Depth=2
	v_cmp_lt_i16_e32 vcc_lo, -1, v113
	v_cndmask_b32_e32 v82, 0xff800000, v126, vcc_lo
	v_cmp_eq_u32_e32 vcc_lo, 0, v119
	s_delay_alu instid0(VALU_DEP_2)
	v_cndmask_b32_e32 v118, 0x7f800001, v82, vcc_lo
; %bb.2615:                             ;   in Loop: Header=BB4_2182 Depth=2
	s_or_b32 exec_lo, exec_lo, s46
.LBB4_2616:                             ;   in Loop: Header=BB4_2182 Depth=2
	s_delay_alu instid0(SALU_CYCLE_1)
	s_or_b32 exec_lo, exec_lo, s15
.LBB4_2617:                             ;   in Loop: Header=BB4_2182 Depth=2
	s_delay_alu instid0(SALU_CYCLE_1) | instskip(SKIP_3) | instid1(VALU_DEP_1)
	s_or_b32 exec_lo, exec_lo, s14
	v_and_b32_e32 v40, 0xff, v54
	s_mov_b32 s14, 0
	s_mov_b32 s15, exec_lo
	v_cmpx_lt_i16_e32 0x7f, v40
	s_xor_b32 s15, exec_lo, s15
	s_cbranch_execz .LBB4_3053
; %bb.2618:                             ;   in Loop: Header=BB4_2182 Depth=2
	s_mov_b32 s14, -1
	s_mov_b32 s46, exec_lo
	v_cmpx_eq_u16_e32 0x80, v40
; %bb.2619:                             ;   in Loop: Header=BB4_2182 Depth=2
	s_xor_b32 s14, exec_lo, -1
; %bb.2620:                             ;   in Loop: Header=BB4_2182 Depth=2
	s_or_b32 exec_lo, exec_lo, s46
	s_delay_alu instid0(SALU_CYCLE_1)
	s_and_b32 s14, s14, exec_lo
                                        ; implicit-def: $vgpr40
	s_or_saveexec_b32 s15, s15
	v_bfrev_b32_e32 v119, 1
	s_xor_b32 exec_lo, exec_lo, s15
	s_cbranch_execnz .LBB4_3054
.LBB4_2621:                             ;   in Loop: Header=BB4_2182 Depth=2
	s_or_b32 exec_lo, exec_lo, s15
	s_and_saveexec_b32 s15, s14
.LBB4_2622:                             ;   in Loop: Header=BB4_2182 Depth=2
	v_dual_cndmask_b32 v82, v11, v24, s12 :: v_dual_cndmask_b32 v83, v10, v25, s12
	s_delay_alu instid0(VALU_DEP_1) | instskip(NEXT) | instid1(VALU_DEP_1)
	v_lshl_add_u32 v82, v82, 23, v14
	v_lshl_or_b32 v82, v83, 21, v82
	s_delay_alu instid0(VALU_DEP_1)
	v_cndmask_b32_e64 v119, v82, v15, s11
.LBB4_2623:                             ;   in Loop: Header=BB4_2182 Depth=2
	s_or_b32 exec_lo, exec_lo, s15
	s_delay_alu instid0(VALU_DEP_1) | instskip(SKIP_1) | instid1(VALU_DEP_1)
	v_dual_max_num_f32 v82, v119, v119 :: v_dual_max_num_f32 v83, v118, v118
	s_mov_b32 s14, 0
	v_max_num_f32_e32 v118, v83, v82
.LBB4_2624:                             ;   in Loop: Header=BB4_2182 Depth=2
	s_and_b32 vcc_lo, exec_lo, s14
	s_cbranch_vccz .LBB4_2642
; %bb.2625:                             ;   in Loop: Header=BB4_2182 Depth=2
	v_mov_b32_e32 v118, 0
	s_and_saveexec_b32 s14, s13
	s_cbranch_execz .LBB4_2635
; %bb.2626:                             ;   in Loop: Header=BB4_2182 Depth=2
	v_bfrev_b32_e32 v118, 1
	s_mov_b32 s13, exec_lo
	v_cmpx_ne_u16_e32 0xff80, v113
	s_cbranch_execz .LBB4_2634
; %bb.2627:                             ;   in Loop: Header=BB4_2182 Depth=2
	v_and_b32_e32 v82, 0x7c, v12
	v_and_b32_e32 v119, 3, v12
	s_mov_b32 s15, exec_lo
                                        ; implicit-def: $vgpr118
	s_delay_alu instid0(VALU_DEP_2)
	v_cmpx_ne_u32_e32 0x7c, v82
	s_xor_b32 s15, exec_lo, s15
	s_cbranch_execz .LBB4_2631
; %bb.2628:                             ;   in Loop: Header=BB4_2182 Depth=2
	v_bfe_u32 v113, v12, 2, 5
	s_mov_b32 s46, exec_lo
	s_delay_alu instid0(VALU_DEP_1)
	v_cmpx_eq_u32_e32 0, v113
; %bb.2629:                             ;   in Loop: Header=BB4_2182 Depth=2
	v_clz_i32_u32_e32 v82, v119
	s_delay_alu instid0(VALU_DEP_1) | instskip(NEXT) | instid1(VALU_DEP_1)
	v_min_u32_e32 v82, 32, v82
	v_subrev_nc_u32_e32 v83, 29, v82
	v_sub_nc_u32_e32 v113, 30, v82
	s_delay_alu instid0(VALU_DEP_2) | instskip(NEXT) | instid1(VALU_DEP_1)
	v_lshlrev_b64_e32 v[118:119], v83, v[12:13]
	v_and_b32_e32 v119, 3, v118
; %bb.2630:                             ;   in Loop: Header=BB4_2182 Depth=2
	s_or_b32 exec_lo, exec_lo, s46
	v_lshlrev_b32_e32 v82, 24, v12
	s_delay_alu instid0(VALU_DEP_1) | instskip(NEXT) | instid1(VALU_DEP_1)
	v_and_b32_e32 v82, 0x80000000, v82
	v_lshl_add_u32 v82, v113, 23, v82
                                        ; implicit-def: $vgpr113
	s_delay_alu instid0(VALU_DEP_1) | instskip(NEXT) | instid1(VALU_DEP_1)
	v_lshl_or_b32 v82, v119, 21, v82
                                        ; implicit-def: $vgpr119
	v_add_nc_u32_e32 v118, 0x38000000, v82
.LBB4_2631:                             ;   in Loop: Header=BB4_2182 Depth=2
	s_and_not1_saveexec_b32 s15, s15
; %bb.2632:                             ;   in Loop: Header=BB4_2182 Depth=2
	v_cmp_lt_i16_e32 vcc_lo, -1, v113
	v_cndmask_b32_e32 v82, 0xff800000, v126, vcc_lo
	v_cmp_eq_u32_e32 vcc_lo, 0, v119
	s_delay_alu instid0(VALU_DEP_2)
	v_cndmask_b32_e32 v118, 0x7f800001, v82, vcc_lo
; %bb.2633:                             ;   in Loop: Header=BB4_2182 Depth=2
	s_or_b32 exec_lo, exec_lo, s15
.LBB4_2634:                             ;   in Loop: Header=BB4_2182 Depth=2
	s_delay_alu instid0(SALU_CYCLE_1)
	s_or_b32 exec_lo, exec_lo, s13
.LBB4_2635:                             ;   in Loop: Header=BB4_2182 Depth=2
	s_delay_alu instid0(SALU_CYCLE_1) | instskip(SKIP_3) | instid1(VALU_DEP_1)
	s_or_b32 exec_lo, exec_lo, s14
	v_and_b32_e32 v113, 0xff, v54
	s_mov_b32 s13, 0
	s_mov_b32 s14, exec_lo
	v_cmpx_lt_i16_e32 0x7f, v113
	s_xor_b32 s14, exec_lo, s14
	s_cbranch_execz .LBB4_3055
; %bb.2636:                             ;   in Loop: Header=BB4_2182 Depth=2
	s_mov_b32 s13, -1
	s_mov_b32 s15, exec_lo
	v_cmpx_eq_u16_e32 0x80, v113
; %bb.2637:                             ;   in Loop: Header=BB4_2182 Depth=2
	s_xor_b32 s13, exec_lo, -1
; %bb.2638:                             ;   in Loop: Header=BB4_2182 Depth=2
	s_or_b32 exec_lo, exec_lo, s15
	s_delay_alu instid0(SALU_CYCLE_1)
	s_and_b32 s13, s13, exec_lo
                                        ; implicit-def: $vgpr113
	s_or_saveexec_b32 s14, s14
	v_bfrev_b32_e32 v54, 1
	s_xor_b32 exec_lo, exec_lo, s14
	s_cbranch_execnz .LBB4_3056
.LBB4_2639:                             ;   in Loop: Header=BB4_2182 Depth=2
	s_or_b32 exec_lo, exec_lo, s14
	s_and_saveexec_b32 s14, s13
.LBB4_2640:                             ;   in Loop: Header=BB4_2182 Depth=2
	v_dual_cndmask_b32 v11, v11, v24, s12 :: v_dual_cndmask_b32 v10, v10, v25, s12
	s_delay_alu instid0(VALU_DEP_1) | instskip(NEXT) | instid1(VALU_DEP_1)
	v_lshl_add_u32 v11, v11, 23, v14
	v_lshl_or_b32 v10, v10, 21, v11
	s_delay_alu instid0(VALU_DEP_1)
	v_cndmask_b32_e64 v54, v10, v15, s11
.LBB4_2641:                             ;   in Loop: Header=BB4_2182 Depth=2
	s_or_b32 exec_lo, exec_lo, s14
	s_delay_alu instid0(VALU_DEP_1) | instskip(SKIP_1) | instid1(VALU_DEP_1)
	v_max_num_f32_e32 v10, v54, v54
	v_max_num_f32_e32 v11, v118, v118
	v_min_num_f32_e32 v118, v11, v10
.LBB4_2642:                             ;   in Loop: Header=BB4_2182 Depth=2
	s_delay_alu instid0(VALU_DEP_1) | instskip(SKIP_2) | instid1(VALU_DEP_2)
	v_and_b32_e32 v10, 0x7f800000, v118
	v_mov_b32_e32 v11, v55
	v_and_b32_e32 v54, 0x7fffff, v118
                                        ; implicit-def: $vgpr113
	v_cmp_ne_u64_e32 vcc_lo, 0x7f800000, v[10:11]
	v_lshrrev_b32_e32 v10, 24, v118
	s_and_saveexec_b32 s11, vcc_lo
	s_delay_alu instid0(SALU_CYCLE_1)
	s_xor_b32 s12, exec_lo, s11
	s_cbranch_execz .LBB4_2656
; %bb.2643:                             ;   in Loop: Header=BB4_2182 Depth=2
	v_and_b32_e32 v14, 0x7fffffff, v118
	v_mov_b32_e32 v15, v55
	v_and_b32_e32 v24, 0x80, v10
                                        ; implicit-def: $vgpr113
	s_mov_b32 s11, exec_lo
	s_delay_alu instid0(VALU_DEP_2)
	v_cmpx_gt_u64_e32 0x47600001, v[14:15]
	s_xor_b32 s13, exec_lo, s11
	s_cbranch_execz .LBB4_2653
; %bb.2644:                             ;   in Loop: Header=BB4_2182 Depth=2
	v_mov_b32_e32 v113, 0
	s_mov_b32 s14, exec_lo
	v_cmpx_ne_u32_e32 0, v118
	s_cbranch_execz .LBB4_2652
; %bb.2645:                             ;   in Loop: Header=BB4_2182 Depth=2
	v_bfe_u32 v25, v118, 23, 8
	v_or_b32_e32 v14, 0x800000, v54
	s_delay_alu instid0(VALU_DEP_2) | instskip(SKIP_1) | instid1(VALU_DEP_2)
	v_sub_nc_u32_e32 v10, 0x71, v25
	v_cmp_gt_u32_e32 vcc_lo, 0x72, v25
	v_cndmask_b32_e32 v10, 0, v10, vcc_lo
	v_cmp_eq_u32_e32 vcc_lo, 0, v25
	s_delay_alu instid0(VALU_DEP_2) | instskip(NEXT) | instid1(VALU_DEP_1)
	v_cndmask_b32_e64 v113, v10, 0x70, vcc_lo
	v_dual_cndmask_b32 v54, v14, v54, vcc_lo :: v_dual_add_nc_u32 v10, 21, v113
	v_add_nc_u32_e32 v15, 20, v113
	s_delay_alu instid0(VALU_DEP_2) | instskip(NEXT) | instid1(VALU_DEP_2)
	v_lshlrev_b64_e64 v[10:11], v10, -1
	v_lshlrev_b64_e64 v[14:15], v15, 1
	s_delay_alu instid0(VALU_DEP_2) | instskip(NEXT) | instid1(VALU_DEP_3)
	v_bfi_b32 v119, v11, 0, 0
	v_bfi_b32 v118, v10, 0, v54
	v_lshrrev_b64 v[10:11], v113, v[54:55]
	s_delay_alu instid0(VALU_DEP_2) | instskip(NEXT) | instid1(VALU_DEP_2)
	v_cmp_eq_u64_e64 s11, v[118:119], v[14:15]
	v_mov_b64_e32 v[14:15], v[10:11]
	s_and_saveexec_b32 s15, s11
; %bb.2646:                             ;   in Loop: Header=BB4_2182 Depth=2
	v_bfe_u32 v54, v10, 21, 1
	s_delay_alu instid0(VALU_DEP_1) | instskip(NEXT) | instid1(VALU_DEP_1)
	v_add_nc_u64_e32 v[14:15], v[10:11], v[54:55]
	v_add_nc_u64_e32 v[14:15], -1, v[14:15]
; %bb.2647:                             ;   in Loop: Header=BB4_2182 Depth=2
	s_or_b32 exec_lo, exec_lo, s15
	v_add_nc_u32_e32 v11, 0xffffff81, v25
	v_lshrrev_b32_e32 v15, 23, v10
	s_mov_b32 s11, exec_lo
	s_delay_alu instid0(VALU_DEP_2) | instskip(NEXT) | instid1(VALU_DEP_1)
	v_cndmask_b32_e64 v11, v11, 0xffffff82, vcc_lo
	v_add3_u32 v15, v113, v11, v15
	v_and_b32_e32 v11, 0x1fffff, v14
                                        ; implicit-def: $vgpr14
	s_delay_alu instid0(VALU_DEP_1) | instskip(NEXT) | instid1(VALU_DEP_1)
	v_dual_add_nc_u32 v25, 14, v15 :: v_dual_add_nc_u32 v54, v11, v10
                                        ; implicit-def: $vgpr10_vgpr11
	v_cmpx_ne_u32_e32 0, v25
	s_xor_b32 s11, exec_lo, s11
; %bb.2648:                             ;   in Loop: Header=BB4_2182 Depth=2
	s_delay_alu instid0(VALU_DEP_2) | instskip(SKIP_1) | instid1(VALU_DEP_1)
	v_cmp_lt_u64_e32 vcc_lo, 0xffffff, v[54:55]
	v_add_nc_u32_e32 v10, 15, v15
	v_cndmask_b32_e32 v14, v25, v10, vcc_lo
	v_cndmask_b32_e64 v10, 0, 1, vcc_lo
	s_delay_alu instid0(VALU_DEP_1)
	v_lshrrev_b64 v[10:11], v10, v[54:55]
; %bb.2649:                             ;   in Loop: Header=BB4_2182 Depth=2
	s_and_not1_saveexec_b32 s11, s11
; %bb.2650:                             ;   in Loop: Header=BB4_2182 Depth=2
	v_mov_b64_e32 v[10:11], v[54:55]
	v_bfe_u32 v14, v54, 23, 1
; %bb.2651:                             ;   in Loop: Header=BB4_2182 Depth=2
	s_or_b32 exec_lo, exec_lo, s11
	s_delay_alu instid0(VALU_DEP_2) | instskip(NEXT) | instid1(VALU_DEP_2)
	v_lshrrev_b64 v[10:11], 21, v[10:11]
	v_cmp_gt_i32_e32 vcc_lo, 32, v14
	v_min_i32_e32 v15, 31, v14
	v_cmp_eq_u32_e64 s11, 0, v14
	s_delay_alu instid0(VALU_DEP_4) | instskip(NEXT) | instid1(VALU_DEP_3)
	v_cndmask_b32_e32 v11, 0, v11, vcc_lo
	v_dual_cndmask_b32 v10, 3, v10 :: v_dual_lshlrev_b32 v15, 2, v15
	s_delay_alu instid0(VALU_DEP_1) | instskip(NEXT) | instid1(VALU_DEP_2)
	v_and_b32_e32 v15, 0xfc, v15
	v_cmp_eq_u64_e32 vcc_lo, 0, v[10:11]
	s_delay_alu instid0(VALU_DEP_2)
	v_and_or_b32 v10, v10, 3, v15
	s_and_b32 s11, s11, vcc_lo
	s_delay_alu instid0(VALU_DEP_1) | instid1(SALU_CYCLE_1)
	v_cndmask_b32_e64 v10, v10, 0, s11
	s_delay_alu instid0(VALU_DEP_1)
	v_or_b32_e32 v113, v10, v24
.LBB4_2652:                             ;   in Loop: Header=BB4_2182 Depth=2
	s_or_b32 exec_lo, exec_lo, s14
                                        ; implicit-def: $vgpr24
.LBB4_2653:                             ;   in Loop: Header=BB4_2182 Depth=2
	s_and_not1_saveexec_b32 s11, s13
; %bb.2654:                             ;   in Loop: Header=BB4_2182 Depth=2
	v_or_b32_e32 v113, 0x7b, v24
; %bb.2655:                             ;   in Loop: Header=BB4_2182 Depth=2
	s_or_b32 exec_lo, exec_lo, s11
                                        ; implicit-def: $vgpr118
                                        ; implicit-def: $vgpr10
.LBB4_2656:                             ;   in Loop: Header=BB4_2182 Depth=2
	s_and_not1_saveexec_b32 s11, s12
	s_cbranch_execz .LBB4_2662
; %bb.2657:                             ;   in Loop: Header=BB4_2182 Depth=2
	s_mov_b32 s12, exec_lo
                                        ; implicit-def: $vgpr113
	v_cmpx_ne_u64_e32 0, v[54:55]
	s_xor_b32 s12, exec_lo, s12
; %bb.2658:                             ;   in Loop: Header=BB4_2182 Depth=2
	v_or_b32_e32 v113, 0x7f, v10
                                        ; implicit-def: $vgpr118
; %bb.2659:                             ;   in Loop: Header=BB4_2182 Depth=2
	s_and_not1_saveexec_b32 s12, s12
; %bb.2660:                             ;   in Loop: Header=BB4_2182 Depth=2
	v_cmp_lt_i32_e32 vcc_lo, -1, v118
	v_cndmask_b32_e32 v113, 0xfc, v122, vcc_lo
; %bb.2661:                             ;   in Loop: Header=BB4_2182 Depth=2
	s_or_b32 exec_lo, exec_lo, s12
.LBB4_2662:                             ;   in Loop: Header=BB4_2182 Depth=2
	s_delay_alu instid0(SALU_CYCLE_1) | instskip(SKIP_3) | instid1(VALU_DEP_2)
	s_or_b32 exec_lo, exec_lo, s11
	v_lshrrev_b16 v54, 8, v16
	v_cmp_lt_i16_e32 vcc_lo, -1, v16
	s_mov_b32 s14, -1
	v_and_b32_e32 v11, 0xffff, v54
	v_cndmask_b32_e32 v25, 0xff800000, v126, vcc_lo
	s_delay_alu instid0(VALU_DEP_2) | instskip(SKIP_2) | instid1(VALU_DEP_3)
	v_dual_lshlrev_b32 v24, 24, v54 :: v_dual_bitop2_b32 v14, 3, v11 bitop3:0x40
	v_and_b32_e32 v118, 0x7c, v11
	v_bfe_u32 v15, v11, 2, 5
                                        ; implicit-def: $vgpr11
	v_and_or_b32 v24, 0x80000000, v24, s28
	s_delay_alu instid0(VALU_DEP_4) | instskip(SKIP_3) | instid1(VALU_DEP_4)
	v_clz_i32_u32_e32 v10, v14
	v_cmp_eq_u32_e32 vcc_lo, 0, v14
	v_cmp_eq_u32_e64 s11, 0x7c, v118
	v_cmp_eq_u32_e64 s12, 0, v15
	v_min_u32_e32 v82, 32, v10
	v_lshrrev_b16 v10, 8, v12
	v_cndmask_b32_e32 v25, 0x7f800001, v25, vcc_lo
	s_and_b32 vcc_lo, exec_lo, s45
	s_delay_alu instid0(VALU_DEP_3) | instskip(NEXT) | instid1(VALU_DEP_3)
	v_subrev_nc_u32_e32 v83, 29, v82
	v_and_b32_e32 v40, 0xffff, v10
	v_cmp_ne_u16_e64 s13, 0, v10
	v_sub_nc_u32_e32 v118, 30, v82
	s_delay_alu instid0(VALU_DEP_4) | instskip(NEXT) | instid1(VALU_DEP_1)
	v_lshlrev_b64_e32 v[42:43], v83, v[54:55]
	v_and_b32_e32 v119, 3, v42
	s_cbranch_vccz .LBB4_2680
; %bb.2663:                             ;   in Loop: Header=BB4_2182 Depth=2
	v_mov_b32_e32 v11, 0
	s_and_saveexec_b32 s14, s13
	s_cbranch_execz .LBB4_2673
; %bb.2664:                             ;   in Loop: Header=BB4_2182 Depth=2
	v_bfrev_b32_e32 v11, 1
	s_mov_b32 s15, exec_lo
	v_cmpx_ne_u16_e32 0x80, v10
	s_cbranch_execz .LBB4_2672
; %bb.2665:                             ;   in Loop: Header=BB4_2182 Depth=2
	v_and_b32_e32 v11, 0x7c, v40
	v_and_b32_e32 v41, 3, v40
	s_delay_alu instid0(VALU_DEP_2) | instskip(SKIP_1) | instid1(SALU_CYCLE_1)
	v_cmp_ne_u32_e32 vcc_lo, 0x7c, v11
                                        ; implicit-def: $vgpr11
	s_and_saveexec_b32 s46, vcc_lo
	s_xor_b32 s46, exec_lo, s46
	s_cbranch_execz .LBB4_2669
; %bb.2666:                             ;   in Loop: Header=BB4_2182 Depth=2
	v_bfe_u32 v11, v40, 2, 5
	s_mov_b32 s47, exec_lo
	s_delay_alu instid0(VALU_DEP_1)
	v_cmpx_eq_u32_e32 0, v11
	s_cbranch_execz .LBB4_2668
; %bb.2667:                             ;   in Loop: Header=BB4_2182 Depth=2
	v_clz_i32_u32_e32 v11, v41
	s_delay_alu instid0(VALU_DEP_1) | instskip(SKIP_1) | instid1(VALU_DEP_2)
	v_min_u32_e32 v82, 32, v11
	v_mov_b32_e32 v11, v55
	v_subrev_nc_u32_e32 v83, 29, v82
	s_delay_alu instid0(VALU_DEP_1) | instskip(SKIP_1) | instid1(VALU_DEP_2)
	v_lshlrev_b64_e32 v[42:43], v83, v[10:11]
	v_sub_nc_u32_e32 v11, 30, v82
	v_and_b32_e32 v41, 3, v42
.LBB4_2668:                             ;   in Loop: Header=BB4_2182 Depth=2
	s_or_b32 exec_lo, exec_lo, s47
	v_lshlrev_b32_e32 v82, 16, v12
	s_delay_alu instid0(VALU_DEP_1) | instskip(NEXT) | instid1(VALU_DEP_1)
	v_and_b32_e32 v82, 0x80000000, v82
	v_lshl_add_u32 v11, v11, 23, v82
	s_delay_alu instid0(VALU_DEP_1) | instskip(NEXT) | instid1(VALU_DEP_1)
	v_lshl_or_b32 v11, v41, 21, v11
                                        ; implicit-def: $vgpr41
	v_add_nc_u32_e32 v11, 0x38000000, v11
.LBB4_2669:                             ;   in Loop: Header=BB4_2182 Depth=2
	s_and_not1_saveexec_b32 s46, s46
; %bb.2670:                             ;   in Loop: Header=BB4_2182 Depth=2
	v_cmp_lt_i16_e32 vcc_lo, -1, v12
	v_cndmask_b32_e32 v11, 0xff800000, v126, vcc_lo
	v_cmp_eq_u32_e32 vcc_lo, 0, v41
	s_delay_alu instid0(VALU_DEP_2)
	v_cndmask_b32_e32 v11, 0x7f800001, v11, vcc_lo
; %bb.2671:                             ;   in Loop: Header=BB4_2182 Depth=2
	s_or_b32 exec_lo, exec_lo, s46
.LBB4_2672:                             ;   in Loop: Header=BB4_2182 Depth=2
	s_delay_alu instid0(SALU_CYCLE_1)
	s_or_b32 exec_lo, exec_lo, s15
.LBB4_2673:                             ;   in Loop: Header=BB4_2182 Depth=2
	s_delay_alu instid0(SALU_CYCLE_1)
	s_or_b32 exec_lo, exec_lo, s14
	s_mov_b32 s14, 0
	s_mov_b32 s15, exec_lo
	v_cmpx_lt_i16_e32 0x7f, v54
	s_xor_b32 s15, exec_lo, s15
	s_cbranch_execz .LBB4_3057
; %bb.2674:                             ;   in Loop: Header=BB4_2182 Depth=2
	s_mov_b32 s14, -1
	s_mov_b32 s46, exec_lo
	v_cmpx_eq_u16_e32 0x80, v54
; %bb.2675:                             ;   in Loop: Header=BB4_2182 Depth=2
	s_xor_b32 s14, exec_lo, -1
; %bb.2676:                             ;   in Loop: Header=BB4_2182 Depth=2
	s_or_b32 exec_lo, exec_lo, s46
	s_delay_alu instid0(SALU_CYCLE_1)
	s_and_b32 s14, s14, exec_lo
	s_or_saveexec_b32 s15, s15
	v_bfrev_b32_e32 v41, 1
	s_xor_b32 exec_lo, exec_lo, s15
	s_cbranch_execnz .LBB4_3058
.LBB4_2677:                             ;   in Loop: Header=BB4_2182 Depth=2
	s_or_b32 exec_lo, exec_lo, s15
	s_and_saveexec_b32 s15, s14
.LBB4_2678:                             ;   in Loop: Header=BB4_2182 Depth=2
	v_dual_cndmask_b32 v82, v15, v118, s12 :: v_dual_cndmask_b32 v83, v14, v119, s12
	s_delay_alu instid0(VALU_DEP_1) | instskip(NEXT) | instid1(VALU_DEP_1)
	v_lshl_add_u32 v82, v82, 23, v24
	v_lshl_or_b32 v82, v83, 21, v82
	s_delay_alu instid0(VALU_DEP_1)
	v_cndmask_b32_e64 v41, v82, v25, s11
.LBB4_2679:                             ;   in Loop: Header=BB4_2182 Depth=2
	s_or_b32 exec_lo, exec_lo, s15
	s_delay_alu instid0(VALU_DEP_1) | instskip(SKIP_1) | instid1(VALU_DEP_1)
	v_dual_max_num_f32 v82, v41, v41 :: v_dual_max_num_f32 v11, v11, v11
	s_mov_b32 s14, 0
	v_max_num_f32_e32 v11, v11, v82
.LBB4_2680:                             ;   in Loop: Header=BB4_2182 Depth=2
	s_and_b32 vcc_lo, exec_lo, s14
	s_cbranch_vccz .LBB4_2698
; %bb.2681:                             ;   in Loop: Header=BB4_2182 Depth=2
	v_mov_b32_e32 v11, 0
	s_and_saveexec_b32 s14, s13
	s_cbranch_execz .LBB4_2691
; %bb.2682:                             ;   in Loop: Header=BB4_2182 Depth=2
	v_bfrev_b32_e32 v11, 1
	s_mov_b32 s13, exec_lo
	v_cmpx_ne_u16_e32 0x80, v10
	s_cbranch_execz .LBB4_2690
; %bb.2683:                             ;   in Loop: Header=BB4_2182 Depth=2
	v_and_b32_e32 v11, 0x7c, v40
	v_and_b32_e32 v41, 3, v40
	s_delay_alu instid0(VALU_DEP_2) | instskip(SKIP_1) | instid1(SALU_CYCLE_1)
	v_cmp_ne_u32_e32 vcc_lo, 0x7c, v11
                                        ; implicit-def: $vgpr11
	s_and_saveexec_b32 s15, vcc_lo
	s_xor_b32 s15, exec_lo, s15
	s_cbranch_execz .LBB4_2687
; %bb.2684:                             ;   in Loop: Header=BB4_2182 Depth=2
	v_bfe_u32 v11, v40, 2, 5
	s_mov_b32 s46, exec_lo
	s_delay_alu instid0(VALU_DEP_1)
	v_cmpx_eq_u32_e32 0, v11
	s_cbranch_execz .LBB4_2686
; %bb.2685:                             ;   in Loop: Header=BB4_2182 Depth=2
	v_clz_i32_u32_e32 v11, v41
	s_delay_alu instid0(VALU_DEP_1) | instskip(SKIP_1) | instid1(VALU_DEP_2)
	v_min_u32_e32 v82, 32, v11
	v_mov_b32_e32 v11, v55
	v_subrev_nc_u32_e32 v83, 29, v82
	s_delay_alu instid0(VALU_DEP_1) | instskip(SKIP_1) | instid1(VALU_DEP_2)
	v_lshlrev_b64_e32 v[10:11], v83, v[10:11]
	v_sub_nc_u32_e32 v11, 30, v82
	v_and_b32_e32 v41, 3, v10
.LBB4_2686:                             ;   in Loop: Header=BB4_2182 Depth=2
	s_or_b32 exec_lo, exec_lo, s46
	v_lshlrev_b32_e32 v10, 16, v12
	s_delay_alu instid0(VALU_DEP_1) | instskip(NEXT) | instid1(VALU_DEP_1)
	v_and_b32_e32 v10, 0x80000000, v10
	v_lshl_add_u32 v10, v11, 23, v10
	s_delay_alu instid0(VALU_DEP_1) | instskip(NEXT) | instid1(VALU_DEP_1)
	v_lshl_or_b32 v10, v41, 21, v10
                                        ; implicit-def: $vgpr41
	v_add_nc_u32_e32 v11, 0x38000000, v10
.LBB4_2687:                             ;   in Loop: Header=BB4_2182 Depth=2
	s_and_not1_saveexec_b32 s15, s15
; %bb.2688:                             ;   in Loop: Header=BB4_2182 Depth=2
	v_cmp_lt_i16_e32 vcc_lo, -1, v12
	v_cndmask_b32_e32 v10, 0xff800000, v126, vcc_lo
	v_cmp_eq_u32_e32 vcc_lo, 0, v41
	s_delay_alu instid0(VALU_DEP_2)
	v_cndmask_b32_e32 v11, 0x7f800001, v10, vcc_lo
; %bb.2689:                             ;   in Loop: Header=BB4_2182 Depth=2
	s_or_b32 exec_lo, exec_lo, s15
.LBB4_2690:                             ;   in Loop: Header=BB4_2182 Depth=2
	s_delay_alu instid0(SALU_CYCLE_1)
	s_or_b32 exec_lo, exec_lo, s13
.LBB4_2691:                             ;   in Loop: Header=BB4_2182 Depth=2
	s_delay_alu instid0(SALU_CYCLE_1)
	s_or_b32 exec_lo, exec_lo, s14
	s_mov_b32 s13, 0
	s_mov_b32 s14, exec_lo
	v_cmpx_lt_i16_e32 0x7f, v54
	s_xor_b32 s14, exec_lo, s14
	s_cbranch_execz .LBB4_3059
; %bb.2692:                             ;   in Loop: Header=BB4_2182 Depth=2
	s_mov_b32 s13, -1
	s_mov_b32 s15, exec_lo
	v_cmpx_eq_u16_e32 0x80, v54
; %bb.2693:                             ;   in Loop: Header=BB4_2182 Depth=2
	s_xor_b32 s13, exec_lo, -1
; %bb.2694:                             ;   in Loop: Header=BB4_2182 Depth=2
	s_or_b32 exec_lo, exec_lo, s15
	s_delay_alu instid0(SALU_CYCLE_1)
	s_and_b32 s13, s13, exec_lo
	s_or_saveexec_b32 s14, s14
	v_bfrev_b32_e32 v10, 1
	s_xor_b32 exec_lo, exec_lo, s14
	s_cbranch_execnz .LBB4_3060
.LBB4_2695:                             ;   in Loop: Header=BB4_2182 Depth=2
	s_or_b32 exec_lo, exec_lo, s14
	s_and_saveexec_b32 s14, s13
.LBB4_2696:                             ;   in Loop: Header=BB4_2182 Depth=2
	v_dual_cndmask_b32 v10, v15, v118, s12 :: v_dual_cndmask_b32 v14, v14, v119, s12
	s_delay_alu instid0(VALU_DEP_1) | instskip(NEXT) | instid1(VALU_DEP_1)
	v_lshl_add_u32 v10, v10, 23, v24
	v_lshl_or_b32 v10, v14, 21, v10
	s_delay_alu instid0(VALU_DEP_1)
	v_cndmask_b32_e64 v10, v10, v25, s11
.LBB4_2697:                             ;   in Loop: Header=BB4_2182 Depth=2
	s_or_b32 exec_lo, exec_lo, s14
	s_delay_alu instid0(VALU_DEP_1) | instskip(NEXT) | instid1(VALU_DEP_1)
	v_dual_max_num_f32 v10, v10, v10 :: v_dual_max_num_f32 v11, v11, v11
	v_min_num_f32_e32 v11, v11, v10
.LBB4_2698:                             ;   in Loop: Header=BB4_2182 Depth=2
	s_delay_alu instid0(VALU_DEP_1) | instskip(SKIP_3) | instid1(VALU_DEP_2)
	v_and_b32_e32 v14, 0x7f800000, v11
	v_dual_mov_b32 v15, v55 :: v_dual_lshrrev_b32 v10, 24, v11
	v_and_b32_e32 v54, 0x7fffff, v11
                                        ; implicit-def: $vgpr118
	s_mov_b32 s11, exec_lo
	v_cmpx_ne_u64_e32 0x7f800000, v[14:15]
	s_xor_b32 s12, exec_lo, s11
	s_cbranch_execz .LBB4_2712
; %bb.2699:                             ;   in Loop: Header=BB4_2182 Depth=2
	v_and_b32_e32 v14, 0x7fffffff, v11
	v_mov_b32_e32 v15, v55
	v_and_b32_e32 v24, 0x80, v10
                                        ; implicit-def: $vgpr118
	s_mov_b32 s11, exec_lo
	s_delay_alu instid0(VALU_DEP_2)
	v_cmpx_gt_u64_e32 0x47600001, v[14:15]
	s_xor_b32 s13, exec_lo, s11
	s_cbranch_execz .LBB4_2709
; %bb.2700:                             ;   in Loop: Header=BB4_2182 Depth=2
	v_mov_b32_e32 v118, 0
	s_mov_b32 s14, exec_lo
	v_cmpx_ne_u32_e32 0, v11
	s_cbranch_execz .LBB4_2708
; %bb.2701:                             ;   in Loop: Header=BB4_2182 Depth=2
	v_bfe_u32 v25, v11, 23, 8
	v_or_b32_e32 v14, 0x800000, v54
	s_delay_alu instid0(VALU_DEP_2) | instskip(SKIP_1) | instid1(VALU_DEP_2)
	v_sub_nc_u32_e32 v10, 0x71, v25
	v_cmp_gt_u32_e32 vcc_lo, 0x72, v25
	v_cndmask_b32_e32 v10, 0, v10, vcc_lo
	v_cmp_eq_u32_e32 vcc_lo, 0, v25
	s_delay_alu instid0(VALU_DEP_2) | instskip(SKIP_1) | instid1(VALU_DEP_2)
	v_cndmask_b32_e64 v118, v10, 0x70, vcc_lo
	v_cndmask_b32_e32 v54, v14, v54, vcc_lo
	v_dual_add_nc_u32 v10, 21, v118 :: v_dual_add_nc_u32 v15, 20, v118
	s_delay_alu instid0(VALU_DEP_1) | instskip(NEXT) | instid1(VALU_DEP_2)
	v_lshlrev_b64_e64 v[10:11], v10, -1
	v_lshlrev_b64_e64 v[14:15], v15, 1
	s_delay_alu instid0(VALU_DEP_2) | instskip(NEXT) | instid1(VALU_DEP_3)
	v_bfi_b32 v41, v11, 0, 0
	v_bfi_b32 v40, v10, 0, v54
	v_lshrrev_b64 v[10:11], v118, v[54:55]
	s_delay_alu instid0(VALU_DEP_2) | instskip(NEXT) | instid1(VALU_DEP_2)
	v_cmp_eq_u64_e64 s11, v[40:41], v[14:15]
	v_mov_b64_e32 v[14:15], v[10:11]
	s_and_saveexec_b32 s15, s11
; %bb.2702:                             ;   in Loop: Header=BB4_2182 Depth=2
	v_bfe_u32 v54, v10, 21, 1
	s_delay_alu instid0(VALU_DEP_1) | instskip(NEXT) | instid1(VALU_DEP_1)
	v_add_nc_u64_e32 v[14:15], v[10:11], v[54:55]
	v_add_nc_u64_e32 v[14:15], -1, v[14:15]
; %bb.2703:                             ;   in Loop: Header=BB4_2182 Depth=2
	s_or_b32 exec_lo, exec_lo, s15
	v_add_nc_u32_e32 v11, 0xffffff81, v25
	v_lshrrev_b32_e32 v15, 23, v10
	s_mov_b32 s11, exec_lo
	s_delay_alu instid0(VALU_DEP_2) | instskip(NEXT) | instid1(VALU_DEP_1)
	v_cndmask_b32_e64 v11, v11, 0xffffff82, vcc_lo
	v_add3_u32 v15, v118, v11, v15
	v_and_b32_e32 v11, 0x1fffff, v14
                                        ; implicit-def: $vgpr14
	s_delay_alu instid0(VALU_DEP_1) | instskip(NEXT) | instid1(VALU_DEP_1)
	v_dual_add_nc_u32 v25, 14, v15 :: v_dual_add_nc_u32 v54, v11, v10
                                        ; implicit-def: $vgpr10_vgpr11
	v_cmpx_ne_u32_e32 0, v25
	s_xor_b32 s11, exec_lo, s11
; %bb.2704:                             ;   in Loop: Header=BB4_2182 Depth=2
	s_delay_alu instid0(VALU_DEP_2) | instskip(SKIP_1) | instid1(VALU_DEP_1)
	v_cmp_lt_u64_e32 vcc_lo, 0xffffff, v[54:55]
	v_add_nc_u32_e32 v10, 15, v15
	v_cndmask_b32_e32 v14, v25, v10, vcc_lo
	v_cndmask_b32_e64 v10, 0, 1, vcc_lo
	s_delay_alu instid0(VALU_DEP_1)
	v_lshrrev_b64 v[10:11], v10, v[54:55]
; %bb.2705:                             ;   in Loop: Header=BB4_2182 Depth=2
	s_and_not1_saveexec_b32 s11, s11
; %bb.2706:                             ;   in Loop: Header=BB4_2182 Depth=2
	v_mov_b64_e32 v[10:11], v[54:55]
	v_bfe_u32 v14, v54, 23, 1
; %bb.2707:                             ;   in Loop: Header=BB4_2182 Depth=2
	s_or_b32 exec_lo, exec_lo, s11
	s_delay_alu instid0(VALU_DEP_2) | instskip(NEXT) | instid1(VALU_DEP_2)
	v_lshrrev_b64 v[10:11], 21, v[10:11]
	v_cmp_gt_i32_e32 vcc_lo, 32, v14
	v_min_i32_e32 v15, 31, v14
	v_cmp_eq_u32_e64 s11, 0, v14
	s_delay_alu instid0(VALU_DEP_4) | instskip(NEXT) | instid1(VALU_DEP_3)
	v_cndmask_b32_e32 v11, 0, v11, vcc_lo
	v_dual_cndmask_b32 v10, 3, v10 :: v_dual_lshlrev_b32 v15, 2, v15
	s_delay_alu instid0(VALU_DEP_1) | instskip(NEXT) | instid1(VALU_DEP_2)
	v_and_b32_e32 v15, 0xfc, v15
	v_cmp_eq_u64_e32 vcc_lo, 0, v[10:11]
	s_delay_alu instid0(VALU_DEP_2)
	v_and_or_b32 v10, v10, 3, v15
	s_and_b32 s11, s11, vcc_lo
	s_delay_alu instid0(VALU_DEP_1) | instid1(SALU_CYCLE_1)
	v_cndmask_b32_e64 v10, v10, 0, s11
	s_delay_alu instid0(VALU_DEP_1)
	v_or_b32_e32 v118, v10, v24
.LBB4_2708:                             ;   in Loop: Header=BB4_2182 Depth=2
	s_or_b32 exec_lo, exec_lo, s14
                                        ; implicit-def: $vgpr24
.LBB4_2709:                             ;   in Loop: Header=BB4_2182 Depth=2
	s_and_not1_saveexec_b32 s11, s13
; %bb.2710:                             ;   in Loop: Header=BB4_2182 Depth=2
	v_or_b32_e32 v118, 0x7b, v24
; %bb.2711:                             ;   in Loop: Header=BB4_2182 Depth=2
	s_or_b32 exec_lo, exec_lo, s11
                                        ; implicit-def: $vgpr11
                                        ; implicit-def: $vgpr10
.LBB4_2712:                             ;   in Loop: Header=BB4_2182 Depth=2
	s_and_not1_saveexec_b32 s11, s12
	s_cbranch_execz .LBB4_2718
; %bb.2713:                             ;   in Loop: Header=BB4_2182 Depth=2
	s_mov_b32 s12, exec_lo
                                        ; implicit-def: $vgpr118
	v_cmpx_ne_u64_e32 0, v[54:55]
	s_xor_b32 s12, exec_lo, s12
; %bb.2714:                             ;   in Loop: Header=BB4_2182 Depth=2
	v_or_b32_e32 v118, 0x7f, v10
                                        ; implicit-def: $vgpr11
; %bb.2715:                             ;   in Loop: Header=BB4_2182 Depth=2
	s_and_not1_saveexec_b32 s12, s12
; %bb.2716:                             ;   in Loop: Header=BB4_2182 Depth=2
	v_cmp_lt_i32_e32 vcc_lo, -1, v11
	v_cndmask_b32_e32 v118, 0xfc, v122, vcc_lo
; %bb.2717:                             ;   in Loop: Header=BB4_2182 Depth=2
	s_or_b32 exec_lo, exec_lo, s12
.LBB4_2718:                             ;   in Loop: Header=BB4_2182 Depth=2
	s_delay_alu instid0(SALU_CYCLE_1) | instskip(SKIP_4) | instid1(VALU_DEP_3)
	s_or_b32 exec_lo, exec_lo, s11
	v_bfe_u32 v11, v16, 16, 2
	v_dual_lshrrev_b32 v24, 16, v16 :: v_dual_lshlrev_b32 v54, 8, v16
	v_and_b32_e32 v15, 0x7c0000, v16
	s_mov_b32 s14, -1
	v_clz_i32_u32_e32 v14, v11
	s_delay_alu instid0(VALU_DEP_3) | instskip(NEXT) | instid1(VALU_DEP_3)
	v_bfe_i32 v119, v24, 0, 8
                                        ; implicit-def: $vgpr41
	v_cmp_eq_u32_e64 s11, 0x7c0000, v15
	v_and_or_b32 v15, 0x80000000, v54, s28
	s_delay_alu instid0(VALU_DEP_4) | instskip(SKIP_3) | instid1(VALU_DEP_4)
	v_min_u32_e32 v25, 32, v14
	v_lshrrev_b32_e32 v10, 16, v12
	v_cmp_lt_i16_e32 vcc_lo, -1, v119
	v_bfe_u32 v14, v16, 18, 5
	v_subrev_nc_u32_e32 v82, 29, v25
	s_delay_alu instid0(VALU_DEP_2) | instskip(NEXT) | instid1(VALU_DEP_2)
	v_cmp_eq_u32_e64 s12, 0, v14
	v_lshlrev_b64_e32 v[42:43], v82, v[24:25]
	v_dual_cndmask_b32 v24, 0xff800000, v126 :: v_dual_sub_nc_u32 v25, 30, v25
	v_and_b32_e32 v40, 0xff, v10
	v_cmp_eq_u32_e32 vcc_lo, 0, v11
	s_delay_alu instid0(VALU_DEP_4) | instskip(NEXT) | instid1(VALU_DEP_3)
	v_and_b32_e32 v54, 3, v42
	v_cmp_ne_u16_e64 s13, 0, v40
	v_cndmask_b32_e32 v24, 0x7f800001, v24, vcc_lo
	s_and_b32 vcc_lo, exec_lo, s45
	s_cbranch_vccz .LBB4_2736
; %bb.2719:                             ;   in Loop: Header=BB4_2182 Depth=2
	v_mov_b32_e32 v41, 0
	s_and_saveexec_b32 s14, s13
	s_cbranch_execz .LBB4_2729
; %bb.2720:                             ;   in Loop: Header=BB4_2182 Depth=2
	v_bfrev_b32_e32 v41, 1
	s_mov_b32 s15, exec_lo
	v_cmpx_ne_u16_e32 0x80, v40
	s_cbranch_execz .LBB4_2728
; %bb.2721:                             ;   in Loop: Header=BB4_2182 Depth=2
	v_and_b32_e32 v82, 0x7c0000, v12
	v_bfe_u32 v42, v12, 16, 2
	s_mov_b32 s46, exec_lo
                                        ; implicit-def: $vgpr41
	s_delay_alu instid0(VALU_DEP_2)
	v_cmpx_ne_u32_e32 0x7c0000, v82
	s_xor_b32 s46, exec_lo, s46
	s_cbranch_execz .LBB4_2725
; %bb.2722:                             ;   in Loop: Header=BB4_2182 Depth=2
	v_bfe_u32 v41, v12, 18, 5
	s_mov_b32 s47, exec_lo
	s_delay_alu instid0(VALU_DEP_1)
	v_cmpx_eq_u32_e32 0, v41
; %bb.2723:                             ;   in Loop: Header=BB4_2182 Depth=2
	v_clz_i32_u32_e32 v82, v42
	s_delay_alu instid0(VALU_DEP_1) | instskip(NEXT) | instid1(VALU_DEP_1)
	v_min_u32_e32 v82, 32, v82
	v_subrev_nc_u32_e32 v83, 29, v82
	v_sub_nc_u32_e32 v41, 30, v82
	s_delay_alu instid0(VALU_DEP_2) | instskip(NEXT) | instid1(VALU_DEP_1)
	v_lshlrev_b64_e32 v[42:43], v83, v[10:11]
	v_and_b32_e32 v42, 3, v42
; %bb.2724:                             ;   in Loop: Header=BB4_2182 Depth=2
	s_or_b32 exec_lo, exec_lo, s47
	v_lshlrev_b32_e32 v82, 24, v10
	s_delay_alu instid0(VALU_DEP_1) | instskip(NEXT) | instid1(VALU_DEP_1)
	v_and_b32_e32 v82, 0x80000000, v82
	v_lshl_add_u32 v82, v41, 23, v82
	s_delay_alu instid0(VALU_DEP_1) | instskip(NEXT) | instid1(VALU_DEP_1)
	v_lshl_or_b32 v82, v42, 21, v82
                                        ; implicit-def: $vgpr42
	v_add_nc_u32_e32 v41, 0x38000000, v82
.LBB4_2725:                             ;   in Loop: Header=BB4_2182 Depth=2
	s_and_not1_saveexec_b32 s46, s46
; %bb.2726:                             ;   in Loop: Header=BB4_2182 Depth=2
	v_bfe_i32 v82, v10, 0, 8
	s_delay_alu instid0(VALU_DEP_1) | instskip(SKIP_2) | instid1(VALU_DEP_2)
	v_cmp_lt_i16_e32 vcc_lo, -1, v82
	v_cndmask_b32_e32 v82, 0xff800000, v126, vcc_lo
	v_cmp_eq_u32_e32 vcc_lo, 0, v42
	v_cndmask_b32_e32 v41, 0x7f800001, v82, vcc_lo
; %bb.2727:                             ;   in Loop: Header=BB4_2182 Depth=2
	s_or_b32 exec_lo, exec_lo, s46
.LBB4_2728:                             ;   in Loop: Header=BB4_2182 Depth=2
	s_delay_alu instid0(SALU_CYCLE_1)
	s_or_b32 exec_lo, exec_lo, s15
.LBB4_2729:                             ;   in Loop: Header=BB4_2182 Depth=2
	s_delay_alu instid0(SALU_CYCLE_1) | instskip(SKIP_3) | instid1(VALU_DEP_1)
	s_or_b32 exec_lo, exec_lo, s14
	v_and_b32_e32 v43, 0xff, v119
	s_mov_b32 s14, 0
	s_mov_b32 s15, exec_lo
	v_cmpx_lt_i16_e32 0x7f, v43
	s_xor_b32 s15, exec_lo, s15
	s_cbranch_execz .LBB4_3061
; %bb.2730:                             ;   in Loop: Header=BB4_2182 Depth=2
	s_mov_b32 s14, -1
	s_mov_b32 s46, exec_lo
	v_cmpx_eq_u16_e32 0x80, v43
; %bb.2731:                             ;   in Loop: Header=BB4_2182 Depth=2
	s_xor_b32 s14, exec_lo, -1
; %bb.2732:                             ;   in Loop: Header=BB4_2182 Depth=2
	s_or_b32 exec_lo, exec_lo, s46
	s_delay_alu instid0(SALU_CYCLE_1)
	s_and_b32 s14, s14, exec_lo
                                        ; implicit-def: $vgpr43
	s_or_saveexec_b32 s15, s15
	v_bfrev_b32_e32 v42, 1
	s_xor_b32 exec_lo, exec_lo, s15
	s_cbranch_execnz .LBB4_3062
.LBB4_2733:                             ;   in Loop: Header=BB4_2182 Depth=2
	s_or_b32 exec_lo, exec_lo, s15
	s_and_saveexec_b32 s15, s14
.LBB4_2734:                             ;   in Loop: Header=BB4_2182 Depth=2
	v_dual_cndmask_b32 v82, v14, v25, s12 :: v_dual_cndmask_b32 v83, v11, v54, s12
	s_delay_alu instid0(VALU_DEP_1) | instskip(NEXT) | instid1(VALU_DEP_1)
	v_lshl_add_u32 v82, v82, 23, v15
	v_lshl_or_b32 v82, v83, 21, v82
	s_delay_alu instid0(VALU_DEP_1)
	v_cndmask_b32_e64 v42, v82, v24, s11
.LBB4_2735:                             ;   in Loop: Header=BB4_2182 Depth=2
	s_or_b32 exec_lo, exec_lo, s15
	s_delay_alu instid0(VALU_DEP_1) | instskip(SKIP_1) | instid1(VALU_DEP_1)
	v_dual_max_num_f32 v82, v42, v42 :: v_dual_max_num_f32 v83, v41, v41
	s_mov_b32 s14, 0
	v_max_num_f32_e32 v41, v83, v82
.LBB4_2736:                             ;   in Loop: Header=BB4_2182 Depth=2
	s_and_b32 vcc_lo, exec_lo, s14
	s_cbranch_vccz .LBB4_2754
; %bb.2737:                             ;   in Loop: Header=BB4_2182 Depth=2
	v_mov_b32_e32 v41, 0
	s_and_saveexec_b32 s14, s13
	s_cbranch_execz .LBB4_2747
; %bb.2738:                             ;   in Loop: Header=BB4_2182 Depth=2
	v_bfrev_b32_e32 v41, 1
	s_mov_b32 s13, exec_lo
	v_cmpx_ne_u16_e32 0x80, v40
	s_cbranch_execz .LBB4_2746
; %bb.2739:                             ;   in Loop: Header=BB4_2182 Depth=2
	v_and_b32_e32 v82, 0x7c0000, v12
	v_bfe_u32 v40, v12, 16, 2
	s_mov_b32 s15, exec_lo
                                        ; implicit-def: $vgpr41
	s_delay_alu instid0(VALU_DEP_2)
	v_cmpx_ne_u32_e32 0x7c0000, v82
	s_xor_b32 s15, exec_lo, s15
	s_cbranch_execz .LBB4_2743
; %bb.2740:                             ;   in Loop: Header=BB4_2182 Depth=2
	v_bfe_u32 v41, v12, 18, 5
	s_mov_b32 s46, exec_lo
	s_delay_alu instid0(VALU_DEP_1)
	v_cmpx_eq_u32_e32 0, v41
; %bb.2741:                             ;   in Loop: Header=BB4_2182 Depth=2
	v_clz_i32_u32_e32 v82, v40
	s_delay_alu instid0(VALU_DEP_1) | instskip(NEXT) | instid1(VALU_DEP_1)
	v_min_u32_e32 v82, 32, v82
	v_subrev_nc_u32_e32 v83, 29, v82
	s_delay_alu instid0(VALU_DEP_1) | instskip(NEXT) | instid1(VALU_DEP_1)
	v_lshlrev_b64_e32 v[40:41], v83, v[10:11]
	v_dual_sub_nc_u32 v41, 30, v82 :: v_dual_bitop2_b32 v40, 3, v40 bitop3:0x40
; %bb.2742:                             ;   in Loop: Header=BB4_2182 Depth=2
	s_or_b32 exec_lo, exec_lo, s46
	v_lshlrev_b32_e32 v10, 24, v10
	s_delay_alu instid0(VALU_DEP_1) | instskip(NEXT) | instid1(VALU_DEP_1)
	v_and_b32_e32 v10, 0x80000000, v10
	v_lshl_add_u32 v10, v41, 23, v10
	s_delay_alu instid0(VALU_DEP_1) | instskip(NEXT) | instid1(VALU_DEP_1)
	v_lshl_or_b32 v10, v40, 21, v10
                                        ; implicit-def: $vgpr40
	v_add_nc_u32_e32 v41, 0x38000000, v10
                                        ; implicit-def: $vgpr10
.LBB4_2743:                             ;   in Loop: Header=BB4_2182 Depth=2
	s_and_not1_saveexec_b32 s15, s15
; %bb.2744:                             ;   in Loop: Header=BB4_2182 Depth=2
	v_bfe_i32 v10, v10, 0, 8
	s_delay_alu instid0(VALU_DEP_1) | instskip(SKIP_2) | instid1(VALU_DEP_2)
	v_cmp_lt_i16_e32 vcc_lo, -1, v10
	v_cndmask_b32_e32 v10, 0xff800000, v126, vcc_lo
	v_cmp_eq_u32_e32 vcc_lo, 0, v40
	v_cndmask_b32_e32 v41, 0x7f800001, v10, vcc_lo
; %bb.2745:                             ;   in Loop: Header=BB4_2182 Depth=2
	s_or_b32 exec_lo, exec_lo, s15
.LBB4_2746:                             ;   in Loop: Header=BB4_2182 Depth=2
	s_delay_alu instid0(SALU_CYCLE_1)
	s_or_b32 exec_lo, exec_lo, s13
.LBB4_2747:                             ;   in Loop: Header=BB4_2182 Depth=2
	s_delay_alu instid0(SALU_CYCLE_1) | instskip(SKIP_3) | instid1(VALU_DEP_1)
	s_or_b32 exec_lo, exec_lo, s14
	v_and_b32_e32 v119, 0xff, v119
	s_mov_b32 s13, 0
	s_mov_b32 s14, exec_lo
	v_cmpx_lt_i16_e32 0x7f, v119
	s_xor_b32 s14, exec_lo, s14
	s_cbranch_execz .LBB4_3063
; %bb.2748:                             ;   in Loop: Header=BB4_2182 Depth=2
	s_mov_b32 s13, -1
	s_mov_b32 s15, exec_lo
	v_cmpx_eq_u16_e32 0x80, v119
; %bb.2749:                             ;   in Loop: Header=BB4_2182 Depth=2
	s_xor_b32 s13, exec_lo, -1
; %bb.2750:                             ;   in Loop: Header=BB4_2182 Depth=2
	s_or_b32 exec_lo, exec_lo, s15
	s_delay_alu instid0(SALU_CYCLE_1)
	s_and_b32 s13, s13, exec_lo
                                        ; implicit-def: $vgpr119
	s_or_saveexec_b32 s14, s14
	v_bfrev_b32_e32 v10, 1
	s_xor_b32 exec_lo, exec_lo, s14
	s_cbranch_execnz .LBB4_3064
.LBB4_2751:                             ;   in Loop: Header=BB4_2182 Depth=2
	s_or_b32 exec_lo, exec_lo, s14
	s_and_saveexec_b32 s14, s13
.LBB4_2752:                             ;   in Loop: Header=BB4_2182 Depth=2
	v_dual_cndmask_b32 v10, v14, v25, s12 :: v_dual_cndmask_b32 v11, v11, v54, s12
	s_delay_alu instid0(VALU_DEP_1) | instskip(NEXT) | instid1(VALU_DEP_1)
	v_lshl_add_u32 v10, v10, 23, v15
	v_lshl_or_b32 v10, v11, 21, v10
	s_delay_alu instid0(VALU_DEP_1)
	v_cndmask_b32_e64 v10, v10, v24, s11
.LBB4_2753:                             ;   in Loop: Header=BB4_2182 Depth=2
	s_or_b32 exec_lo, exec_lo, s14
	s_delay_alu instid0(VALU_DEP_1) | instskip(NEXT) | instid1(VALU_DEP_1)
	v_dual_max_num_f32 v10, v10, v10 :: v_dual_max_num_f32 v11, v41, v41
	v_min_num_f32_e32 v41, v11, v10
.LBB4_2754:                             ;   in Loop: Header=BB4_2182 Depth=2
	s_delay_alu instid0(VALU_DEP_1) | instskip(SKIP_2) | instid1(VALU_DEP_2)
	v_and_b32_e32 v10, 0x7f800000, v41
	v_mov_b32_e32 v11, v55
	v_and_b32_e32 v54, 0x7fffff, v41
                                        ; implicit-def: $vgpr119
	v_cmp_ne_u64_e32 vcc_lo, 0x7f800000, v[10:11]
	v_lshrrev_b32_e32 v10, 24, v41
	s_and_saveexec_b32 s11, vcc_lo
	s_delay_alu instid0(SALU_CYCLE_1)
	s_xor_b32 s12, exec_lo, s11
	s_cbranch_execz .LBB4_2768
; %bb.2755:                             ;   in Loop: Header=BB4_2182 Depth=2
	v_and_b32_e32 v14, 0x7fffffff, v41
	v_mov_b32_e32 v15, v55
	v_and_b32_e32 v24, 0x80, v10
                                        ; implicit-def: $vgpr119
	s_mov_b32 s11, exec_lo
	s_delay_alu instid0(VALU_DEP_2)
	v_cmpx_gt_u64_e32 0x47600001, v[14:15]
	s_xor_b32 s13, exec_lo, s11
	s_cbranch_execz .LBB4_2765
; %bb.2756:                             ;   in Loop: Header=BB4_2182 Depth=2
	v_mov_b32_e32 v119, 0
	s_mov_b32 s14, exec_lo
	v_cmpx_ne_u32_e32 0, v41
	s_cbranch_execz .LBB4_2764
; %bb.2757:                             ;   in Loop: Header=BB4_2182 Depth=2
	v_bfe_u32 v25, v41, 23, 8
	v_or_b32_e32 v14, 0x800000, v54
	s_delay_alu instid0(VALU_DEP_2) | instskip(SKIP_1) | instid1(VALU_DEP_2)
	v_sub_nc_u32_e32 v10, 0x71, v25
	v_cmp_gt_u32_e32 vcc_lo, 0x72, v25
	v_cndmask_b32_e32 v10, 0, v10, vcc_lo
	v_cmp_eq_u32_e32 vcc_lo, 0, v25
	s_delay_alu instid0(VALU_DEP_2) | instskip(NEXT) | instid1(VALU_DEP_1)
	v_cndmask_b32_e64 v119, v10, 0x70, vcc_lo
	v_dual_cndmask_b32 v54, v14, v54, vcc_lo :: v_dual_add_nc_u32 v10, 21, v119
	v_add_nc_u32_e32 v15, 20, v119
	s_delay_alu instid0(VALU_DEP_2) | instskip(NEXT) | instid1(VALU_DEP_2)
	v_lshlrev_b64_e64 v[10:11], v10, -1
	v_lshlrev_b64_e64 v[14:15], v15, 1
	s_delay_alu instid0(VALU_DEP_2) | instskip(NEXT) | instid1(VALU_DEP_3)
	v_bfi_b32 v41, v11, 0, 0
	v_bfi_b32 v40, v10, 0, v54
	v_lshrrev_b64 v[10:11], v119, v[54:55]
	s_delay_alu instid0(VALU_DEP_2) | instskip(NEXT) | instid1(VALU_DEP_2)
	v_cmp_eq_u64_e64 s11, v[40:41], v[14:15]
	v_mov_b64_e32 v[14:15], v[10:11]
	s_and_saveexec_b32 s15, s11
; %bb.2758:                             ;   in Loop: Header=BB4_2182 Depth=2
	v_bfe_u32 v54, v10, 21, 1
	s_delay_alu instid0(VALU_DEP_1) | instskip(NEXT) | instid1(VALU_DEP_1)
	v_add_nc_u64_e32 v[14:15], v[10:11], v[54:55]
	v_add_nc_u64_e32 v[14:15], -1, v[14:15]
; %bb.2759:                             ;   in Loop: Header=BB4_2182 Depth=2
	s_or_b32 exec_lo, exec_lo, s15
	v_add_nc_u32_e32 v11, 0xffffff81, v25
	v_lshrrev_b32_e32 v15, 23, v10
	s_mov_b32 s11, exec_lo
	s_delay_alu instid0(VALU_DEP_2) | instskip(NEXT) | instid1(VALU_DEP_1)
	v_cndmask_b32_e64 v11, v11, 0xffffff82, vcc_lo
	v_add3_u32 v15, v119, v11, v15
	v_and_b32_e32 v11, 0x1fffff, v14
                                        ; implicit-def: $vgpr14
	s_delay_alu instid0(VALU_DEP_1) | instskip(NEXT) | instid1(VALU_DEP_1)
	v_dual_add_nc_u32 v25, 14, v15 :: v_dual_add_nc_u32 v54, v11, v10
                                        ; implicit-def: $vgpr10_vgpr11
	v_cmpx_ne_u32_e32 0, v25
	s_xor_b32 s11, exec_lo, s11
; %bb.2760:                             ;   in Loop: Header=BB4_2182 Depth=2
	s_delay_alu instid0(VALU_DEP_2) | instskip(SKIP_1) | instid1(VALU_DEP_1)
	v_cmp_lt_u64_e32 vcc_lo, 0xffffff, v[54:55]
	v_add_nc_u32_e32 v10, 15, v15
	v_cndmask_b32_e32 v14, v25, v10, vcc_lo
	v_cndmask_b32_e64 v10, 0, 1, vcc_lo
	s_delay_alu instid0(VALU_DEP_1)
	v_lshrrev_b64 v[10:11], v10, v[54:55]
; %bb.2761:                             ;   in Loop: Header=BB4_2182 Depth=2
	s_and_not1_saveexec_b32 s11, s11
; %bb.2762:                             ;   in Loop: Header=BB4_2182 Depth=2
	v_mov_b64_e32 v[10:11], v[54:55]
	v_bfe_u32 v14, v54, 23, 1
; %bb.2763:                             ;   in Loop: Header=BB4_2182 Depth=2
	s_or_b32 exec_lo, exec_lo, s11
	s_delay_alu instid0(VALU_DEP_2) | instskip(NEXT) | instid1(VALU_DEP_2)
	v_lshrrev_b64 v[10:11], 21, v[10:11]
	v_cmp_gt_i32_e32 vcc_lo, 32, v14
	v_min_i32_e32 v15, 31, v14
	v_cmp_eq_u32_e64 s11, 0, v14
	s_delay_alu instid0(VALU_DEP_4) | instskip(NEXT) | instid1(VALU_DEP_3)
	v_cndmask_b32_e32 v11, 0, v11, vcc_lo
	v_dual_cndmask_b32 v10, 3, v10 :: v_dual_lshlrev_b32 v15, 2, v15
	s_delay_alu instid0(VALU_DEP_1) | instskip(NEXT) | instid1(VALU_DEP_2)
	v_and_b32_e32 v15, 0xfc, v15
	v_cmp_eq_u64_e32 vcc_lo, 0, v[10:11]
	s_delay_alu instid0(VALU_DEP_2)
	v_and_or_b32 v10, v10, 3, v15
	s_and_b32 s11, s11, vcc_lo
	s_delay_alu instid0(VALU_DEP_1) | instid1(SALU_CYCLE_1)
	v_cndmask_b32_e64 v10, v10, 0, s11
	s_delay_alu instid0(VALU_DEP_1)
	v_or_b32_e32 v119, v10, v24
.LBB4_2764:                             ;   in Loop: Header=BB4_2182 Depth=2
	s_or_b32 exec_lo, exec_lo, s14
                                        ; implicit-def: $vgpr24
.LBB4_2765:                             ;   in Loop: Header=BB4_2182 Depth=2
	s_and_not1_saveexec_b32 s11, s13
; %bb.2766:                             ;   in Loop: Header=BB4_2182 Depth=2
	v_or_b32_e32 v119, 0x7b, v24
; %bb.2767:                             ;   in Loop: Header=BB4_2182 Depth=2
	s_or_b32 exec_lo, exec_lo, s11
                                        ; implicit-def: $vgpr41
                                        ; implicit-def: $vgpr10
.LBB4_2768:                             ;   in Loop: Header=BB4_2182 Depth=2
	s_and_not1_saveexec_b32 s11, s12
	s_cbranch_execz .LBB4_2774
; %bb.2769:                             ;   in Loop: Header=BB4_2182 Depth=2
	s_mov_b32 s12, exec_lo
                                        ; implicit-def: $vgpr119
	v_cmpx_ne_u64_e32 0, v[54:55]
	s_xor_b32 s12, exec_lo, s12
; %bb.2770:                             ;   in Loop: Header=BB4_2182 Depth=2
	v_or_b32_e32 v119, 0x7f, v10
                                        ; implicit-def: $vgpr41
; %bb.2771:                             ;   in Loop: Header=BB4_2182 Depth=2
	s_and_not1_saveexec_b32 s12, s12
; %bb.2772:                             ;   in Loop: Header=BB4_2182 Depth=2
	v_cmp_lt_i32_e32 vcc_lo, -1, v41
	v_cndmask_b32_e32 v119, 0xfc, v122, vcc_lo
; %bb.2773:                             ;   in Loop: Header=BB4_2182 Depth=2
	s_or_b32 exec_lo, exec_lo, s12
.LBB4_2774:                             ;   in Loop: Header=BB4_2182 Depth=2
	s_delay_alu instid0(SALU_CYCLE_1)
	s_or_b32 exec_lo, exec_lo, s11
	v_bfe_u32 v11, v16, 24, 2
	v_cmp_lt_i32_e32 vcc_lo, -1, v16
	v_lshrrev_b32_e32 v10, 24, v12
	v_and_b32_e32 v54, 0x7c000000, v16
	v_cmp_gt_u32_e64 s11, 0x1000000, v16
	v_clz_i32_u32_e32 v14, v11
	v_cndmask_b32_e32 v83, 0xff800000, v126, vcc_lo
	v_cmp_eq_u32_e32 vcc_lo, 0, v11
	v_and_or_b32 v15, 0x80000000, v16, s28
	v_cmp_lt_u32_e64 s15, 0xffffff, v12
	v_min_u32_e32 v25, 32, v14
	v_lshrrev_b32_e32 v24, 24, v16
	v_bfe_u32 v14, v16, 26, 5
	v_cmp_eq_u32_e64 s13, 0x7c000000, v54
	s_mov_b32 s46, -1
	v_subrev_nc_u32_e32 v82, 29, v25
	v_cmp_eq_u32_e64 s14, 0, v14
	s_delay_alu instid0(VALU_DEP_2)
	v_lshlrev_b64_e32 v[40:41], v82, v[24:25]
	v_sub_nc_u32_e32 v25, 30, v25
	v_cmp_eq_u32_e64 s12, 0x80, v24
	v_cndmask_b32_e32 v24, 0x7f800001, v83, vcc_lo
	s_and_b32 vcc_lo, exec_lo, s45
                                        ; implicit-def: $vgpr41
	v_and_b32_e32 v54, 3, v40
	s_cbranch_vccz .LBB4_2786
; %bb.2775:                             ;   in Loop: Header=BB4_2182 Depth=2
	v_mov_b32_e32 v40, 0
	s_and_saveexec_b32 s46, s15
	s_cbranch_execz .LBB4_2785
; %bb.2776:                             ;   in Loop: Header=BB4_2182 Depth=2
	v_bfrev_b32_e32 v40, 1
	s_mov_b32 s47, exec_lo
	v_cmpx_ne_u32_e32 0x80, v10
	s_cbranch_execz .LBB4_2784
; %bb.2777:                             ;   in Loop: Header=BB4_2182 Depth=2
	v_and_b32_e32 v82, 0x7c000000, v12
	v_bfe_u32 v41, v12, 24, 2
	s_mov_b32 s56, exec_lo
                                        ; implicit-def: $vgpr40
	s_delay_alu instid0(VALU_DEP_2)
	v_cmpx_ne_u32_e32 0x7c000000, v82
	s_xor_b32 s56, exec_lo, s56
	s_cbranch_execz .LBB4_2781
; %bb.2778:                             ;   in Loop: Header=BB4_2182 Depth=2
	v_bfe_u32 v40, v12, 26, 5
	s_mov_b32 s57, exec_lo
	s_delay_alu instid0(VALU_DEP_1)
	v_cmpx_eq_u32_e32 0, v40
; %bb.2779:                             ;   in Loop: Header=BB4_2182 Depth=2
	v_clz_i32_u32_e32 v82, v41
	s_delay_alu instid0(VALU_DEP_1) | instskip(NEXT) | instid1(VALU_DEP_1)
	v_min_u32_e32 v82, 32, v82
	v_subrev_nc_u32_e32 v83, 29, v82
	v_sub_nc_u32_e32 v40, 30, v82
	s_delay_alu instid0(VALU_DEP_2) | instskip(NEXT) | instid1(VALU_DEP_1)
	v_lshlrev_b64_e32 v[42:43], v83, v[10:11]
	v_and_b32_e32 v41, 3, v42
; %bb.2780:                             ;   in Loop: Header=BB4_2182 Depth=2
	s_or_b32 exec_lo, exec_lo, s57
	v_and_b32_e32 v82, 0x80000000, v12
	s_delay_alu instid0(VALU_DEP_1) | instskip(NEXT) | instid1(VALU_DEP_1)
	v_lshl_add_u32 v82, v40, 23, v82
	v_lshl_or_b32 v82, v41, 21, v82
                                        ; implicit-def: $vgpr41
	s_delay_alu instid0(VALU_DEP_1)
	v_add_nc_u32_e32 v40, 0x38000000, v82
.LBB4_2781:                             ;   in Loop: Header=BB4_2182 Depth=2
	s_and_not1_saveexec_b32 s56, s56
; %bb.2782:                             ;   in Loop: Header=BB4_2182 Depth=2
	v_cmp_lt_i32_e32 vcc_lo, -1, v12
	v_cndmask_b32_e32 v82, 0xff800000, v126, vcc_lo
	v_cmp_eq_u32_e32 vcc_lo, 0, v41
	s_delay_alu instid0(VALU_DEP_2)
	v_cndmask_b32_e32 v40, 0x7f800001, v82, vcc_lo
; %bb.2783:                             ;   in Loop: Header=BB4_2182 Depth=2
	s_or_b32 exec_lo, exec_lo, s56
.LBB4_2784:                             ;   in Loop: Header=BB4_2182 Depth=2
	s_delay_alu instid0(SALU_CYCLE_1)
	s_or_b32 exec_lo, exec_lo, s47
.LBB4_2785:                             ;   in Loop: Header=BB4_2182 Depth=2
	s_delay_alu instid0(SALU_CYCLE_1) | instskip(SKIP_2) | instid1(VALU_DEP_1)
	s_or_b32 exec_lo, exec_lo, s46
	v_dual_cndmask_b32 v82, v14, v25, s14 :: v_dual_cndmask_b32 v83, v11, v54, s14
	s_mov_b32 s46, 0
	v_lshl_add_u32 v82, v82, 23, v15
	s_delay_alu instid0(VALU_DEP_1) | instskip(SKIP_1) | instid1(VALU_DEP_2)
	v_lshl_or_b32 v82, v83, 21, v82
	v_max_num_f32_e32 v83, v40, v40
	v_cndmask_b32_e64 v82, v82, v24, s13
	s_delay_alu instid0(VALU_DEP_1) | instskip(NEXT) | instid1(VALU_DEP_1)
	v_cndmask_b32_e64 v82, v82, 0x80000000, s12
	v_cndmask_b32_e64 v82, v82, 0, s11
	s_delay_alu instid0(VALU_DEP_1) | instskip(NEXT) | instid1(VALU_DEP_1)
	v_max_num_f32_e32 v82, v82, v82
	v_max_num_f32_e32 v41, v83, v82
.LBB4_2786:                             ;   in Loop: Header=BB4_2182 Depth=2
	s_and_b32 vcc_lo, exec_lo, s46
	s_cbranch_vccz .LBB4_2798
; %bb.2787:                             ;   in Loop: Header=BB4_2182 Depth=2
	v_mov_b32_e32 v40, 0
	s_and_saveexec_b32 s46, s15
	s_cbranch_execz .LBB4_2797
; %bb.2788:                             ;   in Loop: Header=BB4_2182 Depth=2
	v_bfrev_b32_e32 v40, 1
	s_mov_b32 s15, exec_lo
	v_cmpx_ne_u32_e32 0x80, v10
	s_cbranch_execz .LBB4_2796
; %bb.2789:                             ;   in Loop: Header=BB4_2182 Depth=2
	v_and_b32_e32 v82, 0x7c000000, v12
	v_bfe_u32 v41, v12, 24, 2
	s_mov_b32 s47, exec_lo
                                        ; implicit-def: $vgpr40
	s_delay_alu instid0(VALU_DEP_2)
	v_cmpx_ne_u32_e32 0x7c000000, v82
	s_xor_b32 s47, exec_lo, s47
	s_cbranch_execz .LBB4_2793
; %bb.2790:                             ;   in Loop: Header=BB4_2182 Depth=2
	v_bfe_u32 v40, v12, 26, 5
	s_mov_b32 s56, exec_lo
	s_delay_alu instid0(VALU_DEP_1)
	v_cmpx_eq_u32_e32 0, v40
; %bb.2791:                             ;   in Loop: Header=BB4_2182 Depth=2
	v_clz_i32_u32_e32 v82, v41
	s_delay_alu instid0(VALU_DEP_1) | instskip(NEXT) | instid1(VALU_DEP_1)
	v_min_u32_e32 v82, 32, v82
	v_subrev_nc_u32_e32 v83, 29, v82
	v_sub_nc_u32_e32 v40, 30, v82
	s_delay_alu instid0(VALU_DEP_2) | instskip(NEXT) | instid1(VALU_DEP_1)
	v_lshlrev_b64_e32 v[42:43], v83, v[10:11]
	v_and_b32_e32 v41, 3, v42
; %bb.2792:                             ;   in Loop: Header=BB4_2182 Depth=2
	s_or_b32 exec_lo, exec_lo, s56
	v_and_b32_e32 v10, 0x80000000, v12
	s_delay_alu instid0(VALU_DEP_1) | instskip(NEXT) | instid1(VALU_DEP_1)
	v_lshl_add_u32 v10, v40, 23, v10
	v_lshl_or_b32 v10, v41, 21, v10
                                        ; implicit-def: $vgpr41
	s_delay_alu instid0(VALU_DEP_1)
	v_add_nc_u32_e32 v40, 0x38000000, v10
.LBB4_2793:                             ;   in Loop: Header=BB4_2182 Depth=2
	s_and_not1_saveexec_b32 s47, s47
; %bb.2794:                             ;   in Loop: Header=BB4_2182 Depth=2
	v_cmp_lt_i32_e32 vcc_lo, -1, v12
	v_cndmask_b32_e32 v10, 0xff800000, v126, vcc_lo
	v_cmp_eq_u32_e32 vcc_lo, 0, v41
	s_delay_alu instid0(VALU_DEP_2)
	v_cndmask_b32_e32 v40, 0x7f800001, v10, vcc_lo
; %bb.2795:                             ;   in Loop: Header=BB4_2182 Depth=2
	s_or_b32 exec_lo, exec_lo, s47
.LBB4_2796:                             ;   in Loop: Header=BB4_2182 Depth=2
	s_delay_alu instid0(SALU_CYCLE_1)
	s_or_b32 exec_lo, exec_lo, s15
.LBB4_2797:                             ;   in Loop: Header=BB4_2182 Depth=2
	s_delay_alu instid0(SALU_CYCLE_1) | instskip(SKIP_1) | instid1(VALU_DEP_1)
	s_or_b32 exec_lo, exec_lo, s46
	v_dual_cndmask_b32 v10, v14, v25, s14 :: v_dual_cndmask_b32 v11, v11, v54, s14
	v_lshl_add_u32 v10, v10, 23, v15
	s_delay_alu instid0(VALU_DEP_1) | instskip(SKIP_1) | instid1(VALU_DEP_2)
	v_lshl_or_b32 v10, v11, 21, v10
	v_max_num_f32_e32 v11, v40, v40
	v_cndmask_b32_e64 v10, v10, v24, s13
	s_delay_alu instid0(VALU_DEP_1) | instskip(NEXT) | instid1(VALU_DEP_1)
	v_cndmask_b32_e64 v10, v10, 0x80000000, s12
	v_cndmask_b32_e64 v10, v10, 0, s11
	s_delay_alu instid0(VALU_DEP_1) | instskip(NEXT) | instid1(VALU_DEP_1)
	v_max_num_f32_e32 v10, v10, v10
	v_min_num_f32_e32 v41, v11, v10
.LBB4_2798:                             ;   in Loop: Header=BB4_2182 Depth=2
	s_delay_alu instid0(VALU_DEP_1) | instskip(SKIP_2) | instid1(VALU_DEP_2)
	v_and_b32_e32 v10, 0x7f800000, v41
	v_mov_b32_e32 v11, v55
	v_and_b32_e32 v54, 0x7fffff, v41
                                        ; implicit-def: $vgpr40
	v_cmp_ne_u64_e32 vcc_lo, 0x7f800000, v[10:11]
	v_lshrrev_b32_e32 v10, 24, v41
	s_and_saveexec_b32 s11, vcc_lo
	s_delay_alu instid0(SALU_CYCLE_1)
	s_xor_b32 s12, exec_lo, s11
	s_cbranch_execz .LBB4_2812
; %bb.2799:                             ;   in Loop: Header=BB4_2182 Depth=2
	v_and_b32_e32 v14, 0x7fffffff, v41
	v_mov_b32_e32 v15, v55
	v_and_b32_e32 v24, 0x80, v10
                                        ; implicit-def: $vgpr40
	s_mov_b32 s11, exec_lo
	s_delay_alu instid0(VALU_DEP_2)
	v_cmpx_gt_u64_e32 0x47600001, v[14:15]
	s_xor_b32 s13, exec_lo, s11
	s_cbranch_execz .LBB4_2809
; %bb.2800:                             ;   in Loop: Header=BB4_2182 Depth=2
	v_mov_b32_e32 v40, 0
	s_mov_b32 s14, exec_lo
	v_cmpx_ne_u32_e32 0, v41
	s_cbranch_execz .LBB4_2808
; %bb.2801:                             ;   in Loop: Header=BB4_2182 Depth=2
	v_bfe_u32 v25, v41, 23, 8
	v_or_b32_e32 v14, 0x800000, v54
	s_delay_alu instid0(VALU_DEP_2) | instskip(SKIP_1) | instid1(VALU_DEP_2)
	v_sub_nc_u32_e32 v10, 0x71, v25
	v_cmp_gt_u32_e32 vcc_lo, 0x72, v25
	v_cndmask_b32_e32 v10, 0, v10, vcc_lo
	v_cmp_eq_u32_e32 vcc_lo, 0, v25
	s_delay_alu instid0(VALU_DEP_2) | instskip(NEXT) | instid1(VALU_DEP_1)
	v_cndmask_b32_e64 v40, v10, 0x70, vcc_lo
	v_dual_cndmask_b32 v54, v14, v54, vcc_lo :: v_dual_add_nc_u32 v10, 21, v40
	v_add_nc_u32_e32 v15, 20, v40
	s_delay_alu instid0(VALU_DEP_2) | instskip(NEXT) | instid1(VALU_DEP_2)
	v_lshlrev_b64_e64 v[10:11], v10, -1
	v_lshlrev_b64_e64 v[14:15], v15, 1
	s_delay_alu instid0(VALU_DEP_2) | instskip(NEXT) | instid1(VALU_DEP_3)
	v_bfi_b32 v43, v11, 0, 0
	v_bfi_b32 v42, v10, 0, v54
	v_lshrrev_b64 v[10:11], v40, v[54:55]
	s_delay_alu instid0(VALU_DEP_2) | instskip(NEXT) | instid1(VALU_DEP_2)
	v_cmp_eq_u64_e64 s11, v[42:43], v[14:15]
	v_mov_b64_e32 v[14:15], v[10:11]
	s_and_saveexec_b32 s15, s11
; %bb.2802:                             ;   in Loop: Header=BB4_2182 Depth=2
	v_bfe_u32 v54, v10, 21, 1
	s_delay_alu instid0(VALU_DEP_1) | instskip(NEXT) | instid1(VALU_DEP_1)
	v_add_nc_u64_e32 v[14:15], v[10:11], v[54:55]
	v_add_nc_u64_e32 v[14:15], -1, v[14:15]
; %bb.2803:                             ;   in Loop: Header=BB4_2182 Depth=2
	s_or_b32 exec_lo, exec_lo, s15
	v_add_nc_u32_e32 v11, 0xffffff81, v25
	v_lshrrev_b32_e32 v15, 23, v10
	s_mov_b32 s11, exec_lo
	s_delay_alu instid0(VALU_DEP_2) | instskip(NEXT) | instid1(VALU_DEP_1)
	v_cndmask_b32_e64 v11, v11, 0xffffff82, vcc_lo
	v_add3_u32 v15, v40, v11, v15
	v_and_b32_e32 v11, 0x1fffff, v14
                                        ; implicit-def: $vgpr14
	s_delay_alu instid0(VALU_DEP_1) | instskip(NEXT) | instid1(VALU_DEP_1)
	v_dual_add_nc_u32 v25, 14, v15 :: v_dual_add_nc_u32 v54, v11, v10
                                        ; implicit-def: $vgpr10_vgpr11
	v_cmpx_ne_u32_e32 0, v25
	s_xor_b32 s11, exec_lo, s11
; %bb.2804:                             ;   in Loop: Header=BB4_2182 Depth=2
	s_delay_alu instid0(VALU_DEP_2) | instskip(SKIP_1) | instid1(VALU_DEP_1)
	v_cmp_lt_u64_e32 vcc_lo, 0xffffff, v[54:55]
	v_add_nc_u32_e32 v10, 15, v15
	v_cndmask_b32_e32 v14, v25, v10, vcc_lo
	v_cndmask_b32_e64 v10, 0, 1, vcc_lo
	s_delay_alu instid0(VALU_DEP_1)
	v_lshrrev_b64 v[10:11], v10, v[54:55]
; %bb.2805:                             ;   in Loop: Header=BB4_2182 Depth=2
	s_and_not1_saveexec_b32 s11, s11
; %bb.2806:                             ;   in Loop: Header=BB4_2182 Depth=2
	v_mov_b64_e32 v[10:11], v[54:55]
	v_bfe_u32 v14, v54, 23, 1
; %bb.2807:                             ;   in Loop: Header=BB4_2182 Depth=2
	s_or_b32 exec_lo, exec_lo, s11
	s_delay_alu instid0(VALU_DEP_2) | instskip(NEXT) | instid1(VALU_DEP_2)
	v_lshrrev_b64 v[10:11], 21, v[10:11]
	v_cmp_gt_i32_e32 vcc_lo, 32, v14
	v_min_i32_e32 v15, 31, v14
	v_cmp_eq_u32_e64 s11, 0, v14
	s_delay_alu instid0(VALU_DEP_4) | instskip(NEXT) | instid1(VALU_DEP_3)
	v_cndmask_b32_e32 v11, 0, v11, vcc_lo
	v_dual_cndmask_b32 v10, 3, v10 :: v_dual_lshlrev_b32 v15, 2, v15
	s_delay_alu instid0(VALU_DEP_1) | instskip(NEXT) | instid1(VALU_DEP_2)
	v_and_b32_e32 v15, 0xfc, v15
	v_cmp_eq_u64_e32 vcc_lo, 0, v[10:11]
	s_delay_alu instid0(VALU_DEP_2)
	v_and_or_b32 v10, v10, 3, v15
	s_and_b32 s11, s11, vcc_lo
	s_delay_alu instid0(VALU_DEP_1) | instid1(SALU_CYCLE_1)
	v_cndmask_b32_e64 v10, v10, 0, s11
	s_delay_alu instid0(VALU_DEP_1)
	v_or_b32_e32 v40, v10, v24
.LBB4_2808:                             ;   in Loop: Header=BB4_2182 Depth=2
	s_or_b32 exec_lo, exec_lo, s14
                                        ; implicit-def: $vgpr24
.LBB4_2809:                             ;   in Loop: Header=BB4_2182 Depth=2
	s_and_not1_saveexec_b32 s11, s13
; %bb.2810:                             ;   in Loop: Header=BB4_2182 Depth=2
	v_or_b32_e32 v40, 0x7b, v24
; %bb.2811:                             ;   in Loop: Header=BB4_2182 Depth=2
	s_or_b32 exec_lo, exec_lo, s11
                                        ; implicit-def: $vgpr41
                                        ; implicit-def: $vgpr10
.LBB4_2812:                             ;   in Loop: Header=BB4_2182 Depth=2
	s_and_not1_saveexec_b32 s11, s12
	s_cbranch_execz .LBB4_2818
; %bb.2813:                             ;   in Loop: Header=BB4_2182 Depth=2
	s_mov_b32 s12, exec_lo
                                        ; implicit-def: $vgpr40
	v_cmpx_ne_u64_e32 0, v[54:55]
	s_xor_b32 s12, exec_lo, s12
; %bb.2814:                             ;   in Loop: Header=BB4_2182 Depth=2
	v_or_b32_e32 v40, 0x7f, v10
                                        ; implicit-def: $vgpr41
; %bb.2815:                             ;   in Loop: Header=BB4_2182 Depth=2
	s_and_not1_saveexec_b32 s12, s12
; %bb.2816:                             ;   in Loop: Header=BB4_2182 Depth=2
	v_cmp_lt_i32_e32 vcc_lo, -1, v41
	v_cndmask_b32_e32 v40, 0xfc, v122, vcc_lo
; %bb.2817:                             ;   in Loop: Header=BB4_2182 Depth=2
	s_or_b32 exec_lo, exec_lo, s12
.LBB4_2818:                             ;   in Loop: Header=BB4_2182 Depth=2
	s_delay_alu instid0(SALU_CYCLE_1) | instskip(SKIP_3) | instid1(VALU_DEP_3)
	s_or_b32 exec_lo, exec_lo, s11
	v_dual_mov_b32 v54, v13 :: v_dual_bitop2_b32 v14, 3, v17 bitop3:0x40
	v_bfe_i32 v42, v17, 0, 8
	v_dual_mov_b32 v10, v17 :: v_dual_mov_b32 v11, v55
	v_clz_i32_u32_e32 v15, v14
	v_and_b32_e32 v24, 0x7c, v17
	s_delay_alu instid0(VALU_DEP_4)
	v_cmp_lt_i16_e32 vcc_lo, -1, v42
	v_and_b32_e32 v43, 0xff, v13
	s_mov_b32 s14, -1
	v_min_u32_e32 v25, 32, v15
	v_bfe_u32 v15, v17, 2, 5
	v_cmp_eq_u32_e64 s11, 0x7c, v24
	v_cndmask_b32_e32 v24, 0xff800000, v126, vcc_lo
	v_cmp_eq_u32_e32 vcc_lo, 0, v14
	v_subrev_nc_u32_e32 v83, 29, v25
	v_cmp_eq_u32_e64 s12, 0, v15
	v_cmp_ne_u16_e64 s13, 0, v43
	v_dual_cndmask_b32 v24, 0x7f800001, v24 :: v_dual_sub_nc_u32 v25, 30, v25
	s_delay_alu instid0(VALU_DEP_4) | instskip(SKIP_2) | instid1(VALU_DEP_2)
	v_lshlrev_b64_e32 v[44:45], v83, v[10:11]
	v_lshlrev_b32_e32 v82, 24, v17
	s_and_b32 vcc_lo, exec_lo, s45
	v_and_b32_e32 v41, 3, v44
	s_delay_alu instid0(VALU_DEP_2)
	v_and_or_b32 v11, 0x80000000, v82, s28
                                        ; implicit-def: $vgpr44
	s_cbranch_vccz .LBB4_2836
; %bb.2819:                             ;   in Loop: Header=BB4_2182 Depth=2
	v_mov_b32_e32 v44, 0
	s_and_saveexec_b32 s14, s13
	s_cbranch_execz .LBB4_2829
; %bb.2820:                             ;   in Loop: Header=BB4_2182 Depth=2
	v_bfrev_b32_e32 v44, 1
	s_mov_b32 s15, exec_lo
	v_cmpx_ne_u16_e32 0x80, v43
	s_cbranch_execz .LBB4_2828
; %bb.2821:                             ;   in Loop: Header=BB4_2182 Depth=2
	v_and_b32_e32 v82, 0x7c, v13
	v_and_b32_e32 v45, 3, v13
	s_mov_b32 s46, exec_lo
                                        ; implicit-def: $vgpr44
	s_delay_alu instid0(VALU_DEP_2)
	v_cmpx_ne_u32_e32 0x7c, v82
	s_xor_b32 s46, exec_lo, s46
	s_cbranch_execz .LBB4_2825
; %bb.2822:                             ;   in Loop: Header=BB4_2182 Depth=2
	v_bfe_u32 v44, v13, 2, 5
	s_mov_b32 s47, exec_lo
	s_delay_alu instid0(VALU_DEP_1)
	v_cmpx_eq_u32_e32 0, v44
; %bb.2823:                             ;   in Loop: Header=BB4_2182 Depth=2
	v_clz_i32_u32_e32 v82, v45
	s_delay_alu instid0(VALU_DEP_1) | instskip(NEXT) | instid1(VALU_DEP_1)
	v_min_u32_e32 v82, 32, v82
	v_subrev_nc_u32_e32 v83, 29, v82
	v_sub_nc_u32_e32 v44, 30, v82
	s_delay_alu instid0(VALU_DEP_2) | instskip(NEXT) | instid1(VALU_DEP_1)
	v_lshlrev_b64_e32 v[46:47], v83, v[54:55]
	v_and_b32_e32 v45, 3, v46
; %bb.2824:                             ;   in Loop: Header=BB4_2182 Depth=2
	s_or_b32 exec_lo, exec_lo, s47
	v_lshlrev_b32_e32 v82, 24, v13
	s_delay_alu instid0(VALU_DEP_1) | instskip(NEXT) | instid1(VALU_DEP_1)
	v_and_b32_e32 v82, 0x80000000, v82
	v_lshl_add_u32 v82, v44, 23, v82
	s_delay_alu instid0(VALU_DEP_1) | instskip(NEXT) | instid1(VALU_DEP_1)
	v_lshl_or_b32 v82, v45, 21, v82
                                        ; implicit-def: $vgpr45
	v_add_nc_u32_e32 v44, 0x38000000, v82
.LBB4_2825:                             ;   in Loop: Header=BB4_2182 Depth=2
	s_and_not1_saveexec_b32 s46, s46
; %bb.2826:                             ;   in Loop: Header=BB4_2182 Depth=2
	v_bfe_i32 v82, v13, 0, 8
	s_delay_alu instid0(VALU_DEP_1) | instskip(SKIP_2) | instid1(VALU_DEP_2)
	v_cmp_lt_i16_e32 vcc_lo, -1, v82
	v_cndmask_b32_e32 v82, 0xff800000, v126, vcc_lo
	v_cmp_eq_u32_e32 vcc_lo, 0, v45
	v_cndmask_b32_e32 v44, 0x7f800001, v82, vcc_lo
; %bb.2827:                             ;   in Loop: Header=BB4_2182 Depth=2
	s_or_b32 exec_lo, exec_lo, s46
.LBB4_2828:                             ;   in Loop: Header=BB4_2182 Depth=2
	s_delay_alu instid0(SALU_CYCLE_1)
	s_or_b32 exec_lo, exec_lo, s15
.LBB4_2829:                             ;   in Loop: Header=BB4_2182 Depth=2
	s_delay_alu instid0(SALU_CYCLE_1) | instskip(SKIP_3) | instid1(VALU_DEP_1)
	s_or_b32 exec_lo, exec_lo, s14
	v_and_b32_e32 v46, 0xff, v42
	s_mov_b32 s14, 0
	s_mov_b32 s15, exec_lo
	v_cmpx_lt_i16_e32 0x7f, v46
	s_xor_b32 s15, exec_lo, s15
	s_cbranch_execz .LBB4_3065
; %bb.2830:                             ;   in Loop: Header=BB4_2182 Depth=2
	s_mov_b32 s14, -1
	s_mov_b32 s46, exec_lo
	v_cmpx_eq_u16_e32 0x80, v46
; %bb.2831:                             ;   in Loop: Header=BB4_2182 Depth=2
	s_xor_b32 s14, exec_lo, -1
; %bb.2832:                             ;   in Loop: Header=BB4_2182 Depth=2
	s_or_b32 exec_lo, exec_lo, s46
	s_delay_alu instid0(SALU_CYCLE_1)
	s_and_b32 s14, s14, exec_lo
                                        ; implicit-def: $vgpr46
	s_or_saveexec_b32 s15, s15
	v_bfrev_b32_e32 v45, 1
	s_xor_b32 exec_lo, exec_lo, s15
	s_cbranch_execnz .LBB4_3066
.LBB4_2833:                             ;   in Loop: Header=BB4_2182 Depth=2
	s_or_b32 exec_lo, exec_lo, s15
	s_and_saveexec_b32 s15, s14
.LBB4_2834:                             ;   in Loop: Header=BB4_2182 Depth=2
	v_cndmask_b32_e64 v82, v15, v25, s12
	v_cndmask_b32_e64 v83, v14, v41, s12
	s_delay_alu instid0(VALU_DEP_2) | instskip(NEXT) | instid1(VALU_DEP_1)
	v_lshl_add_u32 v82, v82, 23, v11
	v_lshl_or_b32 v82, v83, 21, v82
	s_delay_alu instid0(VALU_DEP_1)
	v_cndmask_b32_e64 v45, v82, v24, s11
.LBB4_2835:                             ;   in Loop: Header=BB4_2182 Depth=2
	s_or_b32 exec_lo, exec_lo, s15
	s_delay_alu instid0(VALU_DEP_1) | instskip(SKIP_1) | instid1(VALU_DEP_1)
	v_dual_max_num_f32 v82, v45, v45 :: v_dual_max_num_f32 v83, v44, v44
	s_mov_b32 s14, 0
	v_max_num_f32_e32 v44, v83, v82
.LBB4_2836:                             ;   in Loop: Header=BB4_2182 Depth=2
	s_and_b32 vcc_lo, exec_lo, s14
	s_cbranch_vccz .LBB4_2854
; %bb.2837:                             ;   in Loop: Header=BB4_2182 Depth=2
	v_mov_b32_e32 v44, 0
	s_and_saveexec_b32 s14, s13
	s_cbranch_execz .LBB4_2847
; %bb.2838:                             ;   in Loop: Header=BB4_2182 Depth=2
	v_bfrev_b32_e32 v44, 1
	s_mov_b32 s13, exec_lo
	v_cmpx_ne_u16_e32 0x80, v43
	s_cbranch_execz .LBB4_2846
; %bb.2839:                             ;   in Loop: Header=BB4_2182 Depth=2
	v_and_b32_e32 v82, 0x7c, v13
	v_and_b32_e32 v43, 3, v13
	s_mov_b32 s15, exec_lo
                                        ; implicit-def: $vgpr44
	s_delay_alu instid0(VALU_DEP_2)
	v_cmpx_ne_u32_e32 0x7c, v82
	s_xor_b32 s15, exec_lo, s15
	s_cbranch_execz .LBB4_2843
; %bb.2840:                             ;   in Loop: Header=BB4_2182 Depth=2
	v_bfe_u32 v44, v13, 2, 5
	s_mov_b32 s46, exec_lo
	s_delay_alu instid0(VALU_DEP_1)
	v_cmpx_eq_u32_e32 0, v44
; %bb.2841:                             ;   in Loop: Header=BB4_2182 Depth=2
	v_clz_i32_u32_e32 v82, v43
	s_delay_alu instid0(VALU_DEP_1) | instskip(NEXT) | instid1(VALU_DEP_1)
	v_min_u32_e32 v82, 32, v82
	v_subrev_nc_u32_e32 v83, 29, v82
	v_sub_nc_u32_e32 v44, 30, v82
	s_delay_alu instid0(VALU_DEP_2) | instskip(NEXT) | instid1(VALU_DEP_1)
	v_lshlrev_b64_e32 v[46:47], v83, v[54:55]
	v_and_b32_e32 v43, 3, v46
; %bb.2842:                             ;   in Loop: Header=BB4_2182 Depth=2
	s_or_b32 exec_lo, exec_lo, s46
	v_lshlrev_b32_e32 v82, 24, v13
	s_delay_alu instid0(VALU_DEP_1) | instskip(NEXT) | instid1(VALU_DEP_1)
	v_and_b32_e32 v82, 0x80000000, v82
	v_lshl_add_u32 v82, v44, 23, v82
	s_delay_alu instid0(VALU_DEP_1) | instskip(NEXT) | instid1(VALU_DEP_1)
	v_lshl_or_b32 v82, v43, 21, v82
                                        ; implicit-def: $vgpr43
	v_add_nc_u32_e32 v44, 0x38000000, v82
.LBB4_2843:                             ;   in Loop: Header=BB4_2182 Depth=2
	s_and_not1_saveexec_b32 s15, s15
; %bb.2844:                             ;   in Loop: Header=BB4_2182 Depth=2
	v_bfe_i32 v82, v13, 0, 8
	s_delay_alu instid0(VALU_DEP_1) | instskip(SKIP_2) | instid1(VALU_DEP_2)
	v_cmp_lt_i16_e32 vcc_lo, -1, v82
	v_cndmask_b32_e32 v82, 0xff800000, v126, vcc_lo
	v_cmp_eq_u32_e32 vcc_lo, 0, v43
	v_cndmask_b32_e32 v44, 0x7f800001, v82, vcc_lo
; %bb.2845:                             ;   in Loop: Header=BB4_2182 Depth=2
	s_or_b32 exec_lo, exec_lo, s15
.LBB4_2846:                             ;   in Loop: Header=BB4_2182 Depth=2
	s_delay_alu instid0(SALU_CYCLE_1)
	s_or_b32 exec_lo, exec_lo, s13
.LBB4_2847:                             ;   in Loop: Header=BB4_2182 Depth=2
	s_delay_alu instid0(SALU_CYCLE_1) | instskip(SKIP_3) | instid1(VALU_DEP_1)
	s_or_b32 exec_lo, exec_lo, s14
	v_and_b32_e32 v43, 0xff, v42
	s_mov_b32 s13, 0
	s_mov_b32 s14, exec_lo
	v_cmpx_lt_i16_e32 0x7f, v43
	s_xor_b32 s14, exec_lo, s14
	s_cbranch_execz .LBB4_3067
; %bb.2848:                             ;   in Loop: Header=BB4_2182 Depth=2
	s_mov_b32 s13, -1
	s_mov_b32 s15, exec_lo
	v_cmpx_eq_u16_e32 0x80, v43
; %bb.2849:                             ;   in Loop: Header=BB4_2182 Depth=2
	s_xor_b32 s13, exec_lo, -1
; %bb.2850:                             ;   in Loop: Header=BB4_2182 Depth=2
	s_or_b32 exec_lo, exec_lo, s15
	s_delay_alu instid0(SALU_CYCLE_1)
	s_and_b32 s13, s13, exec_lo
                                        ; implicit-def: $vgpr43
	s_or_saveexec_b32 s14, s14
	v_bfrev_b32_e32 v42, 1
	s_xor_b32 exec_lo, exec_lo, s14
	s_cbranch_execnz .LBB4_3068
.LBB4_2851:                             ;   in Loop: Header=BB4_2182 Depth=2
	s_or_b32 exec_lo, exec_lo, s14
	s_and_saveexec_b32 s14, s13
.LBB4_2852:                             ;   in Loop: Header=BB4_2182 Depth=2
	v_cndmask_b32_e64 v15, v15, v25, s12
	v_cndmask_b32_e64 v14, v14, v41, s12
	s_delay_alu instid0(VALU_DEP_2) | instskip(NEXT) | instid1(VALU_DEP_1)
	v_lshl_add_u32 v11, v15, 23, v11
	v_lshl_or_b32 v11, v14, 21, v11
	s_delay_alu instid0(VALU_DEP_1)
	v_cndmask_b32_e64 v42, v11, v24, s11
.LBB4_2853:                             ;   in Loop: Header=BB4_2182 Depth=2
	s_or_b32 exec_lo, exec_lo, s14
	s_delay_alu instid0(VALU_DEP_1) | instskip(NEXT) | instid1(VALU_DEP_1)
	v_dual_max_num_f32 v11, v42, v42 :: v_dual_max_num_f32 v14, v44, v44
	v_min_num_f32_e32 v44, v14, v11
.LBB4_2854:                             ;   in Loop: Header=BB4_2182 Depth=2
	s_delay_alu instid0(VALU_DEP_1) | instskip(SKIP_4) | instid1(VALU_DEP_3)
	v_and_b32_e32 v24, 0x7f800000, v44
	v_dual_mov_b32 v25, v55 :: v_dual_mov_b32 v15, v55
	v_and_b32_e32 v14, 0x7fffff, v44
	v_lshrrev_b32_e32 v11, 24, v44
                                        ; implicit-def: $vgpr41
	s_mov_b32 s11, exec_lo
	v_cmpx_ne_u64_e32 0x7f800000, v[24:25]
	s_xor_b32 s12, exec_lo, s11
	s_cbranch_execz .LBB4_2868
; %bb.2855:                             ;   in Loop: Header=BB4_2182 Depth=2
	v_and_b32_e32 v24, 0x7fffffff, v44
	v_mov_b32_e32 v25, v55
	v_and_b32_e32 v11, 0x80, v11
                                        ; implicit-def: $vgpr41
	s_mov_b32 s11, exec_lo
	s_delay_alu instid0(VALU_DEP_2)
	v_cmpx_gt_u64_e32 0x47600001, v[24:25]
	s_xor_b32 s13, exec_lo, s11
	s_cbranch_execz .LBB4_2865
; %bb.2856:                             ;   in Loop: Header=BB4_2182 Depth=2
	v_mov_b32_e32 v41, 0
	s_mov_b32 s14, exec_lo
	v_cmpx_ne_u32_e32 0, v44
	s_cbranch_execz .LBB4_2864
; %bb.2857:                             ;   in Loop: Header=BB4_2182 Depth=2
	v_bfe_u32 v41, v44, 23, 8
	v_or_b32_e32 v82, 0x800000, v14
	s_delay_alu instid0(VALU_DEP_2) | instskip(SKIP_1) | instid1(VALU_DEP_2)
	v_sub_nc_u32_e32 v24, 0x71, v41
	v_cmp_gt_u32_e32 vcc_lo, 0x72, v41
	v_cndmask_b32_e32 v24, 0, v24, vcc_lo
	v_cmp_eq_u32_e32 vcc_lo, 0, v41
	s_delay_alu instid0(VALU_DEP_2) | instskip(SKIP_1) | instid1(VALU_DEP_2)
	v_cndmask_b32_e64 v42, v24, 0x70, vcc_lo
	v_cndmask_b32_e32 v14, v82, v14, vcc_lo
	v_dual_add_nc_u32 v24, 21, v42 :: v_dual_add_nc_u32 v83, 20, v42
	s_delay_alu instid0(VALU_DEP_1) | instskip(NEXT) | instid1(VALU_DEP_2)
	v_lshlrev_b64_e64 v[24:25], v24, -1
	v_lshlrev_b64_e64 v[44:45], v83, 1
	s_delay_alu instid0(VALU_DEP_2) | instskip(SKIP_1) | instid1(VALU_DEP_4)
	v_bfi_b32 v24, v24, 0, v14
	v_lshrrev_b64 v[14:15], v42, v[14:15]
	v_bfi_b32 v25, v25, 0, 0
	s_delay_alu instid0(VALU_DEP_1) | instskip(NEXT) | instid1(VALU_DEP_3)
	v_cmp_eq_u64_e64 s11, v[24:25], v[44:45]
	v_mov_b64_e32 v[24:25], v[14:15]
	s_and_saveexec_b32 s15, s11
; %bb.2858:                             ;   in Loop: Header=BB4_2182 Depth=2
	v_bfe_u32 v24, v14, 21, 1
	v_mov_b32_e32 v25, v55
	s_delay_alu instid0(VALU_DEP_1) | instskip(NEXT) | instid1(VALU_DEP_1)
	v_add_nc_u64_e32 v[24:25], v[14:15], v[24:25]
	v_add_nc_u64_e32 v[24:25], -1, v[24:25]
; %bb.2859:                             ;   in Loop: Header=BB4_2182 Depth=2
	s_or_b32 exec_lo, exec_lo, s15
	v_add_nc_u32_e32 v15, 0xffffff81, v41
	v_lshrrev_b32_e32 v25, 23, v14
	s_mov_b32 s11, exec_lo
	s_delay_alu instid0(VALU_DEP_2) | instskip(NEXT) | instid1(VALU_DEP_1)
	v_cndmask_b32_e64 v15, v15, 0xffffff82, vcc_lo
	v_add3_u32 v25, v42, v15, v25
	v_and_b32_e32 v15, 0x1fffff, v24
                                        ; implicit-def: $vgpr24
	s_delay_alu instid0(VALU_DEP_1) | instskip(SKIP_1) | instid1(VALU_DEP_2)
	v_dual_add_nc_u32 v41, 14, v25 :: v_dual_add_nc_u32 v14, v15, v14
	v_mov_b32_e32 v15, v55
	v_cmpx_ne_u32_e32 0, v41
	s_xor_b32 s11, exec_lo, s11
; %bb.2860:                             ;   in Loop: Header=BB4_2182 Depth=2
	s_delay_alu instid0(VALU_DEP_2) | instskip(SKIP_2) | instid1(VALU_DEP_2)
	v_cmp_lt_u64_e32 vcc_lo, 0xffffff, v[14:15]
	v_add_nc_u32_e32 v24, 15, v25
	v_cndmask_b32_e64 v25, 0, 1, vcc_lo
	v_cndmask_b32_e32 v24, v41, v24, vcc_lo
	s_delay_alu instid0(VALU_DEP_2)
	v_lshrrev_b64 v[14:15], v25, v[14:15]
; %bb.2861:                             ;   in Loop: Header=BB4_2182 Depth=2
	s_and_not1_saveexec_b32 s11, s11
; %bb.2862:                             ;   in Loop: Header=BB4_2182 Depth=2
	s_delay_alu instid0(VALU_DEP_1)
	v_bfe_u32 v24, v14, 23, 1
; %bb.2863:                             ;   in Loop: Header=BB4_2182 Depth=2
	s_or_b32 exec_lo, exec_lo, s11
	s_delay_alu instid0(VALU_DEP_2) | instskip(NEXT) | instid1(VALU_DEP_2)
	v_lshrrev_b64 v[14:15], 21, v[14:15]
	v_cmp_gt_i32_e32 vcc_lo, 32, v24
	v_min_i32_e32 v25, 31, v24
	v_cmp_eq_u32_e64 s11, 0, v24
	s_delay_alu instid0(VALU_DEP_2) | instskip(SKIP_1) | instid1(VALU_DEP_2)
	v_dual_cndmask_b32 v15, 0, v15, vcc_lo :: v_dual_lshlrev_b32 v25, 2, v25
	v_cndmask_b32_e32 v14, 3, v14, vcc_lo
	v_and_b32_e32 v25, 0xfc, v25
	s_delay_alu instid0(VALU_DEP_2) | instskip(NEXT) | instid1(VALU_DEP_2)
	v_cmp_eq_u64_e32 vcc_lo, 0, v[14:15]
	v_and_or_b32 v14, v14, 3, v25
	s_and_b32 s11, s11, vcc_lo
	s_delay_alu instid0(VALU_DEP_1) | instid1(SALU_CYCLE_1)
	v_cndmask_b32_e64 v14, v14, 0, s11
	s_delay_alu instid0(VALU_DEP_1)
	v_or_b32_e32 v41, v14, v11
.LBB4_2864:                             ;   in Loop: Header=BB4_2182 Depth=2
	s_or_b32 exec_lo, exec_lo, s14
                                        ; implicit-def: $vgpr11
.LBB4_2865:                             ;   in Loop: Header=BB4_2182 Depth=2
	s_and_not1_saveexec_b32 s11, s13
; %bb.2866:                             ;   in Loop: Header=BB4_2182 Depth=2
	v_or_b32_e32 v41, 0x7b, v11
; %bb.2867:                             ;   in Loop: Header=BB4_2182 Depth=2
	s_or_b32 exec_lo, exec_lo, s11
                                        ; implicit-def: $vgpr44
                                        ; implicit-def: $vgpr14_vgpr15
                                        ; implicit-def: $vgpr11
.LBB4_2868:                             ;   in Loop: Header=BB4_2182 Depth=2
	s_and_not1_saveexec_b32 s11, s12
	s_cbranch_execz .LBB4_2874
; %bb.2869:                             ;   in Loop: Header=BB4_2182 Depth=2
	s_mov_b32 s12, exec_lo
                                        ; implicit-def: $vgpr41
	v_cmpx_ne_u64_e32 0, v[14:15]
	s_xor_b32 s12, exec_lo, s12
; %bb.2870:                             ;   in Loop: Header=BB4_2182 Depth=2
	v_or_b32_e32 v41, 0x7f, v11
                                        ; implicit-def: $vgpr44
; %bb.2871:                             ;   in Loop: Header=BB4_2182 Depth=2
	s_and_not1_saveexec_b32 s12, s12
; %bb.2872:                             ;   in Loop: Header=BB4_2182 Depth=2
	v_cmp_lt_i32_e32 vcc_lo, -1, v44
	v_cndmask_b32_e32 v41, 0xfc, v122, vcc_lo
; %bb.2873:                             ;   in Loop: Header=BB4_2182 Depth=2
	s_or_b32 exec_lo, exec_lo, s12
.LBB4_2874:                             ;   in Loop: Header=BB4_2182 Depth=2
	s_delay_alu instid0(SALU_CYCLE_1) | instskip(SKIP_4) | instid1(VALU_DEP_3)
	s_or_b32 exec_lo, exec_lo, s11
	v_lshrrev_b16 v14, 8, v10
	v_cmp_lt_i16_e32 vcc_lo, -1, v10
	v_lshrrev_b16 v24, 8, v54
	s_mov_b32 s14, -1
	v_and_b32_e32 v25, 0xffff, v14
	v_cndmask_b32_e32 v83, 0xff800000, v126, vcc_lo
	v_lshlrev_b32_e32 v42, 24, v14
	v_and_b32_e32 v45, 0xffff, v24
	v_cmp_ne_u16_e64 s13, 0, v24
	v_and_b32_e32 v11, 3, v25
	v_and_b32_e32 v44, 0x7c, v25
	v_bfe_u32 v10, v25, 2, 5
	s_delay_alu instid0(VALU_DEP_3) | instskip(NEXT) | instid1(VALU_DEP_3)
	v_clz_i32_u32_e32 v15, v11
	v_cmp_eq_u32_e64 s11, 0x7c, v44
	s_delay_alu instid0(VALU_DEP_3) | instskip(NEXT) | instid1(VALU_DEP_3)
	v_cmp_eq_u32_e64 s12, 0, v10
	v_min_u32_e32 v82, 32, v15
	v_mov_b32_e32 v15, v55
	v_cmp_eq_u32_e32 vcc_lo, 0, v11
	s_delay_alu instid0(VALU_DEP_3) | instskip(NEXT) | instid1(VALU_DEP_1)
	v_subrev_nc_u32_e32 v43, 29, v82
	v_lshlrev_b64_e32 v[46:47], v43, v[14:15]
	v_and_or_b32 v15, 0x80000000, v42, s28
	v_dual_cndmask_b32 v42, 0x7f800001, v83 :: v_dual_sub_nc_u32 v43, 30, v82
	s_and_b32 vcc_lo, exec_lo, s45
	s_delay_alu instid0(VALU_DEP_3)
	v_and_b32_e32 v44, 3, v46
                                        ; implicit-def: $vgpr46
	s_cbranch_vccz .LBB4_2892
; %bb.2875:                             ;   in Loop: Header=BB4_2182 Depth=2
	v_mov_b32_e32 v25, 0
	s_and_saveexec_b32 s14, s13
	s_cbranch_execz .LBB4_2885
; %bb.2876:                             ;   in Loop: Header=BB4_2182 Depth=2
	v_bfrev_b32_e32 v25, 1
	s_mov_b32 s15, exec_lo
	v_cmpx_ne_u16_e32 0x80, v24
	s_cbranch_execz .LBB4_2884
; %bb.2877:                             ;   in Loop: Header=BB4_2182 Depth=2
	v_and_b32_e32 v25, 0x7c, v45
	v_and_b32_e32 v46, 3, v45
	s_delay_alu instid0(VALU_DEP_2) | instskip(SKIP_1) | instid1(SALU_CYCLE_1)
	v_cmp_ne_u32_e32 vcc_lo, 0x7c, v25
                                        ; implicit-def: $vgpr25
	s_and_saveexec_b32 s46, vcc_lo
	s_xor_b32 s46, exec_lo, s46
	s_cbranch_execz .LBB4_2881
; %bb.2878:                             ;   in Loop: Header=BB4_2182 Depth=2
	v_bfe_u32 v25, v45, 2, 5
	s_mov_b32 s47, exec_lo
	s_delay_alu instid0(VALU_DEP_1)
	v_cmpx_eq_u32_e32 0, v25
	s_cbranch_execz .LBB4_2880
; %bb.2879:                             ;   in Loop: Header=BB4_2182 Depth=2
	v_clz_i32_u32_e32 v25, v46
	s_delay_alu instid0(VALU_DEP_1) | instskip(SKIP_1) | instid1(VALU_DEP_2)
	v_min_u32_e32 v82, 32, v25
	v_mov_b32_e32 v25, v55
	v_subrev_nc_u32_e32 v83, 29, v82
	s_delay_alu instid0(VALU_DEP_1) | instskip(SKIP_1) | instid1(VALU_DEP_2)
	v_lshlrev_b64_e32 v[46:47], v83, v[24:25]
	v_sub_nc_u32_e32 v25, 30, v82
	v_and_b32_e32 v46, 3, v46
.LBB4_2880:                             ;   in Loop: Header=BB4_2182 Depth=2
	s_or_b32 exec_lo, exec_lo, s47
	v_lshlrev_b32_e32 v82, 16, v54
	s_delay_alu instid0(VALU_DEP_1) | instskip(NEXT) | instid1(VALU_DEP_1)
	v_and_b32_e32 v82, 0x80000000, v82
	v_lshl_add_u32 v25, v25, 23, v82
	s_delay_alu instid0(VALU_DEP_1) | instskip(NEXT) | instid1(VALU_DEP_1)
	v_lshl_or_b32 v25, v46, 21, v25
                                        ; implicit-def: $vgpr46
	v_add_nc_u32_e32 v25, 0x38000000, v25
.LBB4_2881:                             ;   in Loop: Header=BB4_2182 Depth=2
	s_and_not1_saveexec_b32 s46, s46
; %bb.2882:                             ;   in Loop: Header=BB4_2182 Depth=2
	v_cmp_lt_i16_e32 vcc_lo, -1, v54
	v_cndmask_b32_e32 v25, 0xff800000, v126, vcc_lo
	v_cmp_eq_u32_e32 vcc_lo, 0, v46
	s_delay_alu instid0(VALU_DEP_2)
	v_cndmask_b32_e32 v25, 0x7f800001, v25, vcc_lo
; %bb.2883:                             ;   in Loop: Header=BB4_2182 Depth=2
	s_or_b32 exec_lo, exec_lo, s46
.LBB4_2884:                             ;   in Loop: Header=BB4_2182 Depth=2
	s_delay_alu instid0(SALU_CYCLE_1)
	s_or_b32 exec_lo, exec_lo, s15
.LBB4_2885:                             ;   in Loop: Header=BB4_2182 Depth=2
	s_delay_alu instid0(SALU_CYCLE_1)
	s_or_b32 exec_lo, exec_lo, s14
	s_mov_b32 s14, 0
	s_mov_b32 s15, exec_lo
	v_cmpx_lt_i16_e32 0x7f, v14
	s_xor_b32 s15, exec_lo, s15
	s_cbranch_execz .LBB4_3069
; %bb.2886:                             ;   in Loop: Header=BB4_2182 Depth=2
	s_mov_b32 s14, -1
	s_mov_b32 s46, exec_lo
	v_cmpx_eq_u16_e32 0x80, v14
; %bb.2887:                             ;   in Loop: Header=BB4_2182 Depth=2
	s_xor_b32 s14, exec_lo, -1
; %bb.2888:                             ;   in Loop: Header=BB4_2182 Depth=2
	s_or_b32 exec_lo, exec_lo, s46
	s_delay_alu instid0(SALU_CYCLE_1)
	s_and_b32 s14, s14, exec_lo
	s_or_saveexec_b32 s15, s15
	v_bfrev_b32_e32 v46, 1
	s_xor_b32 exec_lo, exec_lo, s15
	s_cbranch_execnz .LBB4_3070
.LBB4_2889:                             ;   in Loop: Header=BB4_2182 Depth=2
	s_or_b32 exec_lo, exec_lo, s15
	s_and_saveexec_b32 s15, s14
.LBB4_2890:                             ;   in Loop: Header=BB4_2182 Depth=2
	v_dual_cndmask_b32 v82, v10, v43, s12 :: v_dual_cndmask_b32 v83, v11, v44, s12
	s_delay_alu instid0(VALU_DEP_1) | instskip(NEXT) | instid1(VALU_DEP_1)
	v_lshl_add_u32 v82, v82, 23, v15
	v_lshl_or_b32 v82, v83, 21, v82
	s_delay_alu instid0(VALU_DEP_1)
	v_cndmask_b32_e64 v46, v82, v42, s11
.LBB4_2891:                             ;   in Loop: Header=BB4_2182 Depth=2
	s_or_b32 exec_lo, exec_lo, s15
	s_delay_alu instid0(VALU_DEP_1) | instskip(SKIP_1) | instid1(VALU_DEP_1)
	v_dual_max_num_f32 v82, v46, v46 :: v_dual_max_num_f32 v25, v25, v25
	s_mov_b32 s14, 0
	v_max_num_f32_e32 v46, v25, v82
.LBB4_2892:                             ;   in Loop: Header=BB4_2182 Depth=2
	s_and_b32 vcc_lo, exec_lo, s14
	s_cbranch_vccz .LBB4_2910
; %bb.2893:                             ;   in Loop: Header=BB4_2182 Depth=2
	v_mov_b32_e32 v25, 0
	s_and_saveexec_b32 s14, s13
	s_cbranch_execz .LBB4_2903
; %bb.2894:                             ;   in Loop: Header=BB4_2182 Depth=2
	v_bfrev_b32_e32 v25, 1
	s_mov_b32 s13, exec_lo
	v_cmpx_ne_u16_e32 0x80, v24
	s_cbranch_execz .LBB4_2902
; %bb.2895:                             ;   in Loop: Header=BB4_2182 Depth=2
	v_and_b32_e32 v25, 0x7c, v45
	v_and_b32_e32 v46, 3, v45
	s_delay_alu instid0(VALU_DEP_2) | instskip(SKIP_1) | instid1(SALU_CYCLE_1)
	v_cmp_ne_u32_e32 vcc_lo, 0x7c, v25
                                        ; implicit-def: $vgpr25
	s_and_saveexec_b32 s15, vcc_lo
	s_xor_b32 s15, exec_lo, s15
	s_cbranch_execz .LBB4_2899
; %bb.2896:                             ;   in Loop: Header=BB4_2182 Depth=2
	v_bfe_u32 v25, v45, 2, 5
	s_mov_b32 s46, exec_lo
	s_delay_alu instid0(VALU_DEP_1)
	v_cmpx_eq_u32_e32 0, v25
; %bb.2897:                             ;   in Loop: Header=BB4_2182 Depth=2
	v_clz_i32_u32_e32 v25, v46
	s_delay_alu instid0(VALU_DEP_1) | instskip(SKIP_1) | instid1(VALU_DEP_2)
	v_min_u32_e32 v82, 32, v25
	v_mov_b32_e32 v25, v55
	v_subrev_nc_u32_e32 v83, 29, v82
	s_delay_alu instid0(VALU_DEP_1) | instskip(NEXT) | instid1(VALU_DEP_1)
	v_lshlrev_b64_e32 v[24:25], v83, v[24:25]
	v_dual_sub_nc_u32 v25, 30, v82 :: v_dual_bitop2_b32 v46, 3, v24 bitop3:0x40
; %bb.2898:                             ;   in Loop: Header=BB4_2182 Depth=2
	s_or_b32 exec_lo, exec_lo, s46
	v_lshlrev_b32_e32 v24, 16, v54
	s_delay_alu instid0(VALU_DEP_1) | instskip(NEXT) | instid1(VALU_DEP_1)
	v_and_b32_e32 v24, 0x80000000, v24
	v_lshl_add_u32 v24, v25, 23, v24
	s_delay_alu instid0(VALU_DEP_1) | instskip(NEXT) | instid1(VALU_DEP_1)
	v_lshl_or_b32 v24, v46, 21, v24
                                        ; implicit-def: $vgpr46
	v_add_nc_u32_e32 v25, 0x38000000, v24
.LBB4_2899:                             ;   in Loop: Header=BB4_2182 Depth=2
	s_and_not1_saveexec_b32 s15, s15
; %bb.2900:                             ;   in Loop: Header=BB4_2182 Depth=2
	v_cmp_lt_i16_e32 vcc_lo, -1, v54
	v_cndmask_b32_e32 v24, 0xff800000, v126, vcc_lo
	v_cmp_eq_u32_e32 vcc_lo, 0, v46
	s_delay_alu instid0(VALU_DEP_2)
	v_cndmask_b32_e32 v25, 0x7f800001, v24, vcc_lo
; %bb.2901:                             ;   in Loop: Header=BB4_2182 Depth=2
	s_or_b32 exec_lo, exec_lo, s15
.LBB4_2902:                             ;   in Loop: Header=BB4_2182 Depth=2
	s_delay_alu instid0(SALU_CYCLE_1)
	s_or_b32 exec_lo, exec_lo, s13
.LBB4_2903:                             ;   in Loop: Header=BB4_2182 Depth=2
	s_delay_alu instid0(SALU_CYCLE_1)
	s_or_b32 exec_lo, exec_lo, s14
	s_mov_b32 s13, 0
	s_mov_b32 s14, exec_lo
	v_cmpx_lt_i16_e32 0x7f, v14
	s_xor_b32 s14, exec_lo, s14
	s_cbranch_execz .LBB4_3071
; %bb.2904:                             ;   in Loop: Header=BB4_2182 Depth=2
	s_mov_b32 s13, -1
	s_mov_b32 s15, exec_lo
	v_cmpx_eq_u16_e32 0x80, v14
; %bb.2905:                             ;   in Loop: Header=BB4_2182 Depth=2
	s_xor_b32 s13, exec_lo, -1
; %bb.2906:                             ;   in Loop: Header=BB4_2182 Depth=2
	s_or_b32 exec_lo, exec_lo, s15
	s_delay_alu instid0(SALU_CYCLE_1)
	s_and_b32 s13, s13, exec_lo
                                        ; implicit-def: $vgpr14
	s_or_saveexec_b32 s14, s14
	v_bfrev_b32_e32 v24, 1
	s_xor_b32 exec_lo, exec_lo, s14
	s_cbranch_execnz .LBB4_3072
.LBB4_2907:                             ;   in Loop: Header=BB4_2182 Depth=2
	s_or_b32 exec_lo, exec_lo, s14
	s_and_saveexec_b32 s14, s13
.LBB4_2908:                             ;   in Loop: Header=BB4_2182 Depth=2
	v_dual_cndmask_b32 v10, v10, v43, s12 :: v_dual_cndmask_b32 v11, v11, v44, s12
	s_delay_alu instid0(VALU_DEP_1) | instskip(NEXT) | instid1(VALU_DEP_1)
	v_lshl_add_u32 v10, v10, 23, v15
	v_lshl_or_b32 v10, v11, 21, v10
	s_delay_alu instid0(VALU_DEP_1)
	v_cndmask_b32_e64 v24, v10, v42, s11
.LBB4_2909:                             ;   in Loop: Header=BB4_2182 Depth=2
	s_or_b32 exec_lo, exec_lo, s14
	s_delay_alu instid0(VALU_DEP_1) | instskip(NEXT) | instid1(VALU_DEP_1)
	v_dual_max_num_f32 v10, v24, v24 :: v_dual_max_num_f32 v11, v25, v25
	v_min_num_f32_e32 v46, v11, v10
.LBB4_2910:                             ;   in Loop: Header=BB4_2182 Depth=2
	s_delay_alu instid0(VALU_DEP_1) | instskip(SKIP_2) | instid1(VALU_DEP_2)
	v_and_b32_e32 v10, 0x7f800000, v46
	v_mov_b32_e32 v11, v55
	v_and_b32_e32 v54, 0x7fffff, v46
                                        ; implicit-def: $vgpr24
	v_cmp_ne_u64_e32 vcc_lo, 0x7f800000, v[10:11]
	v_lshrrev_b32_e32 v10, 24, v46
	s_and_saveexec_b32 s11, vcc_lo
	s_delay_alu instid0(SALU_CYCLE_1)
	s_xor_b32 s12, exec_lo, s11
	s_cbranch_execz .LBB4_2924
; %bb.2911:                             ;   in Loop: Header=BB4_2182 Depth=2
	v_and_b32_e32 v14, 0x7fffffff, v46
	v_mov_b32_e32 v15, v55
	v_and_b32_e32 v25, 0x80, v10
                                        ; implicit-def: $vgpr24
	s_mov_b32 s11, exec_lo
	s_delay_alu instid0(VALU_DEP_2)
	v_cmpx_gt_u64_e32 0x47600001, v[14:15]
	s_xor_b32 s13, exec_lo, s11
	s_cbranch_execz .LBB4_2921
; %bb.2912:                             ;   in Loop: Header=BB4_2182 Depth=2
	v_mov_b32_e32 v24, 0
	s_mov_b32 s14, exec_lo
	v_cmpx_ne_u32_e32 0, v46
	s_cbranch_execz .LBB4_2920
; %bb.2913:                             ;   in Loop: Header=BB4_2182 Depth=2
	v_bfe_u32 v24, v46, 23, 8
	v_or_b32_e32 v14, 0x800000, v54
	s_delay_alu instid0(VALU_DEP_2) | instskip(SKIP_1) | instid1(VALU_DEP_2)
	v_sub_nc_u32_e32 v10, 0x71, v24
	v_cmp_gt_u32_e32 vcc_lo, 0x72, v24
	v_cndmask_b32_e32 v10, 0, v10, vcc_lo
	v_cmp_eq_u32_e32 vcc_lo, 0, v24
	s_delay_alu instid0(VALU_DEP_2) | instskip(SKIP_1) | instid1(VALU_DEP_2)
	v_cndmask_b32_e64 v42, v10, 0x70, vcc_lo
	v_cndmask_b32_e32 v54, v14, v54, vcc_lo
	v_dual_add_nc_u32 v10, 21, v42 :: v_dual_add_nc_u32 v15, 20, v42
	s_delay_alu instid0(VALU_DEP_1) | instskip(NEXT) | instid1(VALU_DEP_2)
	v_lshlrev_b64_e64 v[10:11], v10, -1
	v_lshlrev_b64_e64 v[14:15], v15, 1
	s_delay_alu instid0(VALU_DEP_2) | instskip(NEXT) | instid1(VALU_DEP_3)
	v_bfi_b32 v45, v11, 0, 0
	v_bfi_b32 v44, v10, 0, v54
	v_lshrrev_b64 v[10:11], v42, v[54:55]
	s_delay_alu instid0(VALU_DEP_2) | instskip(NEXT) | instid1(VALU_DEP_2)
	v_cmp_eq_u64_e64 s11, v[44:45], v[14:15]
	v_mov_b64_e32 v[14:15], v[10:11]
	s_and_saveexec_b32 s15, s11
; %bb.2914:                             ;   in Loop: Header=BB4_2182 Depth=2
	v_bfe_u32 v54, v10, 21, 1
	s_delay_alu instid0(VALU_DEP_1) | instskip(NEXT) | instid1(VALU_DEP_1)
	v_add_nc_u64_e32 v[14:15], v[10:11], v[54:55]
	v_add_nc_u64_e32 v[14:15], -1, v[14:15]
; %bb.2915:                             ;   in Loop: Header=BB4_2182 Depth=2
	s_or_b32 exec_lo, exec_lo, s15
	v_add_nc_u32_e32 v11, 0xffffff81, v24
	v_lshrrev_b32_e32 v15, 23, v10
	s_mov_b32 s11, exec_lo
	s_delay_alu instid0(VALU_DEP_2) | instskip(NEXT) | instid1(VALU_DEP_1)
	v_cndmask_b32_e64 v11, v11, 0xffffff82, vcc_lo
	v_add3_u32 v15, v42, v11, v15
	v_and_b32_e32 v11, 0x1fffff, v14
                                        ; implicit-def: $vgpr14
	s_delay_alu instid0(VALU_DEP_1) | instskip(NEXT) | instid1(VALU_DEP_1)
	v_dual_add_nc_u32 v24, 14, v15 :: v_dual_add_nc_u32 v54, v11, v10
                                        ; implicit-def: $vgpr10_vgpr11
	v_cmpx_ne_u32_e32 0, v24
	s_xor_b32 s11, exec_lo, s11
; %bb.2916:                             ;   in Loop: Header=BB4_2182 Depth=2
	s_delay_alu instid0(VALU_DEP_2) | instskip(SKIP_1) | instid1(VALU_DEP_1)
	v_cmp_lt_u64_e32 vcc_lo, 0xffffff, v[54:55]
	v_add_nc_u32_e32 v10, 15, v15
	v_cndmask_b32_e32 v14, v24, v10, vcc_lo
	v_cndmask_b32_e64 v10, 0, 1, vcc_lo
	s_delay_alu instid0(VALU_DEP_1)
	v_lshrrev_b64 v[10:11], v10, v[54:55]
; %bb.2917:                             ;   in Loop: Header=BB4_2182 Depth=2
	s_and_not1_saveexec_b32 s11, s11
; %bb.2918:                             ;   in Loop: Header=BB4_2182 Depth=2
	v_mov_b64_e32 v[10:11], v[54:55]
	v_bfe_u32 v14, v54, 23, 1
; %bb.2919:                             ;   in Loop: Header=BB4_2182 Depth=2
	s_or_b32 exec_lo, exec_lo, s11
	s_delay_alu instid0(VALU_DEP_2) | instskip(NEXT) | instid1(VALU_DEP_2)
	v_lshrrev_b64 v[10:11], 21, v[10:11]
	v_cmp_gt_i32_e32 vcc_lo, 32, v14
	v_min_i32_e32 v15, 31, v14
	v_cmp_eq_u32_e64 s11, 0, v14
	s_delay_alu instid0(VALU_DEP_4) | instskip(NEXT) | instid1(VALU_DEP_3)
	v_cndmask_b32_e32 v11, 0, v11, vcc_lo
	v_dual_cndmask_b32 v10, 3, v10 :: v_dual_lshlrev_b32 v15, 2, v15
	s_delay_alu instid0(VALU_DEP_1) | instskip(NEXT) | instid1(VALU_DEP_2)
	v_and_b32_e32 v15, 0xfc, v15
	v_cmp_eq_u64_e32 vcc_lo, 0, v[10:11]
	s_delay_alu instid0(VALU_DEP_2)
	v_and_or_b32 v10, v10, 3, v15
	s_and_b32 s11, s11, vcc_lo
	s_delay_alu instid0(VALU_DEP_1) | instid1(SALU_CYCLE_1)
	v_cndmask_b32_e64 v10, v10, 0, s11
	s_delay_alu instid0(VALU_DEP_1)
	v_or_b32_e32 v24, v10, v25
.LBB4_2920:                             ;   in Loop: Header=BB4_2182 Depth=2
	s_or_b32 exec_lo, exec_lo, s14
                                        ; implicit-def: $vgpr25
.LBB4_2921:                             ;   in Loop: Header=BB4_2182 Depth=2
	s_and_not1_saveexec_b32 s11, s13
; %bb.2922:                             ;   in Loop: Header=BB4_2182 Depth=2
	v_or_b32_e32 v24, 0x7b, v25
; %bb.2923:                             ;   in Loop: Header=BB4_2182 Depth=2
	s_or_b32 exec_lo, exec_lo, s11
                                        ; implicit-def: $vgpr46
                                        ; implicit-def: $vgpr10
.LBB4_2924:                             ;   in Loop: Header=BB4_2182 Depth=2
	s_and_not1_saveexec_b32 s11, s12
	s_cbranch_execz .LBB4_2930
; %bb.2925:                             ;   in Loop: Header=BB4_2182 Depth=2
	s_mov_b32 s12, exec_lo
                                        ; implicit-def: $vgpr24
	v_cmpx_ne_u64_e32 0, v[54:55]
	s_xor_b32 s12, exec_lo, s12
; %bb.2926:                             ;   in Loop: Header=BB4_2182 Depth=2
	v_or_b32_e32 v24, 0x7f, v10
                                        ; implicit-def: $vgpr46
; %bb.2927:                             ;   in Loop: Header=BB4_2182 Depth=2
	s_and_not1_saveexec_b32 s12, s12
; %bb.2928:                             ;   in Loop: Header=BB4_2182 Depth=2
	v_cmp_lt_i32_e32 vcc_lo, -1, v46
	v_cndmask_b32_e32 v24, 0xfc, v122, vcc_lo
; %bb.2929:                             ;   in Loop: Header=BB4_2182 Depth=2
	s_or_b32 exec_lo, exec_lo, s12
.LBB4_2930:                             ;   in Loop: Header=BB4_2182 Depth=2
	s_delay_alu instid0(SALU_CYCLE_1) | instskip(SKIP_4) | instid1(VALU_DEP_3)
	s_or_b32 exec_lo, exec_lo, s11
	v_bfe_u32 v11, v17, 16, 2
	v_dual_lshrrev_b32 v54, 16, v17 :: v_dual_lshlrev_b32 v82, 8, v17
	v_and_b32_e32 v15, 0x7c0000, v17
	s_mov_b32 s14, -1
	v_clz_i32_u32_e32 v14, v11
	s_delay_alu instid0(VALU_DEP_3) | instskip(NEXT) | instid1(VALU_DEP_3)
	v_bfe_i32 v43, v54, 0, 8
                                        ; implicit-def: $vgpr45
	v_cmp_eq_u32_e64 s11, 0x7c0000, v15
	v_and_or_b32 v15, 0x80000000, v82, s28
	s_delay_alu instid0(VALU_DEP_4) | instskip(NEXT) | instid1(VALU_DEP_4)
	v_min_u32_e32 v25, 32, v14
	v_cmp_lt_i16_e32 vcc_lo, -1, v43
	v_lshrrev_b32_e32 v10, 16, v13
	v_bfe_u32 v14, v17, 18, 5
	s_delay_alu instid0(VALU_DEP_4) | instskip(NEXT) | instid1(VALU_DEP_2)
	v_subrev_nc_u32_e32 v83, 29, v25
	v_cmp_eq_u32_e64 s12, 0, v14
	s_delay_alu instid0(VALU_DEP_2) | instskip(SKIP_4) | instid1(VALU_DEP_3)
	v_lshlrev_b64_e32 v[46:47], v83, v[54:55]
	v_cndmask_b32_e32 v83, 0xff800000, v126, vcc_lo
	v_and_b32_e32 v44, 0xff, v10
	v_cmp_eq_u32_e32 vcc_lo, 0, v11
	v_sub_nc_u32_e32 v54, 30, v25
	v_cmp_ne_u16_e64 s13, 0, v44
	v_cndmask_b32_e32 v25, 0x7f800001, v83, vcc_lo
	v_and_b32_e32 v42, 3, v46
	s_and_b32 vcc_lo, exec_lo, s45
	s_cbranch_vccz .LBB4_2948
; %bb.2931:                             ;   in Loop: Header=BB4_2182 Depth=2
	v_mov_b32_e32 v45, 0
	s_and_saveexec_b32 s14, s13
	s_cbranch_execz .LBB4_2941
; %bb.2932:                             ;   in Loop: Header=BB4_2182 Depth=2
	v_bfrev_b32_e32 v45, 1
	s_mov_b32 s15, exec_lo
	v_cmpx_ne_u16_e32 0x80, v44
	s_cbranch_execz .LBB4_2940
; %bb.2933:                             ;   in Loop: Header=BB4_2182 Depth=2
	v_and_b32_e32 v82, 0x7c0000, v13
	v_bfe_u32 v46, v13, 16, 2
	s_mov_b32 s46, exec_lo
                                        ; implicit-def: $vgpr45
	s_delay_alu instid0(VALU_DEP_2)
	v_cmpx_ne_u32_e32 0x7c0000, v82
	s_xor_b32 s46, exec_lo, s46
	s_cbranch_execz .LBB4_2937
; %bb.2934:                             ;   in Loop: Header=BB4_2182 Depth=2
	v_bfe_u32 v45, v13, 18, 5
	s_mov_b32 s47, exec_lo
	s_delay_alu instid0(VALU_DEP_1)
	v_cmpx_eq_u32_e32 0, v45
; %bb.2935:                             ;   in Loop: Header=BB4_2182 Depth=2
	v_clz_i32_u32_e32 v82, v46
	s_delay_alu instid0(VALU_DEP_1) | instskip(NEXT) | instid1(VALU_DEP_1)
	v_min_u32_e32 v82, 32, v82
	v_subrev_nc_u32_e32 v83, 29, v82
	v_sub_nc_u32_e32 v45, 30, v82
	s_delay_alu instid0(VALU_DEP_2) | instskip(NEXT) | instid1(VALU_DEP_1)
	v_lshlrev_b64_e32 v[46:47], v83, v[10:11]
	v_and_b32_e32 v46, 3, v46
; %bb.2936:                             ;   in Loop: Header=BB4_2182 Depth=2
	s_or_b32 exec_lo, exec_lo, s47
	v_lshlrev_b32_e32 v82, 24, v10
	s_delay_alu instid0(VALU_DEP_1) | instskip(NEXT) | instid1(VALU_DEP_1)
	v_and_b32_e32 v82, 0x80000000, v82
	v_lshl_add_u32 v82, v45, 23, v82
	s_delay_alu instid0(VALU_DEP_1) | instskip(NEXT) | instid1(VALU_DEP_1)
	v_lshl_or_b32 v82, v46, 21, v82
                                        ; implicit-def: $vgpr46
	v_add_nc_u32_e32 v45, 0x38000000, v82
.LBB4_2937:                             ;   in Loop: Header=BB4_2182 Depth=2
	s_and_not1_saveexec_b32 s46, s46
; %bb.2938:                             ;   in Loop: Header=BB4_2182 Depth=2
	v_bfe_i32 v82, v10, 0, 8
	s_delay_alu instid0(VALU_DEP_1) | instskip(SKIP_2) | instid1(VALU_DEP_2)
	v_cmp_lt_i16_e32 vcc_lo, -1, v82
	v_cndmask_b32_e32 v82, 0xff800000, v126, vcc_lo
	v_cmp_eq_u32_e32 vcc_lo, 0, v46
	v_cndmask_b32_e32 v45, 0x7f800001, v82, vcc_lo
; %bb.2939:                             ;   in Loop: Header=BB4_2182 Depth=2
	s_or_b32 exec_lo, exec_lo, s46
.LBB4_2940:                             ;   in Loop: Header=BB4_2182 Depth=2
	s_delay_alu instid0(SALU_CYCLE_1)
	s_or_b32 exec_lo, exec_lo, s15
.LBB4_2941:                             ;   in Loop: Header=BB4_2182 Depth=2
	s_delay_alu instid0(SALU_CYCLE_1) | instskip(SKIP_3) | instid1(VALU_DEP_1)
	s_or_b32 exec_lo, exec_lo, s14
	v_and_b32_e32 v47, 0xff, v43
	s_mov_b32 s14, 0
	s_mov_b32 s15, exec_lo
	v_cmpx_lt_i16_e32 0x7f, v47
	s_xor_b32 s15, exec_lo, s15
	s_cbranch_execz .LBB4_3073
; %bb.2942:                             ;   in Loop: Header=BB4_2182 Depth=2
	s_mov_b32 s14, -1
	s_mov_b32 s46, exec_lo
	v_cmpx_eq_u16_e32 0x80, v47
; %bb.2943:                             ;   in Loop: Header=BB4_2182 Depth=2
	s_xor_b32 s14, exec_lo, -1
; %bb.2944:                             ;   in Loop: Header=BB4_2182 Depth=2
	s_or_b32 exec_lo, exec_lo, s46
	s_delay_alu instid0(SALU_CYCLE_1)
	s_and_b32 s14, s14, exec_lo
                                        ; implicit-def: $vgpr47
	s_or_saveexec_b32 s15, s15
	v_bfrev_b32_e32 v46, 1
	s_xor_b32 exec_lo, exec_lo, s15
	s_cbranch_execnz .LBB4_3074
.LBB4_2945:                             ;   in Loop: Header=BB4_2182 Depth=2
	s_or_b32 exec_lo, exec_lo, s15
	s_and_saveexec_b32 s15, s14
.LBB4_2946:                             ;   in Loop: Header=BB4_2182 Depth=2
	v_cndmask_b32_e64 v82, v14, v54, s12
	v_cndmask_b32_e64 v83, v11, v42, s12
	s_delay_alu instid0(VALU_DEP_2) | instskip(NEXT) | instid1(VALU_DEP_1)
	v_lshl_add_u32 v82, v82, 23, v15
	v_lshl_or_b32 v82, v83, 21, v82
	s_delay_alu instid0(VALU_DEP_1)
	v_cndmask_b32_e64 v46, v82, v25, s11
.LBB4_2947:                             ;   in Loop: Header=BB4_2182 Depth=2
	s_or_b32 exec_lo, exec_lo, s15
	s_delay_alu instid0(VALU_DEP_1) | instskip(SKIP_1) | instid1(VALU_DEP_1)
	v_dual_max_num_f32 v82, v46, v46 :: v_dual_max_num_f32 v83, v45, v45
	s_mov_b32 s14, 0
	v_max_num_f32_e32 v45, v83, v82
.LBB4_2948:                             ;   in Loop: Header=BB4_2182 Depth=2
	s_and_b32 vcc_lo, exec_lo, s14
	s_cbranch_vccz .LBB4_2966
; %bb.2949:                             ;   in Loop: Header=BB4_2182 Depth=2
	v_mov_b32_e32 v45, 0
	s_and_saveexec_b32 s14, s13
	s_cbranch_execz .LBB4_2959
; %bb.2950:                             ;   in Loop: Header=BB4_2182 Depth=2
	v_bfrev_b32_e32 v45, 1
	s_mov_b32 s13, exec_lo
	v_cmpx_ne_u16_e32 0x80, v44
	s_cbranch_execz .LBB4_2958
; %bb.2951:                             ;   in Loop: Header=BB4_2182 Depth=2
	v_and_b32_e32 v82, 0x7c0000, v13
	v_bfe_u32 v44, v13, 16, 2
	s_mov_b32 s15, exec_lo
                                        ; implicit-def: $vgpr45
	s_delay_alu instid0(VALU_DEP_2)
	v_cmpx_ne_u32_e32 0x7c0000, v82
	s_xor_b32 s15, exec_lo, s15
	s_cbranch_execz .LBB4_2955
; %bb.2952:                             ;   in Loop: Header=BB4_2182 Depth=2
	v_bfe_u32 v45, v13, 18, 5
	s_mov_b32 s46, exec_lo
	s_delay_alu instid0(VALU_DEP_1)
	v_cmpx_eq_u32_e32 0, v45
; %bb.2953:                             ;   in Loop: Header=BB4_2182 Depth=2
	v_clz_i32_u32_e32 v82, v44
	s_delay_alu instid0(VALU_DEP_1) | instskip(NEXT) | instid1(VALU_DEP_1)
	v_min_u32_e32 v82, 32, v82
	v_subrev_nc_u32_e32 v83, 29, v82
	s_delay_alu instid0(VALU_DEP_1) | instskip(NEXT) | instid1(VALU_DEP_1)
	v_lshlrev_b64_e32 v[44:45], v83, v[10:11]
	v_dual_sub_nc_u32 v45, 30, v82 :: v_dual_bitop2_b32 v44, 3, v44 bitop3:0x40
; %bb.2954:                             ;   in Loop: Header=BB4_2182 Depth=2
	s_or_b32 exec_lo, exec_lo, s46
	v_lshlrev_b32_e32 v10, 24, v10
	s_delay_alu instid0(VALU_DEP_1) | instskip(NEXT) | instid1(VALU_DEP_1)
	v_and_b32_e32 v10, 0x80000000, v10
	v_lshl_add_u32 v10, v45, 23, v10
	s_delay_alu instid0(VALU_DEP_1) | instskip(NEXT) | instid1(VALU_DEP_1)
	v_lshl_or_b32 v10, v44, 21, v10
                                        ; implicit-def: $vgpr44
	v_add_nc_u32_e32 v45, 0x38000000, v10
                                        ; implicit-def: $vgpr10
.LBB4_2955:                             ;   in Loop: Header=BB4_2182 Depth=2
	s_and_not1_saveexec_b32 s15, s15
; %bb.2956:                             ;   in Loop: Header=BB4_2182 Depth=2
	v_bfe_i32 v10, v10, 0, 8
	s_delay_alu instid0(VALU_DEP_1) | instskip(SKIP_2) | instid1(VALU_DEP_2)
	v_cmp_lt_i16_e32 vcc_lo, -1, v10
	v_cndmask_b32_e32 v10, 0xff800000, v126, vcc_lo
	v_cmp_eq_u32_e32 vcc_lo, 0, v44
	v_cndmask_b32_e32 v45, 0x7f800001, v10, vcc_lo
; %bb.2957:                             ;   in Loop: Header=BB4_2182 Depth=2
	s_or_b32 exec_lo, exec_lo, s15
.LBB4_2958:                             ;   in Loop: Header=BB4_2182 Depth=2
	s_delay_alu instid0(SALU_CYCLE_1)
	s_or_b32 exec_lo, exec_lo, s13
.LBB4_2959:                             ;   in Loop: Header=BB4_2182 Depth=2
	s_delay_alu instid0(SALU_CYCLE_1) | instskip(SKIP_3) | instid1(VALU_DEP_1)
	s_or_b32 exec_lo, exec_lo, s14
	v_and_b32_e32 v43, 0xff, v43
	s_mov_b32 s13, 0
	s_mov_b32 s14, exec_lo
	v_cmpx_lt_i16_e32 0x7f, v43
	s_xor_b32 s14, exec_lo, s14
	s_cbranch_execz .LBB4_3075
; %bb.2960:                             ;   in Loop: Header=BB4_2182 Depth=2
	s_mov_b32 s13, -1
	s_mov_b32 s15, exec_lo
	v_cmpx_eq_u16_e32 0x80, v43
; %bb.2961:                             ;   in Loop: Header=BB4_2182 Depth=2
	s_xor_b32 s13, exec_lo, -1
; %bb.2962:                             ;   in Loop: Header=BB4_2182 Depth=2
	s_or_b32 exec_lo, exec_lo, s15
	s_delay_alu instid0(SALU_CYCLE_1)
	s_and_b32 s13, s13, exec_lo
                                        ; implicit-def: $vgpr43
	s_or_saveexec_b32 s14, s14
	v_bfrev_b32_e32 v10, 1
	s_xor_b32 exec_lo, exec_lo, s14
	s_cbranch_execnz .LBB4_3076
.LBB4_2963:                             ;   in Loop: Header=BB4_2182 Depth=2
	s_or_b32 exec_lo, exec_lo, s14
	s_and_saveexec_b32 s14, s13
.LBB4_2964:                             ;   in Loop: Header=BB4_2182 Depth=2
	v_cndmask_b32_e64 v10, v14, v54, s12
	v_cndmask_b32_e64 v11, v11, v42, s12
	s_delay_alu instid0(VALU_DEP_2) | instskip(NEXT) | instid1(VALU_DEP_1)
	v_lshl_add_u32 v10, v10, 23, v15
	v_lshl_or_b32 v10, v11, 21, v10
	s_delay_alu instid0(VALU_DEP_1)
	v_cndmask_b32_e64 v10, v10, v25, s11
.LBB4_2965:                             ;   in Loop: Header=BB4_2182 Depth=2
	s_or_b32 exec_lo, exec_lo, s14
	s_delay_alu instid0(VALU_DEP_1) | instskip(NEXT) | instid1(VALU_DEP_1)
	v_dual_max_num_f32 v10, v10, v10 :: v_dual_max_num_f32 v11, v45, v45
	v_min_num_f32_e32 v45, v11, v10
.LBB4_2966:                             ;   in Loop: Header=BB4_2182 Depth=2
	s_delay_alu instid0(VALU_DEP_1) | instskip(SKIP_2) | instid1(VALU_DEP_2)
	v_and_b32_e32 v10, 0x7f800000, v45
	v_mov_b32_e32 v11, v55
	v_and_b32_e32 v54, 0x7fffff, v45
                                        ; implicit-def: $vgpr14
	v_cmp_ne_u64_e32 vcc_lo, 0x7f800000, v[10:11]
	v_lshrrev_b32_e32 v10, 24, v45
	s_and_saveexec_b32 s11, vcc_lo
	s_delay_alu instid0(SALU_CYCLE_1)
	s_xor_b32 s12, exec_lo, s11
	s_cbranch_execz .LBB4_2980
; %bb.2967:                             ;   in Loop: Header=BB4_2182 Depth=2
	v_and_b32_e32 v14, 0x7fffffff, v45
	v_mov_b32_e32 v15, v55
	v_and_b32_e32 v25, 0x80, v10
	s_delay_alu instid0(VALU_DEP_2) | instskip(SKIP_1) | instid1(SALU_CYCLE_1)
	v_cmp_gt_u64_e32 vcc_lo, 0x47600001, v[14:15]
                                        ; implicit-def: $vgpr14
	s_and_saveexec_b32 s11, vcc_lo
	s_xor_b32 s13, exec_lo, s11
	s_cbranch_execz .LBB4_2977
; %bb.2968:                             ;   in Loop: Header=BB4_2182 Depth=2
	v_mov_b32_e32 v14, 0
	s_mov_b32 s14, exec_lo
	v_cmpx_ne_u32_e32 0, v45
	s_cbranch_execz .LBB4_2976
; %bb.2969:                             ;   in Loop: Header=BB4_2182 Depth=2
	v_bfe_u32 v42, v45, 23, 8
	v_or_b32_e32 v14, 0x800000, v54
	s_delay_alu instid0(VALU_DEP_2) | instskip(SKIP_1) | instid1(VALU_DEP_2)
	v_sub_nc_u32_e32 v10, 0x71, v42
	v_cmp_gt_u32_e32 vcc_lo, 0x72, v42
	v_cndmask_b32_e32 v10, 0, v10, vcc_lo
	v_cmp_eq_u32_e32 vcc_lo, 0, v42
	s_delay_alu instid0(VALU_DEP_2) | instskip(NEXT) | instid1(VALU_DEP_1)
	v_cndmask_b32_e64 v43, v10, 0x70, vcc_lo
	v_dual_cndmask_b32 v54, v14, v54, vcc_lo :: v_dual_add_nc_u32 v10, 21, v43
	v_add_nc_u32_e32 v15, 20, v43
	s_delay_alu instid0(VALU_DEP_2) | instskip(NEXT) | instid1(VALU_DEP_2)
	v_lshlrev_b64_e64 v[10:11], v10, -1
	v_lshlrev_b64_e64 v[14:15], v15, 1
	s_delay_alu instid0(VALU_DEP_2) | instskip(NEXT) | instid1(VALU_DEP_3)
	v_bfi_b32 v45, v11, 0, 0
	v_bfi_b32 v44, v10, 0, v54
	v_lshrrev_b64 v[10:11], v43, v[54:55]
	s_delay_alu instid0(VALU_DEP_2) | instskip(NEXT) | instid1(VALU_DEP_2)
	v_cmp_eq_u64_e64 s11, v[44:45], v[14:15]
	v_mov_b64_e32 v[14:15], v[10:11]
	s_and_saveexec_b32 s15, s11
; %bb.2970:                             ;   in Loop: Header=BB4_2182 Depth=2
	v_bfe_u32 v54, v10, 21, 1
	s_delay_alu instid0(VALU_DEP_1) | instskip(NEXT) | instid1(VALU_DEP_1)
	v_add_nc_u64_e32 v[14:15], v[10:11], v[54:55]
	v_add_nc_u64_e32 v[14:15], -1, v[14:15]
; %bb.2971:                             ;   in Loop: Header=BB4_2182 Depth=2
	s_or_b32 exec_lo, exec_lo, s15
	v_add_nc_u32_e32 v11, 0xffffff81, v42
	v_lshrrev_b32_e32 v15, 23, v10
	s_mov_b32 s11, exec_lo
	s_delay_alu instid0(VALU_DEP_2) | instskip(NEXT) | instid1(VALU_DEP_1)
	v_cndmask_b32_e64 v11, v11, 0xffffff82, vcc_lo
	v_add3_u32 v15, v43, v11, v15
	v_and_b32_e32 v11, 0x1fffff, v14
                                        ; implicit-def: $vgpr14
	s_delay_alu instid0(VALU_DEP_1) | instskip(NEXT) | instid1(VALU_DEP_1)
	v_dual_add_nc_u32 v42, 14, v15 :: v_dual_add_nc_u32 v54, v11, v10
                                        ; implicit-def: $vgpr10_vgpr11
	v_cmpx_ne_u32_e32 0, v42
	s_xor_b32 s11, exec_lo, s11
; %bb.2972:                             ;   in Loop: Header=BB4_2182 Depth=2
	s_delay_alu instid0(VALU_DEP_2) | instskip(SKIP_1) | instid1(VALU_DEP_1)
	v_cmp_lt_u64_e32 vcc_lo, 0xffffff, v[54:55]
	v_add_nc_u32_e32 v10, 15, v15
	v_cndmask_b32_e32 v14, v42, v10, vcc_lo
	v_cndmask_b32_e64 v10, 0, 1, vcc_lo
	s_delay_alu instid0(VALU_DEP_1)
	v_lshrrev_b64 v[10:11], v10, v[54:55]
; %bb.2973:                             ;   in Loop: Header=BB4_2182 Depth=2
	s_and_not1_saveexec_b32 s11, s11
; %bb.2974:                             ;   in Loop: Header=BB4_2182 Depth=2
	v_mov_b64_e32 v[10:11], v[54:55]
	v_bfe_u32 v14, v54, 23, 1
; %bb.2975:                             ;   in Loop: Header=BB4_2182 Depth=2
	s_or_b32 exec_lo, exec_lo, s11
	s_delay_alu instid0(VALU_DEP_2) | instskip(NEXT) | instid1(VALU_DEP_2)
	v_lshrrev_b64 v[10:11], 21, v[10:11]
	v_cmp_gt_i32_e32 vcc_lo, 32, v14
	v_min_i32_e32 v15, 31, v14
	v_cmp_eq_u32_e64 s11, 0, v14
	s_delay_alu instid0(VALU_DEP_4) | instskip(NEXT) | instid1(VALU_DEP_3)
	v_cndmask_b32_e32 v11, 0, v11, vcc_lo
	v_dual_cndmask_b32 v10, 3, v10 :: v_dual_lshlrev_b32 v15, 2, v15
	s_delay_alu instid0(VALU_DEP_1) | instskip(NEXT) | instid1(VALU_DEP_2)
	v_and_b32_e32 v15, 0xfc, v15
	v_cmp_eq_u64_e32 vcc_lo, 0, v[10:11]
	s_delay_alu instid0(VALU_DEP_2)
	v_and_or_b32 v10, v10, 3, v15
	s_and_b32 s11, s11, vcc_lo
	s_delay_alu instid0(VALU_DEP_1) | instid1(SALU_CYCLE_1)
	v_cndmask_b32_e64 v10, v10, 0, s11
	s_delay_alu instid0(VALU_DEP_1)
	v_or_b32_e32 v14, v10, v25
.LBB4_2976:                             ;   in Loop: Header=BB4_2182 Depth=2
	s_or_b32 exec_lo, exec_lo, s14
                                        ; implicit-def: $vgpr25
.LBB4_2977:                             ;   in Loop: Header=BB4_2182 Depth=2
	s_and_not1_saveexec_b32 s11, s13
; %bb.2978:                             ;   in Loop: Header=BB4_2182 Depth=2
	v_or_b32_e32 v14, 0x7b, v25
; %bb.2979:                             ;   in Loop: Header=BB4_2182 Depth=2
	s_or_b32 exec_lo, exec_lo, s11
                                        ; implicit-def: $vgpr45
                                        ; implicit-def: $vgpr10
.LBB4_2980:                             ;   in Loop: Header=BB4_2182 Depth=2
	s_and_not1_saveexec_b32 s11, s12
	s_cbranch_execz .LBB4_2986
; %bb.2981:                             ;   in Loop: Header=BB4_2182 Depth=2
	s_mov_b32 s12, exec_lo
                                        ; implicit-def: $vgpr14
	v_cmpx_ne_u64_e32 0, v[54:55]
	s_xor_b32 s12, exec_lo, s12
; %bb.2982:                             ;   in Loop: Header=BB4_2182 Depth=2
	v_or_b32_e32 v14, 0x7f, v10
                                        ; implicit-def: $vgpr45
; %bb.2983:                             ;   in Loop: Header=BB4_2182 Depth=2
	s_and_not1_saveexec_b32 s12, s12
; %bb.2984:                             ;   in Loop: Header=BB4_2182 Depth=2
	v_cmp_lt_i32_e32 vcc_lo, -1, v45
	v_cndmask_b32_e32 v14, 0xfc, v122, vcc_lo
; %bb.2985:                             ;   in Loop: Header=BB4_2182 Depth=2
	s_or_b32 exec_lo, exec_lo, s12
.LBB4_2986:                             ;   in Loop: Header=BB4_2182 Depth=2
	s_delay_alu instid0(SALU_CYCLE_1)
	s_or_b32 exec_lo, exec_lo, s11
	v_bfe_u32 v11, v17, 24, 2
	v_lshrrev_b32_e32 v54, 24, v17
	v_cmp_lt_i64_e32 vcc_lo, -1, v[16:17]
	v_cmp_gt_u64_e64 s11, s[18:19], v[16:17]
	v_and_b32_e32 v83, 0x7c000000, v17
	v_clz_i32_u32_e32 v15, v11
	v_cmp_lt_u64_e64 s15, s[16:17], v[12:13]
	v_and_or_b32 v25, 0x80000000, v17, s28
	v_cmp_eq_u32_e64 s12, 0x80, v54
	v_cndmask_b32_e32 v16, 0xff800000, v126, vcc_lo
	v_min_u32_e32 v82, 32, v15
	v_bfe_u32 v15, v17, 26, 5
	v_cmp_eq_u32_e32 vcc_lo, 0, v11
	v_lshrrev_b32_e32 v10, 24, v13
	v_cmp_eq_u32_e64 s13, 0x7c000000, v83
	v_subrev_nc_u32_e32 v42, 29, v82
	v_cmp_eq_u32_e64 s14, 0, v15
	v_dual_cndmask_b32 v16, 0x7f800001, v16 :: v_dual_sub_nc_u32 v17, 30, v82
	s_and_b32 vcc_lo, exec_lo, s45
	v_lshlrev_b64_e32 v[42:43], v42, v[54:55]
	s_mov_b32 s46, -1
	s_delay_alu instid0(VALU_DEP_1)
	v_and_b32_e32 v54, 3, v42
                                        ; implicit-def: $vgpr42
	s_cbranch_vccz .LBB4_2998
; %bb.2987:                             ;   in Loop: Header=BB4_2182 Depth=2
	v_mov_b32_e32 v42, 0
	s_and_saveexec_b32 s46, s15
	s_cbranch_execz .LBB4_2997
; %bb.2988:                             ;   in Loop: Header=BB4_2182 Depth=2
	v_bfrev_b32_e32 v42, 1
	s_mov_b32 s47, exec_lo
	v_cmpx_ne_u32_e32 0x80, v10
	s_cbranch_execz .LBB4_2996
; %bb.2989:                             ;   in Loop: Header=BB4_2182 Depth=2
	v_and_b32_e32 v82, 0x7c000000, v13
	v_bfe_u32 v43, v13, 24, 2
	s_mov_b32 s56, exec_lo
                                        ; implicit-def: $vgpr42
	s_delay_alu instid0(VALU_DEP_2)
	v_cmpx_ne_u32_e32 0x7c000000, v82
	s_xor_b32 s56, exec_lo, s56
	s_cbranch_execz .LBB4_2993
; %bb.2990:                             ;   in Loop: Header=BB4_2182 Depth=2
	v_bfe_u32 v42, v13, 26, 5
	s_mov_b32 s57, exec_lo
	s_delay_alu instid0(VALU_DEP_1)
	v_cmpx_eq_u32_e32 0, v42
; %bb.2991:                             ;   in Loop: Header=BB4_2182 Depth=2
	v_clz_i32_u32_e32 v82, v43
	s_delay_alu instid0(VALU_DEP_1) | instskip(NEXT) | instid1(VALU_DEP_1)
	v_min_u32_e32 v82, 32, v82
	v_subrev_nc_u32_e32 v83, 29, v82
	s_delay_alu instid0(VALU_DEP_1) | instskip(NEXT) | instid1(VALU_DEP_1)
	v_lshlrev_b64_e32 v[44:45], v83, v[10:11]
	v_dual_sub_nc_u32 v42, 30, v82 :: v_dual_bitop2_b32 v43, 3, v44 bitop3:0x40
; %bb.2992:                             ;   in Loop: Header=BB4_2182 Depth=2
	s_or_b32 exec_lo, exec_lo, s57
	v_and_b32_e32 v82, 0x80000000, v13
	s_delay_alu instid0(VALU_DEP_1) | instskip(NEXT) | instid1(VALU_DEP_1)
	v_lshl_add_u32 v82, v42, 23, v82
	v_lshl_or_b32 v82, v43, 21, v82
                                        ; implicit-def: $vgpr43
	s_delay_alu instid0(VALU_DEP_1)
	v_add_nc_u32_e32 v42, 0x38000000, v82
.LBB4_2993:                             ;   in Loop: Header=BB4_2182 Depth=2
	s_and_not1_saveexec_b32 s56, s56
; %bb.2994:                             ;   in Loop: Header=BB4_2182 Depth=2
	v_cmp_lt_i64_e32 vcc_lo, -1, v[12:13]
	v_cndmask_b32_e32 v82, 0xff800000, v126, vcc_lo
	v_cmp_eq_u32_e32 vcc_lo, 0, v43
	s_delay_alu instid0(VALU_DEP_2)
	v_cndmask_b32_e32 v42, 0x7f800001, v82, vcc_lo
; %bb.2995:                             ;   in Loop: Header=BB4_2182 Depth=2
	s_or_b32 exec_lo, exec_lo, s56
.LBB4_2996:                             ;   in Loop: Header=BB4_2182 Depth=2
	s_delay_alu instid0(SALU_CYCLE_1)
	s_or_b32 exec_lo, exec_lo, s47
.LBB4_2997:                             ;   in Loop: Header=BB4_2182 Depth=2
	s_delay_alu instid0(SALU_CYCLE_1) | instskip(SKIP_3) | instid1(VALU_DEP_2)
	s_or_b32 exec_lo, exec_lo, s46
	v_cndmask_b32_e64 v82, v15, v17, s14
	v_cndmask_b32_e64 v83, v11, v54, s14
	s_mov_b32 s46, 0
	v_lshl_add_u32 v82, v82, 23, v25
	s_delay_alu instid0(VALU_DEP_1) | instskip(SKIP_1) | instid1(VALU_DEP_2)
	v_lshl_or_b32 v82, v83, 21, v82
	v_max_num_f32_e32 v83, v42, v42
	v_cndmask_b32_e64 v82, v82, v16, s13
	s_delay_alu instid0(VALU_DEP_1) | instskip(NEXT) | instid1(VALU_DEP_1)
	v_cndmask_b32_e64 v82, v82, 0x80000000, s12
	v_cndmask_b32_e64 v82, v82, 0, s11
	s_delay_alu instid0(VALU_DEP_1) | instskip(NEXT) | instid1(VALU_DEP_1)
	v_max_num_f32_e32 v82, v82, v82
	v_max_num_f32_e32 v42, v83, v82
.LBB4_2998:                             ;   in Loop: Header=BB4_2182 Depth=2
	s_and_b32 vcc_lo, exec_lo, s46
	s_cbranch_vccz .LBB4_3010
; %bb.2999:                             ;   in Loop: Header=BB4_2182 Depth=2
	v_mov_b32_e32 v42, 0
	s_and_saveexec_b32 s46, s15
	s_cbranch_execz .LBB4_3009
; %bb.3000:                             ;   in Loop: Header=BB4_2182 Depth=2
	v_bfrev_b32_e32 v42, 1
	s_mov_b32 s15, exec_lo
	v_cmpx_ne_u32_e32 0x80, v10
	s_cbranch_execz .LBB4_3008
; %bb.3001:                             ;   in Loop: Header=BB4_2182 Depth=2
	v_and_b32_e32 v82, 0x7c000000, v13
	v_bfe_u32 v43, v13, 24, 2
	s_mov_b32 s47, exec_lo
                                        ; implicit-def: $vgpr42
	s_delay_alu instid0(VALU_DEP_2)
	v_cmpx_ne_u32_e32 0x7c000000, v82
	s_xor_b32 s47, exec_lo, s47
	s_cbranch_execz .LBB4_3005
; %bb.3002:                             ;   in Loop: Header=BB4_2182 Depth=2
	v_bfe_u32 v12, v13, 26, 5
	s_mov_b32 s56, exec_lo
	s_delay_alu instid0(VALU_DEP_1)
	v_cmpx_eq_u32_e32 0, v12
; %bb.3003:                             ;   in Loop: Header=BB4_2182 Depth=2
	v_clz_i32_u32_e32 v12, v43
	s_delay_alu instid0(VALU_DEP_1) | instskip(NEXT) | instid1(VALU_DEP_1)
	v_min_u32_e32 v12, 32, v12
	v_subrev_nc_u32_e32 v82, 29, v12
	s_delay_alu instid0(VALU_DEP_1) | instskip(NEXT) | instid1(VALU_DEP_1)
	v_lshlrev_b64_e32 v[42:43], v82, v[10:11]
	v_dual_sub_nc_u32 v12, 30, v12 :: v_dual_bitop2_b32 v43, 3, v42 bitop3:0x40
; %bb.3004:                             ;   in Loop: Header=BB4_2182 Depth=2
	s_or_b32 exec_lo, exec_lo, s56
	v_and_b32_e32 v10, 0x80000000, v13
	s_delay_alu instid0(VALU_DEP_1) | instskip(NEXT) | instid1(VALU_DEP_1)
	v_lshl_add_u32 v10, v12, 23, v10
                                        ; implicit-def: $vgpr12_vgpr13
	v_lshl_or_b32 v10, v43, 21, v10
                                        ; implicit-def: $vgpr43
	s_delay_alu instid0(VALU_DEP_1)
	v_add_nc_u32_e32 v42, 0x38000000, v10
.LBB4_3005:                             ;   in Loop: Header=BB4_2182 Depth=2
	s_and_not1_saveexec_b32 s47, s47
; %bb.3006:                             ;   in Loop: Header=BB4_2182 Depth=2
	v_cmp_lt_i64_e32 vcc_lo, -1, v[12:13]
	v_cndmask_b32_e32 v10, 0xff800000, v126, vcc_lo
	v_cmp_eq_u32_e32 vcc_lo, 0, v43
	s_delay_alu instid0(VALU_DEP_2)
	v_cndmask_b32_e32 v42, 0x7f800001, v10, vcc_lo
; %bb.3007:                             ;   in Loop: Header=BB4_2182 Depth=2
	s_or_b32 exec_lo, exec_lo, s47
.LBB4_3008:                             ;   in Loop: Header=BB4_2182 Depth=2
	s_delay_alu instid0(SALU_CYCLE_1)
	s_or_b32 exec_lo, exec_lo, s15
.LBB4_3009:                             ;   in Loop: Header=BB4_2182 Depth=2
	s_delay_alu instid0(SALU_CYCLE_1) | instskip(SKIP_2) | instid1(VALU_DEP_2)
	s_or_b32 exec_lo, exec_lo, s46
	v_cndmask_b32_e64 v10, v15, v17, s14
	v_cndmask_b32_e64 v11, v11, v54, s14
	v_lshl_add_u32 v10, v10, 23, v25
	s_delay_alu instid0(VALU_DEP_1) | instskip(SKIP_1) | instid1(VALU_DEP_2)
	v_lshl_or_b32 v10, v11, 21, v10
	v_max_num_f32_e32 v11, v42, v42
	v_cndmask_b32_e64 v10, v10, v16, s13
	s_delay_alu instid0(VALU_DEP_1) | instskip(NEXT) | instid1(VALU_DEP_1)
	v_cndmask_b32_e64 v10, v10, 0x80000000, s12
	v_cndmask_b32_e64 v10, v10, 0, s11
	s_delay_alu instid0(VALU_DEP_1) | instskip(NEXT) | instid1(VALU_DEP_1)
	v_max_num_f32_e32 v10, v10, v10
	v_min_num_f32_e32 v42, v11, v10
.LBB4_3010:                             ;   in Loop: Header=BB4_2182 Depth=2
	s_delay_alu instid0(VALU_DEP_1) | instskip(SKIP_2) | instid1(VALU_DEP_2)
	v_and_b32_e32 v10, 0x7f800000, v42
	v_mov_b32_e32 v11, v55
	v_and_b32_e32 v54, 0x7fffff, v42
	v_cmp_ne_u64_e32 vcc_lo, 0x7f800000, v[10:11]
	v_lshrrev_b32_e32 v11, 24, v42
                                        ; implicit-def: $vgpr10
	s_and_saveexec_b32 s11, vcc_lo
	s_delay_alu instid0(SALU_CYCLE_1)
	s_xor_b32 s12, exec_lo, s11
	s_cbranch_execz .LBB4_3024
; %bb.3011:                             ;   in Loop: Header=BB4_2182 Depth=2
	v_and_b32_e32 v12, 0x7fffffff, v42
	v_mov_b32_e32 v13, v55
	v_and_b32_e32 v15, 0x80, v11
                                        ; implicit-def: $vgpr10
	s_mov_b32 s11, exec_lo
	s_delay_alu instid0(VALU_DEP_2)
	v_cmpx_gt_u64_e32 0x47600001, v[12:13]
	s_xor_b32 s13, exec_lo, s11
	s_cbranch_execz .LBB4_3021
; %bb.3012:                             ;   in Loop: Header=BB4_2182 Depth=2
	v_mov_b32_e32 v10, 0
	s_mov_b32 s14, exec_lo
	v_cmpx_ne_u32_e32 0, v42
	s_cbranch_execz .LBB4_3020
; %bb.3013:                             ;   in Loop: Header=BB4_2182 Depth=2
	v_bfe_u32 v16, v42, 23, 8
	v_or_b32_e32 v12, 0x800000, v54
	s_delay_alu instid0(VALU_DEP_2) | instskip(SKIP_1) | instid1(VALU_DEP_2)
	v_sub_nc_u32_e32 v10, 0x71, v16
	v_cmp_gt_u32_e32 vcc_lo, 0x72, v16
	v_cndmask_b32_e32 v10, 0, v10, vcc_lo
	v_cmp_eq_u32_e32 vcc_lo, 0, v16
	s_delay_alu instid0(VALU_DEP_2) | instskip(NEXT) | instid1(VALU_DEP_1)
	v_cndmask_b32_e64 v17, v10, 0x70, vcc_lo
	v_dual_cndmask_b32 v54, v12, v54, vcc_lo :: v_dual_add_nc_u32 v10, 21, v17
	v_add_nc_u32_e32 v13, 20, v17
	s_delay_alu instid0(VALU_DEP_2) | instskip(NEXT) | instid1(VALU_DEP_2)
	v_lshlrev_b64_e64 v[10:11], v10, -1
	v_lshlrev_b64_e64 v[12:13], v13, 1
	s_delay_alu instid0(VALU_DEP_2) | instskip(NEXT) | instid1(VALU_DEP_3)
	v_bfi_b32 v43, v11, 0, 0
	v_bfi_b32 v42, v10, 0, v54
	v_lshrrev_b64 v[10:11], v17, v[54:55]
	s_delay_alu instid0(VALU_DEP_2) | instskip(NEXT) | instid1(VALU_DEP_2)
	v_cmp_eq_u64_e64 s11, v[42:43], v[12:13]
	v_mov_b64_e32 v[12:13], v[10:11]
	s_and_saveexec_b32 s15, s11
; %bb.3014:                             ;   in Loop: Header=BB4_2182 Depth=2
	v_bfe_u32 v54, v10, 21, 1
	s_delay_alu instid0(VALU_DEP_1) | instskip(NEXT) | instid1(VALU_DEP_1)
	v_add_nc_u64_e32 v[12:13], v[10:11], v[54:55]
	v_add_nc_u64_e32 v[12:13], -1, v[12:13]
; %bb.3015:                             ;   in Loop: Header=BB4_2182 Depth=2
	s_or_b32 exec_lo, exec_lo, s15
	v_add_nc_u32_e32 v11, 0xffffff81, v16
	v_lshrrev_b32_e32 v13, 23, v10
	s_mov_b32 s11, exec_lo
	s_delay_alu instid0(VALU_DEP_2) | instskip(NEXT) | instid1(VALU_DEP_1)
	v_cndmask_b32_e64 v11, v11, 0xffffff82, vcc_lo
	v_add3_u32 v13, v17, v11, v13
	v_and_b32_e32 v11, 0x1fffff, v12
                                        ; implicit-def: $vgpr12
	s_delay_alu instid0(VALU_DEP_1) | instskip(NEXT) | instid1(VALU_DEP_1)
	v_dual_add_nc_u32 v16, 14, v13 :: v_dual_add_nc_u32 v54, v11, v10
                                        ; implicit-def: $vgpr10_vgpr11
	v_cmpx_ne_u32_e32 0, v16
	s_xor_b32 s11, exec_lo, s11
; %bb.3016:                             ;   in Loop: Header=BB4_2182 Depth=2
	s_delay_alu instid0(VALU_DEP_2) | instskip(SKIP_1) | instid1(VALU_DEP_1)
	v_cmp_lt_u64_e32 vcc_lo, 0xffffff, v[54:55]
	v_add_nc_u32_e32 v10, 15, v13
	v_cndmask_b32_e32 v12, v16, v10, vcc_lo
	v_cndmask_b32_e64 v10, 0, 1, vcc_lo
	s_delay_alu instid0(VALU_DEP_1)
	v_lshrrev_b64 v[10:11], v10, v[54:55]
; %bb.3017:                             ;   in Loop: Header=BB4_2182 Depth=2
	s_and_not1_saveexec_b32 s11, s11
; %bb.3018:                             ;   in Loop: Header=BB4_2182 Depth=2
	v_mov_b64_e32 v[10:11], v[54:55]
	v_bfe_u32 v12, v54, 23, 1
; %bb.3019:                             ;   in Loop: Header=BB4_2182 Depth=2
	s_or_b32 exec_lo, exec_lo, s11
	s_delay_alu instid0(VALU_DEP_2) | instskip(NEXT) | instid1(VALU_DEP_2)
	v_lshrrev_b64 v[10:11], 21, v[10:11]
	v_cmp_gt_i32_e32 vcc_lo, 32, v12
	v_min_i32_e32 v13, 31, v12
	v_cmp_eq_u32_e64 s11, 0, v12
	s_delay_alu instid0(VALU_DEP_2) | instskip(SKIP_1) | instid1(VALU_DEP_2)
	v_dual_cndmask_b32 v11, 0, v11, vcc_lo :: v_dual_lshlrev_b32 v13, 2, v13
	v_cndmask_b32_e32 v10, 3, v10, vcc_lo
	v_and_b32_e32 v13, 0xfc, v13
	s_delay_alu instid0(VALU_DEP_2) | instskip(NEXT) | instid1(VALU_DEP_2)
	v_cmp_eq_u64_e32 vcc_lo, 0, v[10:11]
	v_and_or_b32 v10, v10, 3, v13
	s_and_b32 s11, s11, vcc_lo
	s_delay_alu instid0(VALU_DEP_1) | instid1(SALU_CYCLE_1)
	v_cndmask_b32_e64 v10, v10, 0, s11
	s_delay_alu instid0(VALU_DEP_1)
	v_or_b32_e32 v10, v10, v15
.LBB4_3020:                             ;   in Loop: Header=BB4_2182 Depth=2
	s_or_b32 exec_lo, exec_lo, s14
                                        ; implicit-def: $vgpr15
.LBB4_3021:                             ;   in Loop: Header=BB4_2182 Depth=2
	s_and_not1_saveexec_b32 s11, s13
; %bb.3022:                             ;   in Loop: Header=BB4_2182 Depth=2
	v_or_b32_e32 v10, 0x7b, v15
; %bb.3023:                             ;   in Loop: Header=BB4_2182 Depth=2
	s_or_b32 exec_lo, exec_lo, s11
                                        ; implicit-def: $vgpr42
                                        ; implicit-def: $vgpr11
.LBB4_3024:                             ;   in Loop: Header=BB4_2182 Depth=2
	s_and_not1_saveexec_b32 s11, s12
	s_cbranch_execz .LBB4_2181
; %bb.3025:                             ;   in Loop: Header=BB4_2182 Depth=2
	s_mov_b32 s12, exec_lo
                                        ; implicit-def: $vgpr10
	v_cmpx_ne_u64_e32 0, v[54:55]
	s_xor_b32 s12, exec_lo, s12
; %bb.3026:                             ;   in Loop: Header=BB4_2182 Depth=2
	v_or_b32_e32 v10, 0x7f, v11
                                        ; implicit-def: $vgpr42
; %bb.3027:                             ;   in Loop: Header=BB4_2182 Depth=2
	s_and_not1_saveexec_b32 s12, s12
	s_cbranch_execz .LBB4_2180
; %bb.3028:                             ;   in Loop: Header=BB4_2182 Depth=2
	v_cmp_lt_i32_e32 vcc_lo, -1, v42
	v_cndmask_b32_e32 v10, 0xfc, v122, vcc_lo
	s_branch .LBB4_2180
.LBB4_3029:                             ;   in Loop: Header=BB4_2182 Depth=2
	s_or_saveexec_b32 s15, s15
	v_bfrev_b32_e32 v115, 1
	s_xor_b32 exec_lo, exec_lo, s15
	s_cbranch_execz .LBB4_2197
.LBB4_3030:                             ;   in Loop: Header=BB4_2182 Depth=2
	v_cmp_ne_u16_e32 vcc_lo, 0, v116
	v_mov_b32_e32 v115, 0
	s_and_not1_b32 s14, s14, exec_lo
	s_and_b32 s46, vcc_lo, exec_lo
	s_delay_alu instid0(SALU_CYCLE_1)
	s_or_b32 s14, s14, s46
	s_or_b32 exec_lo, exec_lo, s15
	s_and_saveexec_b32 s15, s14
	s_cbranch_execnz .LBB4_2198
	s_branch .LBB4_2199
.LBB4_3031:                             ;   in Loop: Header=BB4_2182 Depth=2
	s_or_saveexec_b32 s14, s14
	v_bfrev_b32_e32 v112, 1
	s_xor_b32 exec_lo, exec_lo, s14
	s_cbranch_execz .LBB4_2215
.LBB4_3032:                             ;   in Loop: Header=BB4_2182 Depth=2
	v_cmp_ne_u16_e32 vcc_lo, 0, v113
	v_mov_b32_e32 v112, 0
	s_and_not1_b32 s13, s13, exec_lo
	s_and_b32 s15, vcc_lo, exec_lo
	s_delay_alu instid0(SALU_CYCLE_1)
	s_or_b32 s13, s13, s15
	s_or_b32 exec_lo, exec_lo, s14
	s_and_saveexec_b32 s14, s13
	s_cbranch_execnz .LBB4_2216
	s_branch .LBB4_2217
.LBB4_3033:                             ;   in Loop: Header=BB4_2182 Depth=2
	s_or_saveexec_b32 s15, s15
	v_bfrev_b32_e32 v117, 1
	s_xor_b32 exec_lo, exec_lo, s15
	s_cbranch_execz .LBB4_2253
.LBB4_3034:                             ;   in Loop: Header=BB4_2182 Depth=2
	v_cmp_ne_u16_e32 vcc_lo, 0, v54
	v_mov_b32_e32 v117, 0
	s_and_not1_b32 s14, s14, exec_lo
	s_and_b32 s46, vcc_lo, exec_lo
	s_delay_alu instid0(SALU_CYCLE_1)
	s_or_b32 s14, s14, s46
	s_or_b32 exec_lo, exec_lo, s15
	s_and_saveexec_b32 s15, s14
	s_cbranch_execnz .LBB4_2254
	s_branch .LBB4_2255
.LBB4_3035:                             ;   in Loop: Header=BB4_2182 Depth=2
	s_or_saveexec_b32 s14, s14
	v_bfrev_b32_e32 v24, 1
	s_xor_b32 exec_lo, exec_lo, s14
	s_cbranch_execz .LBB4_2271
.LBB4_3036:                             ;   in Loop: Header=BB4_2182 Depth=2
	v_cmp_ne_u16_e32 vcc_lo, 0, v54
	v_mov_b32_e32 v24, 0
	s_and_not1_b32 s13, s13, exec_lo
	s_and_b32 s15, vcc_lo, exec_lo
	s_delay_alu instid0(SALU_CYCLE_1)
	s_or_b32 s13, s13, s15
	s_or_b32 exec_lo, exec_lo, s14
	s_and_saveexec_b32 s14, s13
	s_cbranch_execnz .LBB4_2272
	s_branch .LBB4_2273
.LBB4_3037:                             ;   in Loop: Header=BB4_2182 Depth=2
	s_or_saveexec_b32 s15, s15
	v_bfrev_b32_e32 v118, 1
	s_xor_b32 exec_lo, exec_lo, s15
	s_cbranch_execz .LBB4_2309
.LBB4_3038:                             ;   in Loop: Header=BB4_2182 Depth=2
	v_cmp_ne_u16_e32 vcc_lo, 0, v119
	v_mov_b32_e32 v118, 0
	s_and_not1_b32 s14, s14, exec_lo
	s_and_b32 s46, vcc_lo, exec_lo
	s_delay_alu instid0(SALU_CYCLE_1)
	s_or_b32 s14, s14, s46
	s_or_b32 exec_lo, exec_lo, s15
	s_and_saveexec_b32 s15, s14
	s_cbranch_execnz .LBB4_2310
	s_branch .LBB4_2311
.LBB4_3039:                             ;   in Loop: Header=BB4_2182 Depth=2
	s_or_saveexec_b32 s14, s14
	v_bfrev_b32_e32 v24, 1
	s_xor_b32 exec_lo, exec_lo, s14
	s_cbranch_execz .LBB4_2327
.LBB4_3040:                             ;   in Loop: Header=BB4_2182 Depth=2
	v_cmp_ne_u16_e32 vcc_lo, 0, v115
	v_mov_b32_e32 v24, 0
	s_and_not1_b32 s13, s13, exec_lo
	s_and_b32 s15, vcc_lo, exec_lo
	s_delay_alu instid0(SALU_CYCLE_1)
	s_or_b32 s13, s13, s15
	s_or_b32 exec_lo, exec_lo, s14
	s_and_saveexec_b32 s14, s13
	s_cbranch_execnz .LBB4_2328
	s_branch .LBB4_2329
.LBB4_3041:                             ;   in Loop: Header=BB4_2182 Depth=2
	s_or_saveexec_b32 s15, s15
	v_bfrev_b32_e32 v42, 1
	s_xor_b32 exec_lo, exec_lo, s15
	s_cbranch_execz .LBB4_2409
.LBB4_3042:                             ;   in Loop: Header=BB4_2182 Depth=2
	v_cmp_ne_u16_e32 vcc_lo, 0, v43
	v_mov_b32_e32 v42, 0
	s_and_not1_b32 s14, s14, exec_lo
	s_and_b32 s46, vcc_lo, exec_lo
	s_delay_alu instid0(SALU_CYCLE_1)
	s_or_b32 s14, s14, s46
	s_or_b32 exec_lo, exec_lo, s15
	s_and_saveexec_b32 s15, s14
	s_cbranch_execnz .LBB4_2410
	s_branch .LBB4_2411
.LBB4_3043:                             ;   in Loop: Header=BB4_2182 Depth=2
	s_or_saveexec_b32 s14, s14
	v_bfrev_b32_e32 v25, 1
	s_xor_b32 exec_lo, exec_lo, s14
	s_cbranch_execz .LBB4_2427
.LBB4_3044:                             ;   in Loop: Header=BB4_2182 Depth=2
	v_cmp_ne_u16_e32 vcc_lo, 0, v119
	v_mov_b32_e32 v25, 0
	s_and_not1_b32 s13, s13, exec_lo
	s_and_b32 s15, vcc_lo, exec_lo
	s_delay_alu instid0(SALU_CYCLE_1)
	s_or_b32 s13, s13, s15
	s_or_b32 exec_lo, exec_lo, s14
	s_and_saveexec_b32 s14, s13
	s_cbranch_execnz .LBB4_2428
	s_branch .LBB4_2429
.LBB4_3045:                             ;   in Loop: Header=BB4_2182 Depth=2
	s_or_saveexec_b32 s15, s15
	v_bfrev_b32_e32 v42, 1
	s_xor_b32 exec_lo, exec_lo, s15
	s_cbranch_execz .LBB4_2465
.LBB4_3046:                             ;   in Loop: Header=BB4_2182 Depth=2
	v_cmp_ne_u16_e32 vcc_lo, 0, v102
	v_mov_b32_e32 v42, 0
	s_and_not1_b32 s14, s14, exec_lo
	s_and_b32 s46, vcc_lo, exec_lo
	s_delay_alu instid0(SALU_CYCLE_1)
	s_or_b32 s14, s14, s46
	s_or_b32 exec_lo, exec_lo, s15
	s_and_saveexec_b32 s15, s14
	s_cbranch_execnz .LBB4_2466
	s_branch .LBB4_2467
.LBB4_3047:                             ;   in Loop: Header=BB4_2182 Depth=2
	s_or_saveexec_b32 s14, s14
	v_bfrev_b32_e32 v24, 1
	s_xor_b32 exec_lo, exec_lo, s14
	s_cbranch_execz .LBB4_2483
.LBB4_3048:                             ;   in Loop: Header=BB4_2182 Depth=2
	v_cmp_ne_u16_e32 vcc_lo, 0, v102
	v_mov_b32_e32 v24, 0
	s_and_not1_b32 s13, s13, exec_lo
	s_and_b32 s15, vcc_lo, exec_lo
	s_delay_alu instid0(SALU_CYCLE_1)
	s_or_b32 s13, s13, s15
	s_or_b32 exec_lo, exec_lo, s14
	s_and_saveexec_b32 s14, s13
	s_cbranch_execnz .LBB4_2484
	s_branch .LBB4_2485
.LBB4_3049:                             ;   in Loop: Header=BB4_2182 Depth=2
	s_or_saveexec_b32 s15, s15
	v_bfrev_b32_e32 v42, 1
	s_xor_b32 exec_lo, exec_lo, s15
	s_cbranch_execz .LBB4_2521
.LBB4_3050:                             ;   in Loop: Header=BB4_2182 Depth=2
	v_cmp_ne_u16_e32 vcc_lo, 0, v43
	v_mov_b32_e32 v42, 0
	s_and_not1_b32 s14, s14, exec_lo
	s_and_b32 s46, vcc_lo, exec_lo
	s_delay_alu instid0(SALU_CYCLE_1)
	s_or_b32 s14, s14, s46
	s_or_b32 exec_lo, exec_lo, s15
	s_and_saveexec_b32 s15, s14
	s_cbranch_execnz .LBB4_2522
	s_branch .LBB4_2523
.LBB4_3051:                             ;   in Loop: Header=BB4_2182 Depth=2
	s_or_saveexec_b32 s14, s14
	v_bfrev_b32_e32 v24, 1
	s_xor_b32 exec_lo, exec_lo, s14
	s_cbranch_execz .LBB4_2539
.LBB4_3052:                             ;   in Loop: Header=BB4_2182 Depth=2
	v_cmp_ne_u16_e32 vcc_lo, 0, v119
	v_mov_b32_e32 v24, 0
	s_and_not1_b32 s13, s13, exec_lo
	s_and_b32 s15, vcc_lo, exec_lo
	s_delay_alu instid0(SALU_CYCLE_1)
	s_or_b32 s13, s13, s15
	s_or_b32 exec_lo, exec_lo, s14
	s_and_saveexec_b32 s14, s13
	s_cbranch_execnz .LBB4_2540
	s_branch .LBB4_2541
.LBB4_3053:                             ;   in Loop: Header=BB4_2182 Depth=2
	s_or_saveexec_b32 s15, s15
	v_bfrev_b32_e32 v119, 1
	s_xor_b32 exec_lo, exec_lo, s15
	s_cbranch_execz .LBB4_2621
.LBB4_3054:                             ;   in Loop: Header=BB4_2182 Depth=2
	v_cmp_ne_u16_e32 vcc_lo, 0, v40
	v_mov_b32_e32 v119, 0
	s_and_not1_b32 s14, s14, exec_lo
	s_and_b32 s46, vcc_lo, exec_lo
	s_delay_alu instid0(SALU_CYCLE_1)
	s_or_b32 s14, s14, s46
	s_or_b32 exec_lo, exec_lo, s15
	s_and_saveexec_b32 s15, s14
	s_cbranch_execnz .LBB4_2622
	s_branch .LBB4_2623
.LBB4_3055:                             ;   in Loop: Header=BB4_2182 Depth=2
	s_or_saveexec_b32 s14, s14
	v_bfrev_b32_e32 v54, 1
	s_xor_b32 exec_lo, exec_lo, s14
	s_cbranch_execz .LBB4_2639
.LBB4_3056:                             ;   in Loop: Header=BB4_2182 Depth=2
	v_cmp_ne_u16_e32 vcc_lo, 0, v113
	v_mov_b32_e32 v54, 0
	s_and_not1_b32 s13, s13, exec_lo
	s_and_b32 s15, vcc_lo, exec_lo
	s_delay_alu instid0(SALU_CYCLE_1)
	s_or_b32 s13, s13, s15
	s_or_b32 exec_lo, exec_lo, s14
	s_and_saveexec_b32 s14, s13
	s_cbranch_execnz .LBB4_2640
	s_branch .LBB4_2641
.LBB4_3057:                             ;   in Loop: Header=BB4_2182 Depth=2
	s_or_saveexec_b32 s15, s15
	v_bfrev_b32_e32 v41, 1
	s_xor_b32 exec_lo, exec_lo, s15
	s_cbranch_execz .LBB4_2677
.LBB4_3058:                             ;   in Loop: Header=BB4_2182 Depth=2
	v_cmp_ne_u16_e32 vcc_lo, 0, v54
	v_mov_b32_e32 v41, 0
	s_and_not1_b32 s14, s14, exec_lo
	s_and_b32 s46, vcc_lo, exec_lo
	s_delay_alu instid0(SALU_CYCLE_1)
	s_or_b32 s14, s14, s46
	s_or_b32 exec_lo, exec_lo, s15
	s_and_saveexec_b32 s15, s14
	s_cbranch_execnz .LBB4_2678
	s_branch .LBB4_2679
.LBB4_3059:                             ;   in Loop: Header=BB4_2182 Depth=2
	s_or_saveexec_b32 s14, s14
	v_bfrev_b32_e32 v10, 1
	s_xor_b32 exec_lo, exec_lo, s14
	s_cbranch_execz .LBB4_2695
.LBB4_3060:                             ;   in Loop: Header=BB4_2182 Depth=2
	v_cmp_ne_u16_e32 vcc_lo, 0, v54
	v_mov_b32_e32 v10, 0
	s_and_not1_b32 s13, s13, exec_lo
	s_and_b32 s15, vcc_lo, exec_lo
	s_delay_alu instid0(SALU_CYCLE_1)
	s_or_b32 s13, s13, s15
	s_or_b32 exec_lo, exec_lo, s14
	s_and_saveexec_b32 s14, s13
	s_cbranch_execnz .LBB4_2696
	s_branch .LBB4_2697
.LBB4_3061:                             ;   in Loop: Header=BB4_2182 Depth=2
	s_or_saveexec_b32 s15, s15
	v_bfrev_b32_e32 v42, 1
	s_xor_b32 exec_lo, exec_lo, s15
	s_cbranch_execz .LBB4_2733
.LBB4_3062:                             ;   in Loop: Header=BB4_2182 Depth=2
	v_cmp_ne_u16_e32 vcc_lo, 0, v43
	v_mov_b32_e32 v42, 0
	s_and_not1_b32 s14, s14, exec_lo
	s_and_b32 s46, vcc_lo, exec_lo
	s_delay_alu instid0(SALU_CYCLE_1)
	s_or_b32 s14, s14, s46
	s_or_b32 exec_lo, exec_lo, s15
	s_and_saveexec_b32 s15, s14
	s_cbranch_execnz .LBB4_2734
	s_branch .LBB4_2735
.LBB4_3063:                             ;   in Loop: Header=BB4_2182 Depth=2
	s_or_saveexec_b32 s14, s14
	v_bfrev_b32_e32 v10, 1
	s_xor_b32 exec_lo, exec_lo, s14
	s_cbranch_execz .LBB4_2751
.LBB4_3064:                             ;   in Loop: Header=BB4_2182 Depth=2
	v_cmp_ne_u16_e32 vcc_lo, 0, v119
	v_mov_b32_e32 v10, 0
	s_and_not1_b32 s13, s13, exec_lo
	s_and_b32 s15, vcc_lo, exec_lo
	s_delay_alu instid0(SALU_CYCLE_1)
	s_or_b32 s13, s13, s15
	s_or_b32 exec_lo, exec_lo, s14
	s_and_saveexec_b32 s14, s13
	s_cbranch_execnz .LBB4_2752
	s_branch .LBB4_2753
.LBB4_3065:                             ;   in Loop: Header=BB4_2182 Depth=2
	s_or_saveexec_b32 s15, s15
	v_bfrev_b32_e32 v45, 1
	s_xor_b32 exec_lo, exec_lo, s15
	s_cbranch_execz .LBB4_2833
.LBB4_3066:                             ;   in Loop: Header=BB4_2182 Depth=2
	v_cmp_ne_u16_e32 vcc_lo, 0, v46
	v_mov_b32_e32 v45, 0
	s_and_not1_b32 s14, s14, exec_lo
	s_and_b32 s46, vcc_lo, exec_lo
	s_delay_alu instid0(SALU_CYCLE_1)
	s_or_b32 s14, s14, s46
	s_or_b32 exec_lo, exec_lo, s15
	s_and_saveexec_b32 s15, s14
	s_cbranch_execnz .LBB4_2834
	s_branch .LBB4_2835
.LBB4_3067:                             ;   in Loop: Header=BB4_2182 Depth=2
	s_or_saveexec_b32 s14, s14
	v_bfrev_b32_e32 v42, 1
	s_xor_b32 exec_lo, exec_lo, s14
	s_cbranch_execz .LBB4_2851
.LBB4_3068:                             ;   in Loop: Header=BB4_2182 Depth=2
	v_cmp_ne_u16_e32 vcc_lo, 0, v43
	v_mov_b32_e32 v42, 0
	s_and_not1_b32 s13, s13, exec_lo
	s_and_b32 s15, vcc_lo, exec_lo
	s_delay_alu instid0(SALU_CYCLE_1)
	s_or_b32 s13, s13, s15
	s_or_b32 exec_lo, exec_lo, s14
	s_and_saveexec_b32 s14, s13
	s_cbranch_execnz .LBB4_2852
	s_branch .LBB4_2853
.LBB4_3069:                             ;   in Loop: Header=BB4_2182 Depth=2
	s_or_saveexec_b32 s15, s15
	v_bfrev_b32_e32 v46, 1
	s_xor_b32 exec_lo, exec_lo, s15
	s_cbranch_execz .LBB4_2889
.LBB4_3070:                             ;   in Loop: Header=BB4_2182 Depth=2
	v_cmp_ne_u16_e32 vcc_lo, 0, v14
	v_mov_b32_e32 v46, 0
	s_and_not1_b32 s14, s14, exec_lo
	s_and_b32 s46, vcc_lo, exec_lo
	s_delay_alu instid0(SALU_CYCLE_1)
	s_or_b32 s14, s14, s46
	s_or_b32 exec_lo, exec_lo, s15
	s_and_saveexec_b32 s15, s14
	s_cbranch_execnz .LBB4_2890
	s_branch .LBB4_2891
.LBB4_3071:                             ;   in Loop: Header=BB4_2182 Depth=2
	s_or_saveexec_b32 s14, s14
	v_bfrev_b32_e32 v24, 1
	s_xor_b32 exec_lo, exec_lo, s14
	s_cbranch_execz .LBB4_2907
.LBB4_3072:                             ;   in Loop: Header=BB4_2182 Depth=2
	v_cmp_ne_u16_e32 vcc_lo, 0, v14
	v_mov_b32_e32 v24, 0
	s_and_not1_b32 s13, s13, exec_lo
	s_and_b32 s15, vcc_lo, exec_lo
	s_delay_alu instid0(SALU_CYCLE_1)
	s_or_b32 s13, s13, s15
	s_or_b32 exec_lo, exec_lo, s14
	s_and_saveexec_b32 s14, s13
	s_cbranch_execnz .LBB4_2908
	s_branch .LBB4_2909
.LBB4_3073:                             ;   in Loop: Header=BB4_2182 Depth=2
	s_or_saveexec_b32 s15, s15
	v_bfrev_b32_e32 v46, 1
	s_xor_b32 exec_lo, exec_lo, s15
	s_cbranch_execz .LBB4_2945
.LBB4_3074:                             ;   in Loop: Header=BB4_2182 Depth=2
	v_cmp_ne_u16_e32 vcc_lo, 0, v47
	v_mov_b32_e32 v46, 0
	s_and_not1_b32 s14, s14, exec_lo
	s_and_b32 s46, vcc_lo, exec_lo
	s_delay_alu instid0(SALU_CYCLE_1)
	s_or_b32 s14, s14, s46
	s_or_b32 exec_lo, exec_lo, s15
	s_and_saveexec_b32 s15, s14
	s_cbranch_execnz .LBB4_2946
	s_branch .LBB4_2947
.LBB4_3075:                             ;   in Loop: Header=BB4_2182 Depth=2
	s_or_saveexec_b32 s14, s14
	v_bfrev_b32_e32 v10, 1
	s_xor_b32 exec_lo, exec_lo, s14
	s_cbranch_execz .LBB4_2963
.LBB4_3076:                             ;   in Loop: Header=BB4_2182 Depth=2
	v_cmp_ne_u16_e32 vcc_lo, 0, v43
	v_mov_b32_e32 v10, 0
	s_and_not1_b32 s13, s13, exec_lo
	s_and_b32 s15, vcc_lo, exec_lo
	s_delay_alu instid0(SALU_CYCLE_1)
	s_or_b32 s13, s13, s15
	s_or_b32 exec_lo, exec_lo, s14
	s_and_saveexec_b32 s14, s13
	s_cbranch_execnz .LBB4_2964
	s_branch .LBB4_2965
.LBB4_3077:                             ;   in Loop: Header=BB4_49 Depth=1
	s_or_b32 exec_lo, exec_lo, s44
.LBB4_3078:                             ;   in Loop: Header=BB4_49 Depth=1
	s_delay_alu instid0(SALU_CYCLE_1) | instskip(NEXT) | instid1(VALU_DEP_2)
	s_or_b32 exec_lo, exec_lo, s43
	v_cmp_lt_i32_e32 vcc_lo, 0, v30
	v_and_b32_e32 v10, 15, v123
	v_and_b32_e32 v11, 0x1f0, v123
	s_delay_alu instid0(VALU_DEP_2) | instskip(NEXT) | instid1(VALU_DEP_1)
	v_dual_cndmask_b32 v12, 0, v64, vcc_lo :: v_dual_cndmask_b32 v87, v3, v10, s10
	v_dual_cndmask_b32 v3, 0, v11, s10 :: v_dual_sub_nc_u32 v10, v12, v30
	s_delay_alu instid0(VALU_DEP_2) | instskip(NEXT) | instid1(VALU_DEP_2)
	v_cmp_ne_u32_e32 vcc_lo, 0, v87
	v_and_or_b32 v30, 0x3ffffe00, v123, v3
	s_delay_alu instid0(VALU_DEP_3)
	v_lshl_add_u32 v0, v10, 5, v0
	s_and_b32 s10, vcc_lo, exec_lo
.LBB4_3079:                             ;   in Loop: Header=BB4_49 Depth=1
	s_or_b32 exec_lo, exec_lo, s42
	s_and_saveexec_b32 s13, s10
	s_cbranch_execz .LBB4_4244
.LBB4_3080:                             ;   in Loop: Header=BB4_49 Depth=1
	v_dual_ashrrev_i32 v3, 31, v0 :: v_dual_lshrrev_b32 v11, 9, v87
	s_mov_b32 s11, exec_lo
	s_delay_alu instid0(VALU_DEP_1) | instskip(NEXT) | instid1(VALU_DEP_1)
	v_lshrrev_b32_e32 v3, 27, v3
	v_add_nc_u32_e32 v10, v0, v3
	s_delay_alu instid0(VALU_DEP_1) | instskip(NEXT) | instid1(VALU_DEP_1)
	v_ashrrev_i32_e32 v3, 5, v10
	v_sub_nc_u32_e32 v97, v11, v3
	s_delay_alu instid0(VALU_DEP_1)
	v_cmpx_lt_i32_e32 0, v97
	s_cbranch_execz .LBB4_4172
; %bb.3081:                             ;   in Loop: Header=BB4_49 Depth=1
	v_and_b32_e32 v10, 0xffffffe0, v10
	s_trap 2
	ds_load_b64 v[12:13], v0
	v_lshlrev_b32_e32 v11, 9, v3
	v_add_nc_u64_e32 v[16:17], 0x1e0, v[100:101]
	v_sub_nc_u32_e32 v10, v0, v10
	s_bitcmp1_b32 s41, 0
	s_mov_b32 s12, 0
	s_cselect_b32 s14, -1, 0
	s_delay_alu instid0(VALU_DEP_1) | instskip(NEXT) | instid1(VALU_DEP_1)
	v_add3_u32 v14, v30, v10, v11
	v_ashrrev_i32_e32 v15, 31, v14
	s_delay_alu instid0(VALU_DEP_1)
	v_add_nc_u64_e32 v[10:11], v[14:15], v[98:99]
	s_wait_dscnt 0x0
	v_add_nc_u64_e32 v[12:13], v[12:13], v[14:15]
	v_add_nc_u64_e32 v[14:15], v[16:17], v[14:15]
	s_branch .LBB4_3084
.LBB4_3082:                             ;   in Loop: Header=BB4_3084 Depth=2
	s_or_b32 exec_lo, exec_lo, s15
.LBB4_3083:                             ;   in Loop: Header=BB4_3084 Depth=2
	s_delay_alu instid0(SALU_CYCLE_1)
	s_or_b32 exec_lo, exec_lo, s10
	v_sub_nc_u32_e32 v97, v97, v64
	s_clause 0xf
	flat_store_b8 v[14:15], v109 offset:-480 th:TH_STORE_NT
	flat_store_b8 v[14:15], v105 offset:-448 th:TH_STORE_NT
	;; [unrolled: 1-line block ×15, first 2 shown]
	flat_store_b8 v[14:15], v17 th:TH_STORE_NT
	v_add_nc_u64_e32 v[10:11], v[10:11], v[70:71]
	v_add_nc_u64_e32 v[12:13], v[12:13], v[70:71]
	v_cmp_gt_i32_e32 vcc_lo, 1, v97
	s_wait_xcnt 0x0
	v_add_nc_u64_e32 v[14:15], v[14:15], v[70:71]
	s_or_b32 s12, vcc_lo, s12
	s_delay_alu instid0(SALU_CYCLE_1)
	s_and_not1_b32 exec_lo, exec_lo, s12
	s_cbranch_execz .LBB4_4171
.LBB4_3084:                             ;   Parent Loop BB4_49 Depth=1
                                        ; =>  This Inner Loop Header: Depth=2
	s_clause 0xf
	flat_load_u8 v19, v[10:11] th:TH_LOAD_NT
	flat_load_i8 v106, v[10:11] offset:32 th:TH_LOAD_NT
	flat_load_i8 v94, v[10:11] offset:64 th:TH_LOAD_NT
	;; [unrolled: 1-line block ×15, first 2 shown]
	s_clause 0xf
	flat_load_i8 v108, v[12:13] th:TH_LOAD_NT
	flat_load_i8 v104, v[12:13] offset:32 th:TH_LOAD_NT
	flat_load_i8 v92, v[12:13] offset:64 th:TH_LOAD_NT
	;; [unrolled: 1-line block ×15, first 2 shown]
	s_and_b32 vcc_lo, exec_lo, s14
	s_mov_b32 s15, -1
	s_wait_loadcnt_dscnt 0x1f1f
	v_bfe_i32 v54, v19, 0, 8
	v_and_b32_e32 v17, 0xffff, v19
	v_cmp_ne_u16_e64 s10, 0, v19
                                        ; implicit-def: $vgpr19
	s_cbranch_vccz .LBB4_3106
; %bb.3085:                             ;   in Loop: Header=BB4_3084 Depth=2
	v_dual_mov_b32 v21, 0 :: v_dual_mov_b32 v19, 0
	s_wait_xcnt 0x0
	s_and_saveexec_b32 s15, s10
	s_cbranch_execz .LBB4_3095
; %bb.3086:                             ;   in Loop: Header=BB4_3084 Depth=2
	v_bfrev_b32_e32 v19, 1
	s_mov_b32 s42, exec_lo
	v_cmpx_ne_u16_e32 0xff80, v54
	s_cbranch_execz .LBB4_3094
; %bb.3087:                             ;   in Loop: Header=BB4_3084 Depth=2
	v_and_b32_e32 v19, 0x7c, v17
	v_and_b32_e32 v23, 3, v17
	s_delay_alu instid0(VALU_DEP_2) | instskip(SKIP_1) | instid1(SALU_CYCLE_1)
	v_cmp_ne_u32_e32 vcc_lo, 0x7c, v19
                                        ; implicit-def: $vgpr19
	s_and_saveexec_b32 s43, vcc_lo
	s_xor_b32 s43, exec_lo, s43
	s_cbranch_execz .LBB4_3091
; %bb.3088:                             ;   in Loop: Header=BB4_3084 Depth=2
	v_bfe_u32 v19, v17, 2, 5
	s_mov_b32 s44, exec_lo
	s_delay_alu instid0(VALU_DEP_1)
	v_cmpx_eq_u32_e32 0, v19
; %bb.3089:                             ;   in Loop: Header=BB4_3084 Depth=2
	v_clz_i32_u32_e32 v19, v23
	s_delay_alu instid0(VALU_DEP_1) | instskip(NEXT) | instid1(VALU_DEP_1)
	v_min_u32_e32 v19, 32, v19
	v_subrev_nc_u32_e32 v23, 29, v19
	s_delay_alu instid0(VALU_DEP_1) | instskip(NEXT) | instid1(VALU_DEP_1)
	v_lshlrev_b64_e32 v[110:111], v23, v[54:55]
	v_dual_sub_nc_u32 v19, 30, v19 :: v_dual_bitop2_b32 v23, 3, v110 bitop3:0x40
; %bb.3090:                             ;   in Loop: Header=BB4_3084 Depth=2
	s_or_b32 exec_lo, exec_lo, s44
	v_bfe_i32 v25, v54, 0, 16
	s_delay_alu instid0(VALU_DEP_1) | instskip(NEXT) | instid1(VALU_DEP_1)
	v_and_b32_e32 v25, 0x80000000, v25
	v_lshl_add_u32 v19, v19, 23, v25
	s_delay_alu instid0(VALU_DEP_1) | instskip(NEXT) | instid1(VALU_DEP_1)
	v_lshl_or_b32 v19, v23, 21, v19
                                        ; implicit-def: $vgpr23
	v_add_nc_u32_e32 v19, 0x38000000, v19
.LBB4_3091:                             ;   in Loop: Header=BB4_3084 Depth=2
	s_and_not1_saveexec_b32 s43, s43
; %bb.3092:                             ;   in Loop: Header=BB4_3084 Depth=2
	v_cmp_lt_i16_e32 vcc_lo, -1, v54
	v_cndmask_b32_e32 v19, 0xff800000, v126, vcc_lo
	v_cmp_eq_u32_e32 vcc_lo, 0, v23
	s_delay_alu instid0(VALU_DEP_2)
	v_cndmask_b32_e32 v19, 0x7f800001, v19, vcc_lo
; %bb.3093:                             ;   in Loop: Header=BB4_3084 Depth=2
	s_or_b32 exec_lo, exec_lo, s43
.LBB4_3094:                             ;   in Loop: Header=BB4_3084 Depth=2
	s_delay_alu instid0(SALU_CYCLE_1)
	s_or_b32 exec_lo, exec_lo, s42
.LBB4_3095:                             ;   in Loop: Header=BB4_3084 Depth=2
	s_delay_alu instid0(SALU_CYCLE_1) | instskip(NEXT) | instid1(SALU_CYCLE_1)
	s_or_b32 exec_lo, exec_lo, s15
	s_mov_b32 s15, exec_lo
	s_wait_loadcnt_dscnt 0xf0f
	v_cmpx_ne_u16_e32 0, v108
	s_cbranch_execz .LBB4_3105
; %bb.3096:                             ;   in Loop: Header=BB4_3084 Depth=2
	v_bfrev_b32_e32 v21, 1
	s_mov_b32 s42, exec_lo
	v_cmpx_ne_u16_e32 0xff80, v108
	s_cbranch_execz .LBB4_3104
; %bb.3097:                             ;   in Loop: Header=BB4_3084 Depth=2
	v_and_b32_e32 v21, 0x7c, v108
	v_and_b32_e32 v23, 3, v108
	s_delay_alu instid0(VALU_DEP_2) | instskip(SKIP_1) | instid1(SALU_CYCLE_1)
	v_cmp_ne_u32_e32 vcc_lo, 0x7c, v21
                                        ; implicit-def: $vgpr21
	s_and_saveexec_b32 s43, vcc_lo
	s_xor_b32 s43, exec_lo, s43
	s_cbranch_execz .LBB4_3101
; %bb.3098:                             ;   in Loop: Header=BB4_3084 Depth=2
	v_and_b32_e32 v21, 0xff, v108
	s_mov_b32 s44, exec_lo
	s_delay_alu instid0(VALU_DEP_1) | instskip(NEXT) | instid1(VALU_DEP_1)
	v_bfe_u32 v21, v21, 2, 5
	v_cmpx_eq_u32_e32 0, v21
	s_cbranch_execz .LBB4_3100
; %bb.3099:                             ;   in Loop: Header=BB4_3084 Depth=2
	v_clz_i32_u32_e32 v21, v23
	s_delay_alu instid0(VALU_DEP_1) | instskip(SKIP_1) | instid1(VALU_DEP_2)
	v_min_u32_e32 v21, 32, v21
	v_mov_b32_e32 v109, v55
	v_subrev_nc_u32_e32 v23, 29, v21
	v_sub_nc_u32_e32 v21, 30, v21
	s_delay_alu instid0(VALU_DEP_2) | instskip(NEXT) | instid1(VALU_DEP_1)
	v_lshlrev_b64_e32 v[110:111], v23, v[108:109]
	v_and_b32_e32 v23, 3, v110
.LBB4_3100:                             ;   in Loop: Header=BB4_3084 Depth=2
	s_or_b32 exec_lo, exec_lo, s44
	v_bfe_i32 v25, v108, 0, 16
	s_delay_alu instid0(VALU_DEP_1) | instskip(NEXT) | instid1(VALU_DEP_1)
	v_and_b32_e32 v25, 0x80000000, v25
	v_lshl_add_u32 v21, v21, 23, v25
	s_delay_alu instid0(VALU_DEP_1) | instskip(NEXT) | instid1(VALU_DEP_1)
	v_lshl_or_b32 v21, v23, 21, v21
                                        ; implicit-def: $vgpr23
	v_add_nc_u32_e32 v21, 0x38000000, v21
.LBB4_3101:                             ;   in Loop: Header=BB4_3084 Depth=2
	s_and_not1_saveexec_b32 s43, s43
; %bb.3102:                             ;   in Loop: Header=BB4_3084 Depth=2
	v_cmp_lt_i16_e32 vcc_lo, -1, v108
	v_cndmask_b32_e32 v21, 0xff800000, v126, vcc_lo
	v_cmp_eq_u32_e32 vcc_lo, 0, v23
	s_delay_alu instid0(VALU_DEP_2)
	v_cndmask_b32_e32 v21, 0x7f800001, v21, vcc_lo
; %bb.3103:                             ;   in Loop: Header=BB4_3084 Depth=2
	s_or_b32 exec_lo, exec_lo, s43
.LBB4_3104:                             ;   in Loop: Header=BB4_3084 Depth=2
	s_delay_alu instid0(SALU_CYCLE_1)
	s_or_b32 exec_lo, exec_lo, s42
.LBB4_3105:                             ;   in Loop: Header=BB4_3084 Depth=2
	s_delay_alu instid0(SALU_CYCLE_1) | instskip(NEXT) | instid1(VALU_DEP_1)
	s_or_b32 exec_lo, exec_lo, s15
	v_dual_max_num_f32 v21, v21, v21 :: v_dual_max_num_f32 v19, v19, v19
	s_mov_b32 s15, 0
	s_delay_alu instid0(VALU_DEP_1)
	v_max_num_f32_e32 v19, v19, v21
.LBB4_3106:                             ;   in Loop: Header=BB4_3084 Depth=2
	s_and_b32 vcc_lo, exec_lo, s15
	s_cbranch_vccz .LBB4_3128
; %bb.3107:                             ;   in Loop: Header=BB4_3084 Depth=2
	v_dual_mov_b32 v21, 0 :: v_dual_mov_b32 v19, 0
	s_wait_xcnt 0x0
	s_and_saveexec_b32 s15, s10
	s_cbranch_execz .LBB4_3117
; %bb.3108:                             ;   in Loop: Header=BB4_3084 Depth=2
	v_bfrev_b32_e32 v19, 1
	s_mov_b32 s10, exec_lo
	v_cmpx_ne_u16_e32 0xff80, v54
	s_cbranch_execz .LBB4_3116
; %bb.3109:                             ;   in Loop: Header=BB4_3084 Depth=2
	v_and_b32_e32 v19, 0x7c, v17
	v_and_b32_e32 v23, 3, v17
	s_delay_alu instid0(VALU_DEP_2) | instskip(SKIP_1) | instid1(SALU_CYCLE_1)
	v_cmp_ne_u32_e32 vcc_lo, 0x7c, v19
                                        ; implicit-def: $vgpr19
	s_and_saveexec_b32 s42, vcc_lo
	s_xor_b32 s42, exec_lo, s42
	s_cbranch_execz .LBB4_3113
; %bb.3110:                             ;   in Loop: Header=BB4_3084 Depth=2
	v_bfe_u32 v17, v17, 2, 5
	s_mov_b32 s43, exec_lo
	s_delay_alu instid0(VALU_DEP_1)
	v_cmpx_eq_u32_e32 0, v17
; %bb.3111:                             ;   in Loop: Header=BB4_3084 Depth=2
	v_clz_i32_u32_e32 v17, v23
	s_delay_alu instid0(VALU_DEP_1) | instskip(NEXT) | instid1(VALU_DEP_1)
	v_min_u32_e32 v17, 32, v17
	v_subrev_nc_u32_e32 v19, 29, v17
	s_delay_alu instid0(VALU_DEP_1) | instskip(NEXT) | instid1(VALU_DEP_1)
	v_lshlrev_b64_e32 v[110:111], v19, v[54:55]
	v_dual_sub_nc_u32 v17, 30, v17 :: v_dual_bitop2_b32 v23, 3, v110 bitop3:0x40
; %bb.3112:                             ;   in Loop: Header=BB4_3084 Depth=2
	s_or_b32 exec_lo, exec_lo, s43
	v_bfe_i32 v19, v54, 0, 16
	s_delay_alu instid0(VALU_DEP_1) | instskip(NEXT) | instid1(VALU_DEP_1)
	v_and_b32_e32 v19, 0x80000000, v19
	v_lshl_add_u32 v17, v17, 23, v19
	s_delay_alu instid0(VALU_DEP_1) | instskip(NEXT) | instid1(VALU_DEP_1)
	v_lshl_or_b32 v17, v23, 21, v17
                                        ; implicit-def: $vgpr23
	v_add_nc_u32_e32 v19, 0x38000000, v17
.LBB4_3113:                             ;   in Loop: Header=BB4_3084 Depth=2
	s_and_not1_saveexec_b32 s42, s42
; %bb.3114:                             ;   in Loop: Header=BB4_3084 Depth=2
	v_cmp_lt_i16_e32 vcc_lo, -1, v54
	v_cndmask_b32_e32 v17, 0xff800000, v126, vcc_lo
	v_cmp_eq_u32_e32 vcc_lo, 0, v23
	s_delay_alu instid0(VALU_DEP_2)
	v_cndmask_b32_e32 v19, 0x7f800001, v17, vcc_lo
; %bb.3115:                             ;   in Loop: Header=BB4_3084 Depth=2
	s_or_b32 exec_lo, exec_lo, s42
.LBB4_3116:                             ;   in Loop: Header=BB4_3084 Depth=2
	s_delay_alu instid0(SALU_CYCLE_1)
	s_or_b32 exec_lo, exec_lo, s10
.LBB4_3117:                             ;   in Loop: Header=BB4_3084 Depth=2
	s_delay_alu instid0(SALU_CYCLE_1) | instskip(NEXT) | instid1(SALU_CYCLE_1)
	s_or_b32 exec_lo, exec_lo, s15
	s_mov_b32 s10, exec_lo
	s_wait_loadcnt_dscnt 0xf0f
	v_cmpx_ne_u16_e32 0, v108
	s_cbranch_execz .LBB4_3127
; %bb.3118:                             ;   in Loop: Header=BB4_3084 Depth=2
	v_bfrev_b32_e32 v21, 1
	s_mov_b32 s15, exec_lo
	v_cmpx_ne_u16_e32 0xff80, v108
	s_cbranch_execz .LBB4_3126
; %bb.3119:                             ;   in Loop: Header=BB4_3084 Depth=2
	v_and_b32_e32 v21, 0x7c, v108
	v_and_b32_e32 v17, 3, v108
	s_delay_alu instid0(VALU_DEP_2) | instskip(SKIP_1) | instid1(SALU_CYCLE_1)
	v_cmp_ne_u32_e32 vcc_lo, 0x7c, v21
                                        ; implicit-def: $vgpr21
	s_and_saveexec_b32 s42, vcc_lo
	s_xor_b32 s42, exec_lo, s42
	s_cbranch_execz .LBB4_3123
; %bb.3120:                             ;   in Loop: Header=BB4_3084 Depth=2
	v_and_b32_e32 v21, 0xff, v108
	s_mov_b32 s43, exec_lo
	s_delay_alu instid0(VALU_DEP_1) | instskip(NEXT) | instid1(VALU_DEP_1)
	v_bfe_u32 v21, v21, 2, 5
	v_cmpx_eq_u32_e32 0, v21
; %bb.3121:                             ;   in Loop: Header=BB4_3084 Depth=2
	v_clz_i32_u32_e32 v17, v17
	s_delay_alu instid0(VALU_DEP_1) | instskip(SKIP_1) | instid1(VALU_DEP_2)
	v_min_u32_e32 v17, 32, v17
	v_mov_b32_e32 v109, v55
	v_subrev_nc_u32_e32 v21, 29, v17
	s_delay_alu instid0(VALU_DEP_1) | instskip(NEXT) | instid1(VALU_DEP_1)
	v_lshlrev_b64_e32 v[110:111], v21, v[108:109]
	v_dual_sub_nc_u32 v21, 30, v17 :: v_dual_bitop2_b32 v17, 3, v110 bitop3:0x40
; %bb.3122:                             ;   in Loop: Header=BB4_3084 Depth=2
	s_or_b32 exec_lo, exec_lo, s43
	v_bfe_i32 v23, v108, 0, 16
                                        ; implicit-def: $vgpr108
	s_delay_alu instid0(VALU_DEP_1) | instskip(NEXT) | instid1(VALU_DEP_1)
	v_and_b32_e32 v23, 0x80000000, v23
	v_lshl_add_u32 v21, v21, 23, v23
	s_delay_alu instid0(VALU_DEP_1) | instskip(NEXT) | instid1(VALU_DEP_1)
	v_lshl_or_b32 v17, v17, 21, v21
	v_add_nc_u32_e32 v21, 0x38000000, v17
                                        ; implicit-def: $vgpr17
.LBB4_3123:                             ;   in Loop: Header=BB4_3084 Depth=2
	s_and_not1_saveexec_b32 s42, s42
; %bb.3124:                             ;   in Loop: Header=BB4_3084 Depth=2
	v_cmp_lt_i16_e32 vcc_lo, -1, v108
	v_cndmask_b32_e32 v21, 0xff800000, v126, vcc_lo
	v_cmp_eq_u32_e32 vcc_lo, 0, v17
	s_delay_alu instid0(VALU_DEP_2)
	v_cndmask_b32_e32 v21, 0x7f800001, v21, vcc_lo
; %bb.3125:                             ;   in Loop: Header=BB4_3084 Depth=2
	s_or_b32 exec_lo, exec_lo, s42
.LBB4_3126:                             ;   in Loop: Header=BB4_3084 Depth=2
	s_delay_alu instid0(SALU_CYCLE_1)
	s_or_b32 exec_lo, exec_lo, s15
.LBB4_3127:                             ;   in Loop: Header=BB4_3084 Depth=2
	s_delay_alu instid0(SALU_CYCLE_1) | instskip(NEXT) | instid1(VALU_DEP_1)
	s_or_b32 exec_lo, exec_lo, s10
	v_dual_max_num_f32 v17, v21, v21 :: v_dual_max_num_f32 v19, v19, v19
	s_delay_alu instid0(VALU_DEP_1)
	v_min_num_f32_e32 v19, v19, v17
.LBB4_3128:                             ;   in Loop: Header=BB4_3084 Depth=2
	s_wait_loadcnt_dscnt 0xf0f
	s_delay_alu instid0(VALU_DEP_1) | instskip(SKIP_2) | instid1(VALU_DEP_2)
	v_and_b32_e32 v108, 0x7f800000, v19
	v_mov_b32_e32 v109, v55
	v_and_b32_e32 v54, 0x7fffff, v19
	v_cmp_ne_u64_e32 vcc_lo, 0x7f800000, v[108:109]
                                        ; implicit-def: $vgpr109
	s_wait_xcnt 0x0
	s_and_saveexec_b32 s10, vcc_lo
	s_delay_alu instid0(SALU_CYCLE_1)
	s_xor_b32 s15, exec_lo, s10
	s_cbranch_execz .LBB4_3146
; %bb.3129:                             ;   in Loop: Header=BB4_3084 Depth=2
	v_and_b32_e32 v108, 0x7fffffff, v19
	v_dual_mov_b32 v109, v55 :: v_dual_lshrrev_b32 v17, 24, v19
	s_delay_alu instid0(VALU_DEP_1) | instskip(NEXT) | instid1(VALU_DEP_2)
	v_cmp_gt_u64_e32 vcc_lo, 0x47600001, v[108:109]
	v_and_b32_e32 v17, 0x80, v17
                                        ; implicit-def: $vgpr109
	s_and_saveexec_b32 s10, vcc_lo
	s_delay_alu instid0(SALU_CYCLE_1)
	s_xor_b32 s42, exec_lo, s10
	s_cbranch_execz .LBB4_3143
; %bb.3130:                             ;   in Loop: Header=BB4_3084 Depth=2
	v_mov_b32_e32 v109, 0
	s_mov_b32 s43, exec_lo
	v_cmpx_ne_u32_e32 0, v19
	s_cbranch_execz .LBB4_3142
; %bb.3131:                             ;   in Loop: Header=BB4_3084 Depth=2
	v_bfe_u32 v19, v19, 23, 8
	v_or_b32_e32 v25, 0x800000, v54
	s_delay_alu instid0(VALU_DEP_2) | instskip(SKIP_1) | instid1(VALU_DEP_2)
	v_sub_nc_u32_e32 v21, 0x71, v19
	v_cmp_gt_u32_e32 vcc_lo, 0x72, v19
	v_cndmask_b32_e32 v21, 0, v21, vcc_lo
	v_cmp_eq_u32_e32 vcc_lo, 0, v19
	s_delay_alu instid0(VALU_DEP_2) | instskip(NEXT) | instid1(VALU_DEP_1)
	v_cndmask_b32_e64 v21, v21, 0x70, vcc_lo
	v_dual_cndmask_b32 v54, v25, v54 :: v_dual_add_nc_u32 v23, 21, v21
	s_delay_alu instid0(VALU_DEP_1) | instskip(SKIP_1) | instid1(VALU_DEP_1)
	v_lshlrev_b64_e64 v[108:109], v23, -1
	v_add_nc_u32_e32 v23, 20, v21
	v_lshlrev_b64_e64 v[110:111], v23, 1
	s_delay_alu instid0(VALU_DEP_3) | instskip(NEXT) | instid1(VALU_DEP_4)
	v_bfi_b32 v83, v109, 0, 0
	v_bfi_b32 v82, v108, 0, v54
	v_lshrrev_b64 v[108:109], v21, v[54:55]
	s_delay_alu instid0(VALU_DEP_2) | instskip(NEXT) | instid1(VALU_DEP_2)
	v_cmp_eq_u64_e64 s10, v[82:83], v[110:111]
	v_mov_b64_e32 v[110:111], v[108:109]
	s_and_saveexec_b32 s44, s10
; %bb.3132:                             ;   in Loop: Header=BB4_3084 Depth=2
	v_bfe_u32 v54, v108, 21, 1
	s_delay_alu instid0(VALU_DEP_1) | instskip(NEXT) | instid1(VALU_DEP_1)
	v_add_nc_u64_e32 v[82:83], v[108:109], v[54:55]
	v_add_nc_u64_e32 v[110:111], -1, v[82:83]
; %bb.3133:                             ;   in Loop: Header=BB4_3084 Depth=2
	s_or_b32 exec_lo, exec_lo, s44
	v_add_nc_u32_e32 v19, 0xffffff81, v19
	v_lshrrev_b32_e32 v23, 23, v108
	s_mov_b32 s10, exec_lo
	s_delay_alu instid0(VALU_DEP_2) | instskip(NEXT) | instid1(VALU_DEP_1)
	v_cndmask_b32_e64 v19, v19, 0xffffff82, vcc_lo
	v_add3_u32 v21, v21, v19, v23
	v_and_b32_e32 v19, 0x1fffff, v110
	s_delay_alu instid0(VALU_DEP_1) | instskip(NEXT) | instid1(VALU_DEP_1)
	v_dual_add_nc_u32 v23, 14, v21 :: v_dual_add_nc_u32 v54, v19, v108
                                        ; implicit-def: $vgpr108_vgpr109
                                        ; implicit-def: $vgpr19
	v_cmpx_ne_u32_e32 0, v23
	s_xor_b32 s10, exec_lo, s10
; %bb.3134:                             ;   in Loop: Header=BB4_3084 Depth=2
	s_delay_alu instid0(VALU_DEP_2) | instskip(SKIP_2) | instid1(VALU_DEP_2)
	v_cmp_lt_u64_e32 vcc_lo, 0xffffff, v[54:55]
	v_add_nc_u32_e32 v19, 15, v21
	v_cndmask_b32_e64 v21, 0, 1, vcc_lo
	v_cndmask_b32_e32 v19, v23, v19, vcc_lo
	s_delay_alu instid0(VALU_DEP_2)
	v_lshrrev_b64 v[108:109], v21, v[54:55]
; %bb.3135:                             ;   in Loop: Header=BB4_3084 Depth=2
	s_and_not1_saveexec_b32 s10, s10
; %bb.3136:                             ;   in Loop: Header=BB4_3084 Depth=2
	v_mov_b64_e32 v[108:109], v[54:55]
	v_bfe_u32 v19, v54, 23, 1
; %bb.3137:                             ;   in Loop: Header=BB4_3084 Depth=2
	s_or_b32 exec_lo, exec_lo, s10
	s_delay_alu instid0(VALU_DEP_2) | instskip(NEXT) | instid1(VALU_DEP_2)
	v_lshrrev_b64 v[82:83], 21, v[108:109]
	v_cmp_gt_i32_e32 vcc_lo, 32, v19
	v_cmp_ne_u32_e64 s10, 0, v19
	s_delay_alu instid0(VALU_DEP_3) | instskip(NEXT) | instid1(VALU_DEP_1)
	v_dual_cndmask_b32 v109, 0, v83 :: v_dual_cndmask_b32 v108, 3, v82
	v_cmp_ne_u64_e32 vcc_lo, 0, v[108:109]
                                        ; implicit-def: $vgpr109
	s_or_b32 s10, s10, vcc_lo
	s_delay_alu instid0(SALU_CYCLE_1) | instskip(NEXT) | instid1(SALU_CYCLE_1)
	s_and_saveexec_b32 s44, s10
	s_xor_b32 s10, exec_lo, s44
; %bb.3138:                             ;   in Loop: Header=BB4_3084 Depth=2
	v_min_i32_e32 v19, 31, v19
	s_delay_alu instid0(VALU_DEP_1) | instskip(NEXT) | instid1(VALU_DEP_1)
	v_lshl_or_b32 v17, v19, 2, v17
	v_and_or_b32 v109, v108, 3, v17
                                        ; implicit-def: $vgpr17
; %bb.3139:                             ;   in Loop: Header=BB4_3084 Depth=2
	s_and_not1_saveexec_b32 s10, s10
; %bb.3140:                             ;   in Loop: Header=BB4_3084 Depth=2
	v_mov_b32_e32 v109, v17
; %bb.3141:                             ;   in Loop: Header=BB4_3084 Depth=2
	s_or_b32 exec_lo, exec_lo, s10
.LBB4_3142:                             ;   in Loop: Header=BB4_3084 Depth=2
	s_delay_alu instid0(SALU_CYCLE_1)
	s_or_b32 exec_lo, exec_lo, s43
                                        ; implicit-def: $vgpr17
.LBB4_3143:                             ;   in Loop: Header=BB4_3084 Depth=2
	s_and_not1_saveexec_b32 s10, s42
; %bb.3144:                             ;   in Loop: Header=BB4_3084 Depth=2
	v_or_b32_e32 v109, 0x7b, v17
; %bb.3145:                             ;   in Loop: Header=BB4_3084 Depth=2
	s_or_b32 exec_lo, exec_lo, s10
                                        ; implicit-def: $vgpr19
.LBB4_3146:                             ;   in Loop: Header=BB4_3084 Depth=2
	s_and_not1_saveexec_b32 s10, s15
	s_cbranch_execz .LBB4_3152
; %bb.3147:                             ;   in Loop: Header=BB4_3084 Depth=2
	s_mov_b32 s15, exec_lo
                                        ; implicit-def: $vgpr109
	v_cmpx_ne_u64_e32 0, v[54:55]
	s_xor_b32 s15, exec_lo, s15
; %bb.3148:                             ;   in Loop: Header=BB4_3084 Depth=2
	v_lshrrev_b32_e32 v17, 24, v19
                                        ; implicit-def: $vgpr19
	s_delay_alu instid0(VALU_DEP_1)
	v_or_b32_e32 v109, 0x7f, v17
; %bb.3149:                             ;   in Loop: Header=BB4_3084 Depth=2
	s_and_not1_saveexec_b32 s15, s15
; %bb.3150:                             ;   in Loop: Header=BB4_3084 Depth=2
	v_cmp_lt_i32_e32 vcc_lo, -1, v19
	v_cndmask_b32_e64 v109, -4, 0x7c, vcc_lo
; %bb.3151:                             ;   in Loop: Header=BB4_3084 Depth=2
	s_or_b32 exec_lo, exec_lo, s15
.LBB4_3152:                             ;   in Loop: Header=BB4_3084 Depth=2
	s_delay_alu instid0(SALU_CYCLE_1)
	s_or_b32 exec_lo, exec_lo, s10
	v_and_b32_e32 v17, 0xff, v106
	v_cmp_ne_u16_e64 s10, 0, v106
	s_and_not1_b32 vcc_lo, exec_lo, s14
	s_mov_b32 s15, -1
                                        ; implicit-def: $vgpr19
	s_cbranch_vccnz .LBB4_3174
; %bb.3153:                             ;   in Loop: Header=BB4_3084 Depth=2
	v_dual_mov_b32 v21, 0 :: v_dual_mov_b32 v19, 0
	s_and_saveexec_b32 s15, s10
	s_cbranch_execz .LBB4_3163
; %bb.3154:                             ;   in Loop: Header=BB4_3084 Depth=2
	v_bfrev_b32_e32 v19, 1
	s_mov_b32 s42, exec_lo
	v_cmpx_ne_u16_e32 0xff80, v106
	s_cbranch_execz .LBB4_3162
; %bb.3155:                             ;   in Loop: Header=BB4_3084 Depth=2
	v_and_b32_e32 v19, 0x7c, v17
	v_and_b32_e32 v23, 3, v17
	s_delay_alu instid0(VALU_DEP_2) | instskip(SKIP_1) | instid1(SALU_CYCLE_1)
	v_cmp_ne_u32_e32 vcc_lo, 0x7c, v19
                                        ; implicit-def: $vgpr19
	s_and_saveexec_b32 s43, vcc_lo
	s_xor_b32 s43, exec_lo, s43
	s_cbranch_execz .LBB4_3159
; %bb.3156:                             ;   in Loop: Header=BB4_3084 Depth=2
	v_bfe_u32 v19, v17, 2, 5
	s_mov_b32 s44, exec_lo
	s_delay_alu instid0(VALU_DEP_1)
	v_cmpx_eq_u32_e32 0, v19
	s_cbranch_execz .LBB4_3158
; %bb.3157:                             ;   in Loop: Header=BB4_3084 Depth=2
	v_clz_i32_u32_e32 v19, v23
	s_delay_alu instid0(VALU_DEP_1) | instskip(SKIP_1) | instid1(VALU_DEP_2)
	v_min_u32_e32 v19, 32, v19
	v_mov_b32_e32 v107, v55
	v_subrev_nc_u32_e32 v23, 29, v19
	v_sub_nc_u32_e32 v19, 30, v19
	s_delay_alu instid0(VALU_DEP_2) | instskip(NEXT) | instid1(VALU_DEP_1)
	v_lshlrev_b64_e32 v[82:83], v23, v[106:107]
	v_and_b32_e32 v23, 3, v82
.LBB4_3158:                             ;   in Loop: Header=BB4_3084 Depth=2
	s_or_b32 exec_lo, exec_lo, s44
	v_bfe_i32 v25, v106, 0, 16
	s_delay_alu instid0(VALU_DEP_1) | instskip(NEXT) | instid1(VALU_DEP_1)
	v_and_b32_e32 v25, 0x80000000, v25
	v_lshl_add_u32 v19, v19, 23, v25
	s_delay_alu instid0(VALU_DEP_1) | instskip(NEXT) | instid1(VALU_DEP_1)
	v_lshl_or_b32 v19, v23, 21, v19
                                        ; implicit-def: $vgpr23
	v_add_nc_u32_e32 v19, 0x38000000, v19
.LBB4_3159:                             ;   in Loop: Header=BB4_3084 Depth=2
	s_and_not1_saveexec_b32 s43, s43
; %bb.3160:                             ;   in Loop: Header=BB4_3084 Depth=2
	v_cmp_lt_i16_e32 vcc_lo, -1, v106
	v_cndmask_b32_e32 v19, 0xff800000, v126, vcc_lo
	v_cmp_eq_u32_e32 vcc_lo, 0, v23
	s_delay_alu instid0(VALU_DEP_2)
	v_cndmask_b32_e32 v19, 0x7f800001, v19, vcc_lo
; %bb.3161:                             ;   in Loop: Header=BB4_3084 Depth=2
	s_or_b32 exec_lo, exec_lo, s43
.LBB4_3162:                             ;   in Loop: Header=BB4_3084 Depth=2
	s_delay_alu instid0(SALU_CYCLE_1)
	s_or_b32 exec_lo, exec_lo, s42
.LBB4_3163:                             ;   in Loop: Header=BB4_3084 Depth=2
	s_delay_alu instid0(SALU_CYCLE_1) | instskip(NEXT) | instid1(SALU_CYCLE_1)
	s_or_b32 exec_lo, exec_lo, s15
	s_mov_b32 s15, exec_lo
	s_wait_loadcnt_dscnt 0xe0e
	v_cmpx_ne_u16_e32 0, v104
	s_cbranch_execz .LBB4_3173
; %bb.3164:                             ;   in Loop: Header=BB4_3084 Depth=2
	v_bfrev_b32_e32 v21, 1
	s_mov_b32 s42, exec_lo
	v_cmpx_ne_u16_e32 0xff80, v104
	s_cbranch_execz .LBB4_3172
; %bb.3165:                             ;   in Loop: Header=BB4_3084 Depth=2
	v_and_b32_e32 v21, 0x7c, v104
	v_and_b32_e32 v23, 3, v104
	s_delay_alu instid0(VALU_DEP_2) | instskip(SKIP_1) | instid1(SALU_CYCLE_1)
	v_cmp_ne_u32_e32 vcc_lo, 0x7c, v21
                                        ; implicit-def: $vgpr21
	s_and_saveexec_b32 s43, vcc_lo
	s_xor_b32 s43, exec_lo, s43
	s_cbranch_execz .LBB4_3169
; %bb.3166:                             ;   in Loop: Header=BB4_3084 Depth=2
	v_and_b32_e32 v21, 0xff, v104
	s_mov_b32 s44, exec_lo
	s_delay_alu instid0(VALU_DEP_1) | instskip(NEXT) | instid1(VALU_DEP_1)
	v_bfe_u32 v21, v21, 2, 5
	v_cmpx_eq_u32_e32 0, v21
	s_cbranch_execz .LBB4_3168
; %bb.3167:                             ;   in Loop: Header=BB4_3084 Depth=2
	v_clz_i32_u32_e32 v21, v23
	s_delay_alu instid0(VALU_DEP_1) | instskip(SKIP_1) | instid1(VALU_DEP_2)
	v_min_u32_e32 v21, 32, v21
	v_mov_b32_e32 v105, v55
	v_subrev_nc_u32_e32 v23, 29, v21
	v_sub_nc_u32_e32 v21, 30, v21
	s_delay_alu instid0(VALU_DEP_2) | instskip(NEXT) | instid1(VALU_DEP_1)
	v_lshlrev_b64_e32 v[82:83], v23, v[104:105]
	v_and_b32_e32 v23, 3, v82
.LBB4_3168:                             ;   in Loop: Header=BB4_3084 Depth=2
	s_or_b32 exec_lo, exec_lo, s44
	v_bfe_i32 v25, v104, 0, 16
	s_delay_alu instid0(VALU_DEP_1) | instskip(NEXT) | instid1(VALU_DEP_1)
	v_and_b32_e32 v25, 0x80000000, v25
	v_lshl_add_u32 v21, v21, 23, v25
	s_delay_alu instid0(VALU_DEP_1) | instskip(NEXT) | instid1(VALU_DEP_1)
	v_lshl_or_b32 v21, v23, 21, v21
                                        ; implicit-def: $vgpr23
	v_add_nc_u32_e32 v21, 0x38000000, v21
.LBB4_3169:                             ;   in Loop: Header=BB4_3084 Depth=2
	s_and_not1_saveexec_b32 s43, s43
; %bb.3170:                             ;   in Loop: Header=BB4_3084 Depth=2
	v_cmp_lt_i16_e32 vcc_lo, -1, v104
	v_cndmask_b32_e32 v21, 0xff800000, v126, vcc_lo
	v_cmp_eq_u32_e32 vcc_lo, 0, v23
	s_delay_alu instid0(VALU_DEP_2)
	v_cndmask_b32_e32 v21, 0x7f800001, v21, vcc_lo
; %bb.3171:                             ;   in Loop: Header=BB4_3084 Depth=2
	s_or_b32 exec_lo, exec_lo, s43
.LBB4_3172:                             ;   in Loop: Header=BB4_3084 Depth=2
	s_delay_alu instid0(SALU_CYCLE_1)
	s_or_b32 exec_lo, exec_lo, s42
.LBB4_3173:                             ;   in Loop: Header=BB4_3084 Depth=2
	s_delay_alu instid0(SALU_CYCLE_1) | instskip(NEXT) | instid1(VALU_DEP_1)
	s_or_b32 exec_lo, exec_lo, s15
	v_dual_max_num_f32 v21, v21, v21 :: v_dual_max_num_f32 v19, v19, v19
	s_mov_b32 s15, 0
	s_delay_alu instid0(VALU_DEP_1)
	v_max_num_f32_e32 v19, v19, v21
.LBB4_3174:                             ;   in Loop: Header=BB4_3084 Depth=2
	s_and_b32 vcc_lo, exec_lo, s15
	s_cbranch_vccz .LBB4_3196
; %bb.3175:                             ;   in Loop: Header=BB4_3084 Depth=2
	v_dual_mov_b32 v21, 0 :: v_dual_mov_b32 v19, 0
	s_and_saveexec_b32 s15, s10
	s_cbranch_execz .LBB4_3185
; %bb.3176:                             ;   in Loop: Header=BB4_3084 Depth=2
	v_bfrev_b32_e32 v19, 1
	s_mov_b32 s10, exec_lo
	v_cmpx_ne_u16_e32 0xff80, v106
	s_cbranch_execz .LBB4_3184
; %bb.3177:                             ;   in Loop: Header=BB4_3084 Depth=2
	v_and_b32_e32 v19, 0x7c, v17
	v_and_b32_e32 v23, 3, v17
	s_delay_alu instid0(VALU_DEP_2) | instskip(SKIP_1) | instid1(SALU_CYCLE_1)
	v_cmp_ne_u32_e32 vcc_lo, 0x7c, v19
                                        ; implicit-def: $vgpr19
	s_and_saveexec_b32 s42, vcc_lo
	s_xor_b32 s42, exec_lo, s42
	s_cbranch_execz .LBB4_3181
; %bb.3178:                             ;   in Loop: Header=BB4_3084 Depth=2
	v_bfe_u32 v17, v17, 2, 5
	s_mov_b32 s43, exec_lo
	s_delay_alu instid0(VALU_DEP_1)
	v_cmpx_eq_u32_e32 0, v17
	s_cbranch_execz .LBB4_3180
; %bb.3179:                             ;   in Loop: Header=BB4_3084 Depth=2
	v_clz_i32_u32_e32 v17, v23
	s_delay_alu instid0(VALU_DEP_1) | instskip(SKIP_1) | instid1(VALU_DEP_2)
	v_min_u32_e32 v17, 32, v17
	v_mov_b32_e32 v107, v55
	v_subrev_nc_u32_e32 v19, 29, v17
	v_sub_nc_u32_e32 v17, 30, v17
	s_delay_alu instid0(VALU_DEP_2) | instskip(NEXT) | instid1(VALU_DEP_1)
	v_lshlrev_b64_e32 v[82:83], v19, v[106:107]
	v_and_b32_e32 v23, 3, v82
.LBB4_3180:                             ;   in Loop: Header=BB4_3084 Depth=2
	s_or_b32 exec_lo, exec_lo, s43
	v_bfe_i32 v19, v106, 0, 16
                                        ; implicit-def: $vgpr106
	s_delay_alu instid0(VALU_DEP_1) | instskip(NEXT) | instid1(VALU_DEP_1)
	v_and_b32_e32 v19, 0x80000000, v19
	v_lshl_add_u32 v17, v17, 23, v19
	s_delay_alu instid0(VALU_DEP_1) | instskip(NEXT) | instid1(VALU_DEP_1)
	v_lshl_or_b32 v17, v23, 21, v17
                                        ; implicit-def: $vgpr23
	v_add_nc_u32_e32 v19, 0x38000000, v17
.LBB4_3181:                             ;   in Loop: Header=BB4_3084 Depth=2
	s_and_not1_saveexec_b32 s42, s42
; %bb.3182:                             ;   in Loop: Header=BB4_3084 Depth=2
	v_cmp_lt_i16_e32 vcc_lo, -1, v106
	v_cndmask_b32_e32 v17, 0xff800000, v126, vcc_lo
	v_cmp_eq_u32_e32 vcc_lo, 0, v23
	s_delay_alu instid0(VALU_DEP_2)
	v_cndmask_b32_e32 v19, 0x7f800001, v17, vcc_lo
; %bb.3183:                             ;   in Loop: Header=BB4_3084 Depth=2
	s_or_b32 exec_lo, exec_lo, s42
.LBB4_3184:                             ;   in Loop: Header=BB4_3084 Depth=2
	s_delay_alu instid0(SALU_CYCLE_1)
	s_or_b32 exec_lo, exec_lo, s10
.LBB4_3185:                             ;   in Loop: Header=BB4_3084 Depth=2
	s_delay_alu instid0(SALU_CYCLE_1) | instskip(NEXT) | instid1(SALU_CYCLE_1)
	s_or_b32 exec_lo, exec_lo, s15
	s_mov_b32 s10, exec_lo
	s_wait_loadcnt_dscnt 0xe0e
	v_cmpx_ne_u16_e32 0, v104
	s_cbranch_execz .LBB4_3195
; %bb.3186:                             ;   in Loop: Header=BB4_3084 Depth=2
	v_bfrev_b32_e32 v21, 1
	s_mov_b32 s15, exec_lo
	v_cmpx_ne_u16_e32 0xff80, v104
	s_cbranch_execz .LBB4_3194
; %bb.3187:                             ;   in Loop: Header=BB4_3084 Depth=2
	v_and_b32_e32 v21, 0x7c, v104
	v_and_b32_e32 v17, 3, v104
	s_delay_alu instid0(VALU_DEP_2) | instskip(SKIP_1) | instid1(SALU_CYCLE_1)
	v_cmp_ne_u32_e32 vcc_lo, 0x7c, v21
                                        ; implicit-def: $vgpr21
	s_and_saveexec_b32 s42, vcc_lo
	s_xor_b32 s42, exec_lo, s42
	s_cbranch_execz .LBB4_3191
; %bb.3188:                             ;   in Loop: Header=BB4_3084 Depth=2
	v_and_b32_e32 v21, 0xff, v104
	s_mov_b32 s43, exec_lo
	s_delay_alu instid0(VALU_DEP_1) | instskip(NEXT) | instid1(VALU_DEP_1)
	v_bfe_u32 v21, v21, 2, 5
	v_cmpx_eq_u32_e32 0, v21
; %bb.3189:                             ;   in Loop: Header=BB4_3084 Depth=2
	v_clz_i32_u32_e32 v17, v17
	s_delay_alu instid0(VALU_DEP_1) | instskip(SKIP_1) | instid1(VALU_DEP_2)
	v_min_u32_e32 v17, 32, v17
	v_mov_b32_e32 v105, v55
	v_subrev_nc_u32_e32 v21, 29, v17
	s_delay_alu instid0(VALU_DEP_1) | instskip(NEXT) | instid1(VALU_DEP_1)
	v_lshlrev_b64_e32 v[82:83], v21, v[104:105]
	v_dual_sub_nc_u32 v21, 30, v17 :: v_dual_bitop2_b32 v17, 3, v82 bitop3:0x40
; %bb.3190:                             ;   in Loop: Header=BB4_3084 Depth=2
	s_or_b32 exec_lo, exec_lo, s43
	v_bfe_i32 v23, v104, 0, 16
                                        ; implicit-def: $vgpr104
	s_delay_alu instid0(VALU_DEP_1) | instskip(NEXT) | instid1(VALU_DEP_1)
	v_and_b32_e32 v23, 0x80000000, v23
	v_lshl_add_u32 v21, v21, 23, v23
	s_delay_alu instid0(VALU_DEP_1) | instskip(NEXT) | instid1(VALU_DEP_1)
	v_lshl_or_b32 v17, v17, 21, v21
	v_add_nc_u32_e32 v21, 0x38000000, v17
                                        ; implicit-def: $vgpr17
.LBB4_3191:                             ;   in Loop: Header=BB4_3084 Depth=2
	s_and_not1_saveexec_b32 s42, s42
; %bb.3192:                             ;   in Loop: Header=BB4_3084 Depth=2
	v_cmp_lt_i16_e32 vcc_lo, -1, v104
	v_cndmask_b32_e32 v21, 0xff800000, v126, vcc_lo
	v_cmp_eq_u32_e32 vcc_lo, 0, v17
	s_delay_alu instid0(VALU_DEP_2)
	v_cndmask_b32_e32 v21, 0x7f800001, v21, vcc_lo
; %bb.3193:                             ;   in Loop: Header=BB4_3084 Depth=2
	s_or_b32 exec_lo, exec_lo, s42
.LBB4_3194:                             ;   in Loop: Header=BB4_3084 Depth=2
	s_delay_alu instid0(SALU_CYCLE_1)
	s_or_b32 exec_lo, exec_lo, s15
.LBB4_3195:                             ;   in Loop: Header=BB4_3084 Depth=2
	s_delay_alu instid0(SALU_CYCLE_1) | instskip(NEXT) | instid1(VALU_DEP_1)
	s_or_b32 exec_lo, exec_lo, s10
	v_dual_max_num_f32 v17, v21, v21 :: v_dual_max_num_f32 v19, v19, v19
	s_delay_alu instid0(VALU_DEP_1)
	v_min_num_f32_e32 v19, v19, v17
.LBB4_3196:                             ;   in Loop: Header=BB4_3084 Depth=2
	s_delay_alu instid0(VALU_DEP_1) | instskip(SKIP_3) | instid1(VALU_DEP_2)
	v_and_b32_e32 v82, 0x7f800000, v19
	v_mov_b32_e32 v83, v55
	v_and_b32_e32 v54, 0x7fffff, v19
                                        ; implicit-def: $vgpr105
	s_mov_b32 s10, exec_lo
	v_cmpx_ne_u64_e32 0x7f800000, v[82:83]
	s_xor_b32 s15, exec_lo, s10
	s_cbranch_execz .LBB4_3214
; %bb.3197:                             ;   in Loop: Header=BB4_3084 Depth=2
	v_dual_mov_b32 v83, v55 :: v_dual_lshrrev_b32 v17, 24, v19
	v_and_b32_e32 v82, 0x7fffffff, v19
                                        ; implicit-def: $vgpr105
	s_mov_b32 s10, exec_lo
	s_delay_alu instid0(VALU_DEP_2) | instskip(NEXT) | instid1(VALU_DEP_2)
	v_and_b32_e32 v17, 0x80, v17
	v_cmpx_gt_u64_e32 0x47600001, v[82:83]
	s_xor_b32 s42, exec_lo, s10
	s_cbranch_execz .LBB4_3211
; %bb.3198:                             ;   in Loop: Header=BB4_3084 Depth=2
	v_mov_b32_e32 v105, 0
	s_mov_b32 s43, exec_lo
	v_cmpx_ne_u32_e32 0, v19
	s_cbranch_execz .LBB4_3210
; %bb.3199:                             ;   in Loop: Header=BB4_3084 Depth=2
	v_bfe_u32 v19, v19, 23, 8
	v_or_b32_e32 v25, 0x800000, v54
	s_delay_alu instid0(VALU_DEP_2) | instskip(SKIP_1) | instid1(VALU_DEP_2)
	v_sub_nc_u32_e32 v21, 0x71, v19
	v_cmp_gt_u32_e32 vcc_lo, 0x72, v19
	v_cndmask_b32_e32 v21, 0, v21, vcc_lo
	v_cmp_eq_u32_e32 vcc_lo, 0, v19
	s_delay_alu instid0(VALU_DEP_2) | instskip(NEXT) | instid1(VALU_DEP_1)
	v_cndmask_b32_e64 v21, v21, 0x70, vcc_lo
	v_dual_cndmask_b32 v54, v25, v54 :: v_dual_add_nc_u32 v23, 21, v21
	s_wait_loadcnt_dscnt 0xe0e
	s_delay_alu instid0(VALU_DEP_1) | instskip(NEXT) | instid1(VALU_DEP_2)
	v_lshrrev_b64 v[104:105], v21, v[54:55]
	v_lshlrev_b64_e64 v[82:83], v23, -1
	v_add_nc_u32_e32 v23, 20, v21
	s_delay_alu instid0(VALU_DEP_1) | instskip(NEXT) | instid1(VALU_DEP_3)
	v_lshlrev_b64_e64 v[106:107], v23, 1
	v_bfi_b32 v83, v83, 0, 0
	s_delay_alu instid0(VALU_DEP_4) | instskip(NEXT) | instid1(VALU_DEP_1)
	v_bfi_b32 v82, v82, 0, v54
	v_cmp_eq_u64_e64 s10, v[82:83], v[106:107]
	v_mov_b64_e32 v[106:107], v[104:105]
	s_and_saveexec_b32 s44, s10
; %bb.3200:                             ;   in Loop: Header=BB4_3084 Depth=2
	v_bfe_u32 v54, v104, 21, 1
	s_delay_alu instid0(VALU_DEP_1) | instskip(NEXT) | instid1(VALU_DEP_1)
	v_add_nc_u64_e32 v[82:83], v[104:105], v[54:55]
	v_add_nc_u64_e32 v[106:107], -1, v[82:83]
; %bb.3201:                             ;   in Loop: Header=BB4_3084 Depth=2
	s_or_b32 exec_lo, exec_lo, s44
	v_add_nc_u32_e32 v19, 0xffffff81, v19
	v_lshrrev_b32_e32 v23, 23, v104
	s_mov_b32 s10, exec_lo
	s_delay_alu instid0(VALU_DEP_2) | instskip(NEXT) | instid1(VALU_DEP_1)
	v_cndmask_b32_e64 v19, v19, 0xffffff82, vcc_lo
	v_add3_u32 v21, v21, v19, v23
	v_and_b32_e32 v19, 0x1fffff, v106
	s_delay_alu instid0(VALU_DEP_1) | instskip(NEXT) | instid1(VALU_DEP_1)
	v_dual_add_nc_u32 v23, 14, v21 :: v_dual_add_nc_u32 v54, v19, v104
                                        ; implicit-def: $vgpr104_vgpr105
                                        ; implicit-def: $vgpr19
	v_cmpx_ne_u32_e32 0, v23
	s_xor_b32 s10, exec_lo, s10
; %bb.3202:                             ;   in Loop: Header=BB4_3084 Depth=2
	s_delay_alu instid0(VALU_DEP_2) | instskip(SKIP_2) | instid1(VALU_DEP_2)
	v_cmp_lt_u64_e32 vcc_lo, 0xffffff, v[54:55]
	v_add_nc_u32_e32 v19, 15, v21
	v_cndmask_b32_e64 v21, 0, 1, vcc_lo
	v_cndmask_b32_e32 v19, v23, v19, vcc_lo
	s_delay_alu instid0(VALU_DEP_2)
	v_lshrrev_b64 v[104:105], v21, v[54:55]
; %bb.3203:                             ;   in Loop: Header=BB4_3084 Depth=2
	s_and_not1_saveexec_b32 s10, s10
; %bb.3204:                             ;   in Loop: Header=BB4_3084 Depth=2
	v_mov_b64_e32 v[104:105], v[54:55]
	v_bfe_u32 v19, v54, 23, 1
; %bb.3205:                             ;   in Loop: Header=BB4_3084 Depth=2
	s_or_b32 exec_lo, exec_lo, s10
	s_delay_alu instid0(VALU_DEP_2) | instskip(NEXT) | instid1(VALU_DEP_2)
	v_lshrrev_b64 v[82:83], 21, v[104:105]
	v_cmp_gt_i32_e32 vcc_lo, 32, v19
	v_cmp_ne_u32_e64 s10, 0, v19
	s_delay_alu instid0(VALU_DEP_3) | instskip(NEXT) | instid1(VALU_DEP_1)
	v_dual_cndmask_b32 v105, 0, v83 :: v_dual_cndmask_b32 v104, 3, v82
	v_cmp_ne_u64_e32 vcc_lo, 0, v[104:105]
                                        ; implicit-def: $vgpr105
	s_or_b32 s10, s10, vcc_lo
	s_delay_alu instid0(SALU_CYCLE_1) | instskip(NEXT) | instid1(SALU_CYCLE_1)
	s_and_saveexec_b32 s44, s10
	s_xor_b32 s10, exec_lo, s44
; %bb.3206:                             ;   in Loop: Header=BB4_3084 Depth=2
	v_min_i32_e32 v19, 31, v19
	s_delay_alu instid0(VALU_DEP_1) | instskip(NEXT) | instid1(VALU_DEP_1)
	v_lshl_or_b32 v17, v19, 2, v17
	v_and_or_b32 v105, v104, 3, v17
                                        ; implicit-def: $vgpr17
; %bb.3207:                             ;   in Loop: Header=BB4_3084 Depth=2
	s_and_not1_saveexec_b32 s10, s10
; %bb.3208:                             ;   in Loop: Header=BB4_3084 Depth=2
	v_mov_b32_e32 v105, v17
; %bb.3209:                             ;   in Loop: Header=BB4_3084 Depth=2
	s_or_b32 exec_lo, exec_lo, s10
.LBB4_3210:                             ;   in Loop: Header=BB4_3084 Depth=2
	s_delay_alu instid0(SALU_CYCLE_1)
	s_or_b32 exec_lo, exec_lo, s43
                                        ; implicit-def: $vgpr17
.LBB4_3211:                             ;   in Loop: Header=BB4_3084 Depth=2
	s_and_not1_saveexec_b32 s10, s42
; %bb.3212:                             ;   in Loop: Header=BB4_3084 Depth=2
	v_or_b32_e32 v105, 0x7b, v17
; %bb.3213:                             ;   in Loop: Header=BB4_3084 Depth=2
	s_or_b32 exec_lo, exec_lo, s10
                                        ; implicit-def: $vgpr19
.LBB4_3214:                             ;   in Loop: Header=BB4_3084 Depth=2
	s_and_not1_saveexec_b32 s10, s15
	s_cbranch_execz .LBB4_3220
; %bb.3215:                             ;   in Loop: Header=BB4_3084 Depth=2
	s_mov_b32 s15, exec_lo
                                        ; implicit-def: $vgpr105
	v_cmpx_ne_u64_e32 0, v[54:55]
	s_xor_b32 s15, exec_lo, s15
; %bb.3216:                             ;   in Loop: Header=BB4_3084 Depth=2
	v_lshrrev_b32_e32 v17, 24, v19
                                        ; implicit-def: $vgpr19
	s_delay_alu instid0(VALU_DEP_1)
	v_or_b32_e32 v105, 0x7f, v17
; %bb.3217:                             ;   in Loop: Header=BB4_3084 Depth=2
	s_and_not1_saveexec_b32 s15, s15
; %bb.3218:                             ;   in Loop: Header=BB4_3084 Depth=2
	v_cmp_lt_i32_e32 vcc_lo, -1, v19
	v_cndmask_b32_e64 v105, -4, 0x7c, vcc_lo
; %bb.3219:                             ;   in Loop: Header=BB4_3084 Depth=2
	s_or_b32 exec_lo, exec_lo, s15
.LBB4_3220:                             ;   in Loop: Header=BB4_3084 Depth=2
	s_delay_alu instid0(SALU_CYCLE_1)
	s_or_b32 exec_lo, exec_lo, s10
	v_and_b32_e32 v17, 0xff, v94
	v_cmp_ne_u16_e64 s10, 0, v94
	s_and_not1_b32 vcc_lo, exec_lo, s14
	s_mov_b32 s15, -1
                                        ; implicit-def: $vgpr19
	s_cbranch_vccnz .LBB4_3242
; %bb.3221:                             ;   in Loop: Header=BB4_3084 Depth=2
	v_dual_mov_b32 v21, 0 :: v_dual_mov_b32 v19, 0
	s_and_saveexec_b32 s15, s10
	s_cbranch_execz .LBB4_3231
; %bb.3222:                             ;   in Loop: Header=BB4_3084 Depth=2
	v_bfrev_b32_e32 v19, 1
	s_mov_b32 s42, exec_lo
	v_cmpx_ne_u16_e32 0xff80, v94
	s_cbranch_execz .LBB4_3230
; %bb.3223:                             ;   in Loop: Header=BB4_3084 Depth=2
	v_and_b32_e32 v19, 0x7c, v17
	v_and_b32_e32 v23, 3, v17
	s_delay_alu instid0(VALU_DEP_2) | instskip(SKIP_1) | instid1(SALU_CYCLE_1)
	v_cmp_ne_u32_e32 vcc_lo, 0x7c, v19
                                        ; implicit-def: $vgpr19
	s_and_saveexec_b32 s43, vcc_lo
	s_xor_b32 s43, exec_lo, s43
	s_cbranch_execz .LBB4_3227
; %bb.3224:                             ;   in Loop: Header=BB4_3084 Depth=2
	v_bfe_u32 v19, v17, 2, 5
	s_mov_b32 s44, exec_lo
	s_delay_alu instid0(VALU_DEP_1)
	v_cmpx_eq_u32_e32 0, v19
	s_cbranch_execz .LBB4_3226
; %bb.3225:                             ;   in Loop: Header=BB4_3084 Depth=2
	v_clz_i32_u32_e32 v19, v23
	s_delay_alu instid0(VALU_DEP_1) | instskip(SKIP_1) | instid1(VALU_DEP_2)
	v_min_u32_e32 v19, 32, v19
	v_mov_b32_e32 v95, v55
	v_subrev_nc_u32_e32 v23, 29, v19
	v_sub_nc_u32_e32 v19, 30, v19
	s_delay_alu instid0(VALU_DEP_2) | instskip(NEXT) | instid1(VALU_DEP_1)
	v_lshlrev_b64_e32 v[82:83], v23, v[94:95]
	v_and_b32_e32 v23, 3, v82
.LBB4_3226:                             ;   in Loop: Header=BB4_3084 Depth=2
	s_or_b32 exec_lo, exec_lo, s44
	v_bfe_i32 v25, v94, 0, 16
	s_delay_alu instid0(VALU_DEP_1) | instskip(NEXT) | instid1(VALU_DEP_1)
	v_and_b32_e32 v25, 0x80000000, v25
	v_lshl_add_u32 v19, v19, 23, v25
	s_delay_alu instid0(VALU_DEP_1) | instskip(NEXT) | instid1(VALU_DEP_1)
	v_lshl_or_b32 v19, v23, 21, v19
                                        ; implicit-def: $vgpr23
	v_add_nc_u32_e32 v19, 0x38000000, v19
.LBB4_3227:                             ;   in Loop: Header=BB4_3084 Depth=2
	s_and_not1_saveexec_b32 s43, s43
; %bb.3228:                             ;   in Loop: Header=BB4_3084 Depth=2
	v_cmp_lt_i16_e32 vcc_lo, -1, v94
	v_cndmask_b32_e32 v19, 0xff800000, v126, vcc_lo
	v_cmp_eq_u32_e32 vcc_lo, 0, v23
	s_delay_alu instid0(VALU_DEP_2)
	v_cndmask_b32_e32 v19, 0x7f800001, v19, vcc_lo
; %bb.3229:                             ;   in Loop: Header=BB4_3084 Depth=2
	s_or_b32 exec_lo, exec_lo, s43
.LBB4_3230:                             ;   in Loop: Header=BB4_3084 Depth=2
	s_delay_alu instid0(SALU_CYCLE_1)
	s_or_b32 exec_lo, exec_lo, s42
.LBB4_3231:                             ;   in Loop: Header=BB4_3084 Depth=2
	s_delay_alu instid0(SALU_CYCLE_1) | instskip(NEXT) | instid1(SALU_CYCLE_1)
	s_or_b32 exec_lo, exec_lo, s15
	s_mov_b32 s15, exec_lo
	s_wait_loadcnt_dscnt 0xd0d
	v_cmpx_ne_u16_e32 0, v92
	s_cbranch_execz .LBB4_3241
; %bb.3232:                             ;   in Loop: Header=BB4_3084 Depth=2
	v_bfrev_b32_e32 v21, 1
	s_mov_b32 s42, exec_lo
	v_cmpx_ne_u16_e32 0xff80, v92
	s_cbranch_execz .LBB4_3240
; %bb.3233:                             ;   in Loop: Header=BB4_3084 Depth=2
	v_and_b32_e32 v21, 0x7c, v92
	v_and_b32_e32 v23, 3, v92
	s_delay_alu instid0(VALU_DEP_2) | instskip(SKIP_1) | instid1(SALU_CYCLE_1)
	v_cmp_ne_u32_e32 vcc_lo, 0x7c, v21
                                        ; implicit-def: $vgpr21
	s_and_saveexec_b32 s43, vcc_lo
	s_xor_b32 s43, exec_lo, s43
	s_cbranch_execz .LBB4_3237
; %bb.3234:                             ;   in Loop: Header=BB4_3084 Depth=2
	v_and_b32_e32 v21, 0xff, v92
	s_mov_b32 s44, exec_lo
	s_delay_alu instid0(VALU_DEP_1) | instskip(NEXT) | instid1(VALU_DEP_1)
	v_bfe_u32 v21, v21, 2, 5
	v_cmpx_eq_u32_e32 0, v21
	s_cbranch_execz .LBB4_3236
; %bb.3235:                             ;   in Loop: Header=BB4_3084 Depth=2
	v_clz_i32_u32_e32 v21, v23
	s_delay_alu instid0(VALU_DEP_1) | instskip(SKIP_1) | instid1(VALU_DEP_2)
	v_min_u32_e32 v21, 32, v21
	v_mov_b32_e32 v93, v55
	v_subrev_nc_u32_e32 v23, 29, v21
	v_sub_nc_u32_e32 v21, 30, v21
	s_delay_alu instid0(VALU_DEP_2) | instskip(NEXT) | instid1(VALU_DEP_1)
	v_lshlrev_b64_e32 v[82:83], v23, v[92:93]
	v_and_b32_e32 v23, 3, v82
.LBB4_3236:                             ;   in Loop: Header=BB4_3084 Depth=2
	s_or_b32 exec_lo, exec_lo, s44
	v_bfe_i32 v25, v92, 0, 16
	s_delay_alu instid0(VALU_DEP_1) | instskip(NEXT) | instid1(VALU_DEP_1)
	v_and_b32_e32 v25, 0x80000000, v25
	v_lshl_add_u32 v21, v21, 23, v25
	s_delay_alu instid0(VALU_DEP_1) | instskip(NEXT) | instid1(VALU_DEP_1)
	v_lshl_or_b32 v21, v23, 21, v21
                                        ; implicit-def: $vgpr23
	v_add_nc_u32_e32 v21, 0x38000000, v21
.LBB4_3237:                             ;   in Loop: Header=BB4_3084 Depth=2
	s_and_not1_saveexec_b32 s43, s43
; %bb.3238:                             ;   in Loop: Header=BB4_3084 Depth=2
	v_cmp_lt_i16_e32 vcc_lo, -1, v92
	v_cndmask_b32_e32 v21, 0xff800000, v126, vcc_lo
	v_cmp_eq_u32_e32 vcc_lo, 0, v23
	s_delay_alu instid0(VALU_DEP_2)
	v_cndmask_b32_e32 v21, 0x7f800001, v21, vcc_lo
; %bb.3239:                             ;   in Loop: Header=BB4_3084 Depth=2
	s_or_b32 exec_lo, exec_lo, s43
.LBB4_3240:                             ;   in Loop: Header=BB4_3084 Depth=2
	s_delay_alu instid0(SALU_CYCLE_1)
	s_or_b32 exec_lo, exec_lo, s42
.LBB4_3241:                             ;   in Loop: Header=BB4_3084 Depth=2
	s_delay_alu instid0(SALU_CYCLE_1) | instskip(NEXT) | instid1(VALU_DEP_1)
	s_or_b32 exec_lo, exec_lo, s15
	v_dual_max_num_f32 v21, v21, v21 :: v_dual_max_num_f32 v19, v19, v19
	s_mov_b32 s15, 0
	s_delay_alu instid0(VALU_DEP_1)
	v_max_num_f32_e32 v19, v19, v21
.LBB4_3242:                             ;   in Loop: Header=BB4_3084 Depth=2
	s_and_b32 vcc_lo, exec_lo, s15
	s_cbranch_vccz .LBB4_3264
; %bb.3243:                             ;   in Loop: Header=BB4_3084 Depth=2
	v_dual_mov_b32 v21, 0 :: v_dual_mov_b32 v19, 0
	s_and_saveexec_b32 s15, s10
	s_cbranch_execz .LBB4_3253
; %bb.3244:                             ;   in Loop: Header=BB4_3084 Depth=2
	v_bfrev_b32_e32 v19, 1
	s_mov_b32 s10, exec_lo
	v_cmpx_ne_u16_e32 0xff80, v94
	s_cbranch_execz .LBB4_3252
; %bb.3245:                             ;   in Loop: Header=BB4_3084 Depth=2
	v_and_b32_e32 v19, 0x7c, v17
	v_and_b32_e32 v23, 3, v17
	s_delay_alu instid0(VALU_DEP_2) | instskip(SKIP_1) | instid1(SALU_CYCLE_1)
	v_cmp_ne_u32_e32 vcc_lo, 0x7c, v19
                                        ; implicit-def: $vgpr19
	s_and_saveexec_b32 s42, vcc_lo
	s_xor_b32 s42, exec_lo, s42
	s_cbranch_execz .LBB4_3249
; %bb.3246:                             ;   in Loop: Header=BB4_3084 Depth=2
	v_bfe_u32 v17, v17, 2, 5
	s_mov_b32 s43, exec_lo
	s_delay_alu instid0(VALU_DEP_1)
	v_cmpx_eq_u32_e32 0, v17
	s_cbranch_execz .LBB4_3248
; %bb.3247:                             ;   in Loop: Header=BB4_3084 Depth=2
	v_clz_i32_u32_e32 v17, v23
	s_delay_alu instid0(VALU_DEP_1) | instskip(SKIP_1) | instid1(VALU_DEP_2)
	v_min_u32_e32 v17, 32, v17
	v_mov_b32_e32 v95, v55
	v_subrev_nc_u32_e32 v19, 29, v17
	v_sub_nc_u32_e32 v17, 30, v17
	s_delay_alu instid0(VALU_DEP_2) | instskip(NEXT) | instid1(VALU_DEP_1)
	v_lshlrev_b64_e32 v[82:83], v19, v[94:95]
	v_and_b32_e32 v23, 3, v82
.LBB4_3248:                             ;   in Loop: Header=BB4_3084 Depth=2
	s_or_b32 exec_lo, exec_lo, s43
	v_bfe_i32 v19, v94, 0, 16
                                        ; implicit-def: $vgpr94
	s_delay_alu instid0(VALU_DEP_1) | instskip(NEXT) | instid1(VALU_DEP_1)
	v_and_b32_e32 v19, 0x80000000, v19
	v_lshl_add_u32 v17, v17, 23, v19
	s_delay_alu instid0(VALU_DEP_1) | instskip(NEXT) | instid1(VALU_DEP_1)
	v_lshl_or_b32 v17, v23, 21, v17
                                        ; implicit-def: $vgpr23
	v_add_nc_u32_e32 v19, 0x38000000, v17
.LBB4_3249:                             ;   in Loop: Header=BB4_3084 Depth=2
	s_and_not1_saveexec_b32 s42, s42
; %bb.3250:                             ;   in Loop: Header=BB4_3084 Depth=2
	v_cmp_lt_i16_e32 vcc_lo, -1, v94
	v_cndmask_b32_e32 v17, 0xff800000, v126, vcc_lo
	v_cmp_eq_u32_e32 vcc_lo, 0, v23
	s_delay_alu instid0(VALU_DEP_2)
	v_cndmask_b32_e32 v19, 0x7f800001, v17, vcc_lo
; %bb.3251:                             ;   in Loop: Header=BB4_3084 Depth=2
	s_or_b32 exec_lo, exec_lo, s42
.LBB4_3252:                             ;   in Loop: Header=BB4_3084 Depth=2
	s_delay_alu instid0(SALU_CYCLE_1)
	s_or_b32 exec_lo, exec_lo, s10
.LBB4_3253:                             ;   in Loop: Header=BB4_3084 Depth=2
	s_delay_alu instid0(SALU_CYCLE_1) | instskip(NEXT) | instid1(SALU_CYCLE_1)
	s_or_b32 exec_lo, exec_lo, s15
	s_mov_b32 s10, exec_lo
	s_wait_loadcnt_dscnt 0xd0d
	v_cmpx_ne_u16_e32 0, v92
	s_cbranch_execz .LBB4_3263
; %bb.3254:                             ;   in Loop: Header=BB4_3084 Depth=2
	v_bfrev_b32_e32 v21, 1
	s_mov_b32 s15, exec_lo
	v_cmpx_ne_u16_e32 0xff80, v92
	s_cbranch_execz .LBB4_3262
; %bb.3255:                             ;   in Loop: Header=BB4_3084 Depth=2
	v_and_b32_e32 v21, 0x7c, v92
	v_and_b32_e32 v17, 3, v92
	s_delay_alu instid0(VALU_DEP_2) | instskip(SKIP_1) | instid1(SALU_CYCLE_1)
	v_cmp_ne_u32_e32 vcc_lo, 0x7c, v21
                                        ; implicit-def: $vgpr21
	s_and_saveexec_b32 s42, vcc_lo
	s_xor_b32 s42, exec_lo, s42
	s_cbranch_execz .LBB4_3259
; %bb.3256:                             ;   in Loop: Header=BB4_3084 Depth=2
	v_and_b32_e32 v21, 0xff, v92
	s_mov_b32 s43, exec_lo
	s_delay_alu instid0(VALU_DEP_1) | instskip(NEXT) | instid1(VALU_DEP_1)
	v_bfe_u32 v21, v21, 2, 5
	v_cmpx_eq_u32_e32 0, v21
; %bb.3257:                             ;   in Loop: Header=BB4_3084 Depth=2
	v_clz_i32_u32_e32 v17, v17
	s_delay_alu instid0(VALU_DEP_1) | instskip(SKIP_1) | instid1(VALU_DEP_2)
	v_min_u32_e32 v17, 32, v17
	v_mov_b32_e32 v93, v55
	v_subrev_nc_u32_e32 v21, 29, v17
	s_delay_alu instid0(VALU_DEP_1) | instskip(NEXT) | instid1(VALU_DEP_1)
	v_lshlrev_b64_e32 v[82:83], v21, v[92:93]
	v_dual_sub_nc_u32 v21, 30, v17 :: v_dual_bitop2_b32 v17, 3, v82 bitop3:0x40
; %bb.3258:                             ;   in Loop: Header=BB4_3084 Depth=2
	s_or_b32 exec_lo, exec_lo, s43
	v_bfe_i32 v23, v92, 0, 16
                                        ; implicit-def: $vgpr92
	s_delay_alu instid0(VALU_DEP_1) | instskip(NEXT) | instid1(VALU_DEP_1)
	v_and_b32_e32 v23, 0x80000000, v23
	v_lshl_add_u32 v21, v21, 23, v23
	s_delay_alu instid0(VALU_DEP_1) | instskip(NEXT) | instid1(VALU_DEP_1)
	v_lshl_or_b32 v17, v17, 21, v21
	v_add_nc_u32_e32 v21, 0x38000000, v17
                                        ; implicit-def: $vgpr17
.LBB4_3259:                             ;   in Loop: Header=BB4_3084 Depth=2
	s_and_not1_saveexec_b32 s42, s42
; %bb.3260:                             ;   in Loop: Header=BB4_3084 Depth=2
	v_cmp_lt_i16_e32 vcc_lo, -1, v92
	v_cndmask_b32_e32 v21, 0xff800000, v126, vcc_lo
	v_cmp_eq_u32_e32 vcc_lo, 0, v17
	s_delay_alu instid0(VALU_DEP_2)
	v_cndmask_b32_e32 v21, 0x7f800001, v21, vcc_lo
; %bb.3261:                             ;   in Loop: Header=BB4_3084 Depth=2
	s_or_b32 exec_lo, exec_lo, s42
.LBB4_3262:                             ;   in Loop: Header=BB4_3084 Depth=2
	s_delay_alu instid0(SALU_CYCLE_1)
	s_or_b32 exec_lo, exec_lo, s15
.LBB4_3263:                             ;   in Loop: Header=BB4_3084 Depth=2
	s_delay_alu instid0(SALU_CYCLE_1) | instskip(NEXT) | instid1(VALU_DEP_1)
	s_or_b32 exec_lo, exec_lo, s10
	v_dual_max_num_f32 v17, v21, v21 :: v_dual_max_num_f32 v19, v19, v19
	s_delay_alu instid0(VALU_DEP_1)
	v_min_num_f32_e32 v19, v19, v17
.LBB4_3264:                             ;   in Loop: Header=BB4_3084 Depth=2
	s_delay_alu instid0(VALU_DEP_1) | instskip(SKIP_3) | instid1(VALU_DEP_2)
	v_and_b32_e32 v82, 0x7f800000, v19
	v_mov_b32_e32 v83, v55
	v_and_b32_e32 v54, 0x7fffff, v19
                                        ; implicit-def: $vgpr93
	s_mov_b32 s10, exec_lo
	v_cmpx_ne_u64_e32 0x7f800000, v[82:83]
	s_xor_b32 s15, exec_lo, s10
	s_cbranch_execz .LBB4_3282
; %bb.3265:                             ;   in Loop: Header=BB4_3084 Depth=2
	v_dual_mov_b32 v83, v55 :: v_dual_lshrrev_b32 v17, 24, v19
	v_and_b32_e32 v82, 0x7fffffff, v19
                                        ; implicit-def: $vgpr93
	s_mov_b32 s10, exec_lo
	s_delay_alu instid0(VALU_DEP_2) | instskip(NEXT) | instid1(VALU_DEP_2)
	v_and_b32_e32 v17, 0x80, v17
	v_cmpx_gt_u64_e32 0x47600001, v[82:83]
	s_xor_b32 s42, exec_lo, s10
	s_cbranch_execz .LBB4_3279
; %bb.3266:                             ;   in Loop: Header=BB4_3084 Depth=2
	v_mov_b32_e32 v93, 0
	s_mov_b32 s43, exec_lo
	v_cmpx_ne_u32_e32 0, v19
	s_cbranch_execz .LBB4_3278
; %bb.3267:                             ;   in Loop: Header=BB4_3084 Depth=2
	v_bfe_u32 v19, v19, 23, 8
	v_or_b32_e32 v25, 0x800000, v54
	s_delay_alu instid0(VALU_DEP_2) | instskip(SKIP_1) | instid1(VALU_DEP_2)
	v_sub_nc_u32_e32 v21, 0x71, v19
	v_cmp_gt_u32_e32 vcc_lo, 0x72, v19
	v_cndmask_b32_e32 v21, 0, v21, vcc_lo
	v_cmp_eq_u32_e32 vcc_lo, 0, v19
	s_delay_alu instid0(VALU_DEP_2) | instskip(NEXT) | instid1(VALU_DEP_1)
	v_cndmask_b32_e64 v21, v21, 0x70, vcc_lo
	v_dual_cndmask_b32 v54, v25, v54 :: v_dual_add_nc_u32 v23, 21, v21
	s_wait_loadcnt_dscnt 0xd0d
	s_delay_alu instid0(VALU_DEP_1) | instskip(NEXT) | instid1(VALU_DEP_2)
	v_lshrrev_b64 v[92:93], v21, v[54:55]
	v_lshlrev_b64_e64 v[82:83], v23, -1
	v_add_nc_u32_e32 v23, 20, v21
	s_delay_alu instid0(VALU_DEP_1) | instskip(NEXT) | instid1(VALU_DEP_3)
	v_lshlrev_b64_e64 v[94:95], v23, 1
	v_bfi_b32 v83, v83, 0, 0
	s_delay_alu instid0(VALU_DEP_4) | instskip(NEXT) | instid1(VALU_DEP_1)
	v_bfi_b32 v82, v82, 0, v54
	v_cmp_eq_u64_e64 s10, v[82:83], v[94:95]
	v_mov_b64_e32 v[94:95], v[92:93]
	s_and_saveexec_b32 s44, s10
; %bb.3268:                             ;   in Loop: Header=BB4_3084 Depth=2
	v_bfe_u32 v54, v92, 21, 1
	s_delay_alu instid0(VALU_DEP_1) | instskip(NEXT) | instid1(VALU_DEP_1)
	v_add_nc_u64_e32 v[82:83], v[92:93], v[54:55]
	v_add_nc_u64_e32 v[94:95], -1, v[82:83]
; %bb.3269:                             ;   in Loop: Header=BB4_3084 Depth=2
	s_or_b32 exec_lo, exec_lo, s44
	v_add_nc_u32_e32 v19, 0xffffff81, v19
	v_lshrrev_b32_e32 v23, 23, v92
	s_mov_b32 s10, exec_lo
	s_delay_alu instid0(VALU_DEP_2) | instskip(NEXT) | instid1(VALU_DEP_1)
	v_cndmask_b32_e64 v19, v19, 0xffffff82, vcc_lo
	v_add3_u32 v21, v21, v19, v23
	v_and_b32_e32 v19, 0x1fffff, v94
	s_delay_alu instid0(VALU_DEP_1) | instskip(NEXT) | instid1(VALU_DEP_1)
	v_dual_add_nc_u32 v23, 14, v21 :: v_dual_add_nc_u32 v54, v19, v92
                                        ; implicit-def: $vgpr92_vgpr93
                                        ; implicit-def: $vgpr19
	v_cmpx_ne_u32_e32 0, v23
	s_xor_b32 s10, exec_lo, s10
; %bb.3270:                             ;   in Loop: Header=BB4_3084 Depth=2
	s_delay_alu instid0(VALU_DEP_2) | instskip(SKIP_2) | instid1(VALU_DEP_2)
	v_cmp_lt_u64_e32 vcc_lo, 0xffffff, v[54:55]
	v_add_nc_u32_e32 v19, 15, v21
	v_cndmask_b32_e64 v21, 0, 1, vcc_lo
	v_cndmask_b32_e32 v19, v23, v19, vcc_lo
	s_delay_alu instid0(VALU_DEP_2)
	v_lshrrev_b64 v[92:93], v21, v[54:55]
; %bb.3271:                             ;   in Loop: Header=BB4_3084 Depth=2
	s_and_not1_saveexec_b32 s10, s10
; %bb.3272:                             ;   in Loop: Header=BB4_3084 Depth=2
	v_mov_b64_e32 v[92:93], v[54:55]
	v_bfe_u32 v19, v54, 23, 1
; %bb.3273:                             ;   in Loop: Header=BB4_3084 Depth=2
	s_or_b32 exec_lo, exec_lo, s10
	s_delay_alu instid0(VALU_DEP_2) | instskip(NEXT) | instid1(VALU_DEP_2)
	v_lshrrev_b64 v[82:83], 21, v[92:93]
	v_cmp_gt_i32_e32 vcc_lo, 32, v19
	v_cmp_ne_u32_e64 s10, 0, v19
	s_delay_alu instid0(VALU_DEP_3) | instskip(NEXT) | instid1(VALU_DEP_1)
	v_dual_cndmask_b32 v93, 0, v83 :: v_dual_cndmask_b32 v92, 3, v82
	v_cmp_ne_u64_e32 vcc_lo, 0, v[92:93]
                                        ; implicit-def: $vgpr93
	s_or_b32 s10, s10, vcc_lo
	s_delay_alu instid0(SALU_CYCLE_1) | instskip(NEXT) | instid1(SALU_CYCLE_1)
	s_and_saveexec_b32 s44, s10
	s_xor_b32 s10, exec_lo, s44
; %bb.3274:                             ;   in Loop: Header=BB4_3084 Depth=2
	v_min_i32_e32 v19, 31, v19
	s_delay_alu instid0(VALU_DEP_1) | instskip(NEXT) | instid1(VALU_DEP_1)
	v_lshl_or_b32 v17, v19, 2, v17
	v_and_or_b32 v93, v92, 3, v17
                                        ; implicit-def: $vgpr17
; %bb.3275:                             ;   in Loop: Header=BB4_3084 Depth=2
	s_and_not1_saveexec_b32 s10, s10
; %bb.3276:                             ;   in Loop: Header=BB4_3084 Depth=2
	v_mov_b32_e32 v93, v17
; %bb.3277:                             ;   in Loop: Header=BB4_3084 Depth=2
	s_or_b32 exec_lo, exec_lo, s10
.LBB4_3278:                             ;   in Loop: Header=BB4_3084 Depth=2
	s_delay_alu instid0(SALU_CYCLE_1)
	s_or_b32 exec_lo, exec_lo, s43
                                        ; implicit-def: $vgpr17
.LBB4_3279:                             ;   in Loop: Header=BB4_3084 Depth=2
	s_and_not1_saveexec_b32 s10, s42
; %bb.3280:                             ;   in Loop: Header=BB4_3084 Depth=2
	v_or_b32_e32 v93, 0x7b, v17
; %bb.3281:                             ;   in Loop: Header=BB4_3084 Depth=2
	s_or_b32 exec_lo, exec_lo, s10
                                        ; implicit-def: $vgpr19
.LBB4_3282:                             ;   in Loop: Header=BB4_3084 Depth=2
	s_and_not1_saveexec_b32 s10, s15
	s_cbranch_execz .LBB4_3288
; %bb.3283:                             ;   in Loop: Header=BB4_3084 Depth=2
	s_mov_b32 s15, exec_lo
                                        ; implicit-def: $vgpr93
	v_cmpx_ne_u64_e32 0, v[54:55]
	s_xor_b32 s15, exec_lo, s15
; %bb.3284:                             ;   in Loop: Header=BB4_3084 Depth=2
	v_lshrrev_b32_e32 v17, 24, v19
                                        ; implicit-def: $vgpr19
	s_delay_alu instid0(VALU_DEP_1)
	v_or_b32_e32 v93, 0x7f, v17
; %bb.3285:                             ;   in Loop: Header=BB4_3084 Depth=2
	s_and_not1_saveexec_b32 s15, s15
; %bb.3286:                             ;   in Loop: Header=BB4_3084 Depth=2
	v_cmp_lt_i32_e32 vcc_lo, -1, v19
	v_cndmask_b32_e64 v93, -4, 0x7c, vcc_lo
; %bb.3287:                             ;   in Loop: Header=BB4_3084 Depth=2
	s_or_b32 exec_lo, exec_lo, s15
.LBB4_3288:                             ;   in Loop: Header=BB4_3084 Depth=2
	s_delay_alu instid0(SALU_CYCLE_1)
	s_or_b32 exec_lo, exec_lo, s10
	v_and_b32_e32 v17, 0xff, v90
	v_cmp_ne_u16_e64 s10, 0, v90
	s_and_not1_b32 vcc_lo, exec_lo, s14
	s_mov_b32 s15, -1
                                        ; implicit-def: $vgpr19
	s_cbranch_vccnz .LBB4_3310
; %bb.3289:                             ;   in Loop: Header=BB4_3084 Depth=2
	v_dual_mov_b32 v21, 0 :: v_dual_mov_b32 v19, 0
	s_and_saveexec_b32 s15, s10
	s_cbranch_execz .LBB4_3299
; %bb.3290:                             ;   in Loop: Header=BB4_3084 Depth=2
	v_bfrev_b32_e32 v19, 1
	s_mov_b32 s42, exec_lo
	v_cmpx_ne_u16_e32 0xff80, v90
	s_cbranch_execz .LBB4_3298
; %bb.3291:                             ;   in Loop: Header=BB4_3084 Depth=2
	v_and_b32_e32 v19, 0x7c, v17
	v_and_b32_e32 v23, 3, v17
	s_delay_alu instid0(VALU_DEP_2) | instskip(SKIP_1) | instid1(SALU_CYCLE_1)
	v_cmp_ne_u32_e32 vcc_lo, 0x7c, v19
                                        ; implicit-def: $vgpr19
	s_and_saveexec_b32 s43, vcc_lo
	s_xor_b32 s43, exec_lo, s43
	s_cbranch_execz .LBB4_3295
; %bb.3292:                             ;   in Loop: Header=BB4_3084 Depth=2
	v_bfe_u32 v19, v17, 2, 5
	s_mov_b32 s44, exec_lo
	s_delay_alu instid0(VALU_DEP_1)
	v_cmpx_eq_u32_e32 0, v19
	s_cbranch_execz .LBB4_3294
; %bb.3293:                             ;   in Loop: Header=BB4_3084 Depth=2
	v_clz_i32_u32_e32 v19, v23
	s_delay_alu instid0(VALU_DEP_1) | instskip(SKIP_1) | instid1(VALU_DEP_2)
	v_min_u32_e32 v19, 32, v19
	v_mov_b32_e32 v91, v55
	v_subrev_nc_u32_e32 v23, 29, v19
	v_sub_nc_u32_e32 v19, 30, v19
	s_delay_alu instid0(VALU_DEP_2) | instskip(NEXT) | instid1(VALU_DEP_1)
	v_lshlrev_b64_e32 v[82:83], v23, v[90:91]
	v_and_b32_e32 v23, 3, v82
.LBB4_3294:                             ;   in Loop: Header=BB4_3084 Depth=2
	s_or_b32 exec_lo, exec_lo, s44
	v_bfe_i32 v25, v90, 0, 16
	s_delay_alu instid0(VALU_DEP_1) | instskip(NEXT) | instid1(VALU_DEP_1)
	v_and_b32_e32 v25, 0x80000000, v25
	v_lshl_add_u32 v19, v19, 23, v25
	s_delay_alu instid0(VALU_DEP_1) | instskip(NEXT) | instid1(VALU_DEP_1)
	v_lshl_or_b32 v19, v23, 21, v19
                                        ; implicit-def: $vgpr23
	v_add_nc_u32_e32 v19, 0x38000000, v19
.LBB4_3295:                             ;   in Loop: Header=BB4_3084 Depth=2
	s_and_not1_saveexec_b32 s43, s43
; %bb.3296:                             ;   in Loop: Header=BB4_3084 Depth=2
	v_cmp_lt_i16_e32 vcc_lo, -1, v90
	v_cndmask_b32_e32 v19, 0xff800000, v126, vcc_lo
	v_cmp_eq_u32_e32 vcc_lo, 0, v23
	s_delay_alu instid0(VALU_DEP_2)
	v_cndmask_b32_e32 v19, 0x7f800001, v19, vcc_lo
; %bb.3297:                             ;   in Loop: Header=BB4_3084 Depth=2
	s_or_b32 exec_lo, exec_lo, s43
.LBB4_3298:                             ;   in Loop: Header=BB4_3084 Depth=2
	s_delay_alu instid0(SALU_CYCLE_1)
	s_or_b32 exec_lo, exec_lo, s42
.LBB4_3299:                             ;   in Loop: Header=BB4_3084 Depth=2
	s_delay_alu instid0(SALU_CYCLE_1) | instskip(NEXT) | instid1(SALU_CYCLE_1)
	s_or_b32 exec_lo, exec_lo, s15
	s_mov_b32 s15, exec_lo
	s_wait_loadcnt_dscnt 0xc0c
	v_cmpx_ne_u16_e32 0, v88
	s_cbranch_execz .LBB4_3309
; %bb.3300:                             ;   in Loop: Header=BB4_3084 Depth=2
	v_bfrev_b32_e32 v21, 1
	s_mov_b32 s42, exec_lo
	v_cmpx_ne_u16_e32 0xff80, v88
	s_cbranch_execz .LBB4_3308
; %bb.3301:                             ;   in Loop: Header=BB4_3084 Depth=2
	v_and_b32_e32 v21, 0x7c, v88
	v_and_b32_e32 v23, 3, v88
	s_delay_alu instid0(VALU_DEP_2) | instskip(SKIP_1) | instid1(SALU_CYCLE_1)
	v_cmp_ne_u32_e32 vcc_lo, 0x7c, v21
                                        ; implicit-def: $vgpr21
	s_and_saveexec_b32 s43, vcc_lo
	s_xor_b32 s43, exec_lo, s43
	s_cbranch_execz .LBB4_3305
; %bb.3302:                             ;   in Loop: Header=BB4_3084 Depth=2
	v_and_b32_e32 v21, 0xff, v88
	s_mov_b32 s44, exec_lo
	s_delay_alu instid0(VALU_DEP_1) | instskip(NEXT) | instid1(VALU_DEP_1)
	v_bfe_u32 v21, v21, 2, 5
	v_cmpx_eq_u32_e32 0, v21
	s_cbranch_execz .LBB4_3304
; %bb.3303:                             ;   in Loop: Header=BB4_3084 Depth=2
	v_clz_i32_u32_e32 v21, v23
	s_delay_alu instid0(VALU_DEP_1) | instskip(SKIP_1) | instid1(VALU_DEP_2)
	v_min_u32_e32 v21, 32, v21
	v_mov_b32_e32 v89, v55
	v_subrev_nc_u32_e32 v23, 29, v21
	v_sub_nc_u32_e32 v21, 30, v21
	s_delay_alu instid0(VALU_DEP_2) | instskip(NEXT) | instid1(VALU_DEP_1)
	v_lshlrev_b64_e32 v[82:83], v23, v[88:89]
	v_and_b32_e32 v23, 3, v82
.LBB4_3304:                             ;   in Loop: Header=BB4_3084 Depth=2
	s_or_b32 exec_lo, exec_lo, s44
	v_bfe_i32 v25, v88, 0, 16
	s_delay_alu instid0(VALU_DEP_1) | instskip(NEXT) | instid1(VALU_DEP_1)
	v_and_b32_e32 v25, 0x80000000, v25
	v_lshl_add_u32 v21, v21, 23, v25
	s_delay_alu instid0(VALU_DEP_1) | instskip(NEXT) | instid1(VALU_DEP_1)
	v_lshl_or_b32 v21, v23, 21, v21
                                        ; implicit-def: $vgpr23
	v_add_nc_u32_e32 v21, 0x38000000, v21
.LBB4_3305:                             ;   in Loop: Header=BB4_3084 Depth=2
	s_and_not1_saveexec_b32 s43, s43
; %bb.3306:                             ;   in Loop: Header=BB4_3084 Depth=2
	v_cmp_lt_i16_e32 vcc_lo, -1, v88
	v_cndmask_b32_e32 v21, 0xff800000, v126, vcc_lo
	v_cmp_eq_u32_e32 vcc_lo, 0, v23
	s_delay_alu instid0(VALU_DEP_2)
	v_cndmask_b32_e32 v21, 0x7f800001, v21, vcc_lo
; %bb.3307:                             ;   in Loop: Header=BB4_3084 Depth=2
	s_or_b32 exec_lo, exec_lo, s43
.LBB4_3308:                             ;   in Loop: Header=BB4_3084 Depth=2
	s_delay_alu instid0(SALU_CYCLE_1)
	s_or_b32 exec_lo, exec_lo, s42
.LBB4_3309:                             ;   in Loop: Header=BB4_3084 Depth=2
	s_delay_alu instid0(SALU_CYCLE_1) | instskip(NEXT) | instid1(VALU_DEP_1)
	s_or_b32 exec_lo, exec_lo, s15
	v_dual_max_num_f32 v21, v21, v21 :: v_dual_max_num_f32 v19, v19, v19
	s_mov_b32 s15, 0
	s_delay_alu instid0(VALU_DEP_1)
	v_max_num_f32_e32 v19, v19, v21
.LBB4_3310:                             ;   in Loop: Header=BB4_3084 Depth=2
	s_and_b32 vcc_lo, exec_lo, s15
	s_cbranch_vccz .LBB4_3332
; %bb.3311:                             ;   in Loop: Header=BB4_3084 Depth=2
	v_dual_mov_b32 v21, 0 :: v_dual_mov_b32 v19, 0
	s_and_saveexec_b32 s15, s10
	s_cbranch_execz .LBB4_3321
; %bb.3312:                             ;   in Loop: Header=BB4_3084 Depth=2
	v_bfrev_b32_e32 v19, 1
	s_mov_b32 s10, exec_lo
	v_cmpx_ne_u16_e32 0xff80, v90
	s_cbranch_execz .LBB4_3320
; %bb.3313:                             ;   in Loop: Header=BB4_3084 Depth=2
	v_and_b32_e32 v19, 0x7c, v17
	v_and_b32_e32 v23, 3, v17
	s_delay_alu instid0(VALU_DEP_2) | instskip(SKIP_1) | instid1(SALU_CYCLE_1)
	v_cmp_ne_u32_e32 vcc_lo, 0x7c, v19
                                        ; implicit-def: $vgpr19
	s_and_saveexec_b32 s42, vcc_lo
	s_xor_b32 s42, exec_lo, s42
	s_cbranch_execz .LBB4_3317
; %bb.3314:                             ;   in Loop: Header=BB4_3084 Depth=2
	v_bfe_u32 v17, v17, 2, 5
	s_mov_b32 s43, exec_lo
	s_delay_alu instid0(VALU_DEP_1)
	v_cmpx_eq_u32_e32 0, v17
	s_cbranch_execz .LBB4_3316
; %bb.3315:                             ;   in Loop: Header=BB4_3084 Depth=2
	v_clz_i32_u32_e32 v17, v23
	s_delay_alu instid0(VALU_DEP_1) | instskip(SKIP_1) | instid1(VALU_DEP_2)
	v_min_u32_e32 v17, 32, v17
	v_mov_b32_e32 v91, v55
	v_subrev_nc_u32_e32 v19, 29, v17
	v_sub_nc_u32_e32 v17, 30, v17
	s_delay_alu instid0(VALU_DEP_2) | instskip(NEXT) | instid1(VALU_DEP_1)
	v_lshlrev_b64_e32 v[82:83], v19, v[90:91]
	v_and_b32_e32 v23, 3, v82
.LBB4_3316:                             ;   in Loop: Header=BB4_3084 Depth=2
	s_or_b32 exec_lo, exec_lo, s43
	v_bfe_i32 v19, v90, 0, 16
                                        ; implicit-def: $vgpr90
	s_delay_alu instid0(VALU_DEP_1) | instskip(NEXT) | instid1(VALU_DEP_1)
	v_and_b32_e32 v19, 0x80000000, v19
	v_lshl_add_u32 v17, v17, 23, v19
	s_delay_alu instid0(VALU_DEP_1) | instskip(NEXT) | instid1(VALU_DEP_1)
	v_lshl_or_b32 v17, v23, 21, v17
                                        ; implicit-def: $vgpr23
	v_add_nc_u32_e32 v19, 0x38000000, v17
.LBB4_3317:                             ;   in Loop: Header=BB4_3084 Depth=2
	s_and_not1_saveexec_b32 s42, s42
; %bb.3318:                             ;   in Loop: Header=BB4_3084 Depth=2
	v_cmp_lt_i16_e32 vcc_lo, -1, v90
	v_cndmask_b32_e32 v17, 0xff800000, v126, vcc_lo
	v_cmp_eq_u32_e32 vcc_lo, 0, v23
	s_delay_alu instid0(VALU_DEP_2)
	v_cndmask_b32_e32 v19, 0x7f800001, v17, vcc_lo
; %bb.3319:                             ;   in Loop: Header=BB4_3084 Depth=2
	s_or_b32 exec_lo, exec_lo, s42
.LBB4_3320:                             ;   in Loop: Header=BB4_3084 Depth=2
	s_delay_alu instid0(SALU_CYCLE_1)
	s_or_b32 exec_lo, exec_lo, s10
.LBB4_3321:                             ;   in Loop: Header=BB4_3084 Depth=2
	s_delay_alu instid0(SALU_CYCLE_1) | instskip(NEXT) | instid1(SALU_CYCLE_1)
	s_or_b32 exec_lo, exec_lo, s15
	s_mov_b32 s10, exec_lo
	s_wait_loadcnt_dscnt 0xc0c
	v_cmpx_ne_u16_e32 0, v88
	s_cbranch_execz .LBB4_3331
; %bb.3322:                             ;   in Loop: Header=BB4_3084 Depth=2
	v_bfrev_b32_e32 v21, 1
	s_mov_b32 s15, exec_lo
	v_cmpx_ne_u16_e32 0xff80, v88
	s_cbranch_execz .LBB4_3330
; %bb.3323:                             ;   in Loop: Header=BB4_3084 Depth=2
	v_and_b32_e32 v21, 0x7c, v88
	v_and_b32_e32 v17, 3, v88
	s_delay_alu instid0(VALU_DEP_2) | instskip(SKIP_1) | instid1(SALU_CYCLE_1)
	v_cmp_ne_u32_e32 vcc_lo, 0x7c, v21
                                        ; implicit-def: $vgpr21
	s_and_saveexec_b32 s42, vcc_lo
	s_xor_b32 s42, exec_lo, s42
	s_cbranch_execz .LBB4_3327
; %bb.3324:                             ;   in Loop: Header=BB4_3084 Depth=2
	v_and_b32_e32 v21, 0xff, v88
	s_mov_b32 s43, exec_lo
	s_delay_alu instid0(VALU_DEP_1) | instskip(NEXT) | instid1(VALU_DEP_1)
	v_bfe_u32 v21, v21, 2, 5
	v_cmpx_eq_u32_e32 0, v21
; %bb.3325:                             ;   in Loop: Header=BB4_3084 Depth=2
	v_clz_i32_u32_e32 v17, v17
	s_delay_alu instid0(VALU_DEP_1) | instskip(SKIP_1) | instid1(VALU_DEP_2)
	v_min_u32_e32 v17, 32, v17
	v_mov_b32_e32 v89, v55
	v_subrev_nc_u32_e32 v21, 29, v17
	s_delay_alu instid0(VALU_DEP_1) | instskip(NEXT) | instid1(VALU_DEP_1)
	v_lshlrev_b64_e32 v[82:83], v21, v[88:89]
	v_dual_sub_nc_u32 v21, 30, v17 :: v_dual_bitop2_b32 v17, 3, v82 bitop3:0x40
; %bb.3326:                             ;   in Loop: Header=BB4_3084 Depth=2
	s_or_b32 exec_lo, exec_lo, s43
	v_bfe_i32 v23, v88, 0, 16
                                        ; implicit-def: $vgpr88
	s_delay_alu instid0(VALU_DEP_1) | instskip(NEXT) | instid1(VALU_DEP_1)
	v_and_b32_e32 v23, 0x80000000, v23
	v_lshl_add_u32 v21, v21, 23, v23
	s_delay_alu instid0(VALU_DEP_1) | instskip(NEXT) | instid1(VALU_DEP_1)
	v_lshl_or_b32 v17, v17, 21, v21
	v_add_nc_u32_e32 v21, 0x38000000, v17
                                        ; implicit-def: $vgpr17
.LBB4_3327:                             ;   in Loop: Header=BB4_3084 Depth=2
	s_and_not1_saveexec_b32 s42, s42
; %bb.3328:                             ;   in Loop: Header=BB4_3084 Depth=2
	v_cmp_lt_i16_e32 vcc_lo, -1, v88
	v_cndmask_b32_e32 v21, 0xff800000, v126, vcc_lo
	v_cmp_eq_u32_e32 vcc_lo, 0, v17
	s_delay_alu instid0(VALU_DEP_2)
	v_cndmask_b32_e32 v21, 0x7f800001, v21, vcc_lo
; %bb.3329:                             ;   in Loop: Header=BB4_3084 Depth=2
	s_or_b32 exec_lo, exec_lo, s42
.LBB4_3330:                             ;   in Loop: Header=BB4_3084 Depth=2
	s_delay_alu instid0(SALU_CYCLE_1)
	s_or_b32 exec_lo, exec_lo, s15
.LBB4_3331:                             ;   in Loop: Header=BB4_3084 Depth=2
	s_delay_alu instid0(SALU_CYCLE_1) | instskip(NEXT) | instid1(VALU_DEP_1)
	s_or_b32 exec_lo, exec_lo, s10
	v_dual_max_num_f32 v17, v21, v21 :: v_dual_max_num_f32 v19, v19, v19
	s_delay_alu instid0(VALU_DEP_1)
	v_min_num_f32_e32 v19, v19, v17
.LBB4_3332:                             ;   in Loop: Header=BB4_3084 Depth=2
	s_delay_alu instid0(VALU_DEP_1) | instskip(SKIP_3) | instid1(VALU_DEP_2)
	v_and_b32_e32 v82, 0x7f800000, v19
	v_mov_b32_e32 v83, v55
	v_and_b32_e32 v54, 0x7fffff, v19
                                        ; implicit-def: $vgpr89
	s_mov_b32 s10, exec_lo
	v_cmpx_ne_u64_e32 0x7f800000, v[82:83]
	s_xor_b32 s15, exec_lo, s10
	s_cbranch_execz .LBB4_3350
; %bb.3333:                             ;   in Loop: Header=BB4_3084 Depth=2
	v_dual_mov_b32 v83, v55 :: v_dual_lshrrev_b32 v17, 24, v19
	v_and_b32_e32 v82, 0x7fffffff, v19
                                        ; implicit-def: $vgpr89
	s_mov_b32 s10, exec_lo
	s_delay_alu instid0(VALU_DEP_2) | instskip(NEXT) | instid1(VALU_DEP_2)
	v_and_b32_e32 v17, 0x80, v17
	v_cmpx_gt_u64_e32 0x47600001, v[82:83]
	s_xor_b32 s42, exec_lo, s10
	s_cbranch_execz .LBB4_3347
; %bb.3334:                             ;   in Loop: Header=BB4_3084 Depth=2
	v_mov_b32_e32 v89, 0
	s_mov_b32 s43, exec_lo
	v_cmpx_ne_u32_e32 0, v19
	s_cbranch_execz .LBB4_3346
; %bb.3335:                             ;   in Loop: Header=BB4_3084 Depth=2
	v_bfe_u32 v19, v19, 23, 8
	v_or_b32_e32 v25, 0x800000, v54
	s_delay_alu instid0(VALU_DEP_2) | instskip(SKIP_1) | instid1(VALU_DEP_2)
	v_sub_nc_u32_e32 v21, 0x71, v19
	v_cmp_gt_u32_e32 vcc_lo, 0x72, v19
	v_cndmask_b32_e32 v21, 0, v21, vcc_lo
	v_cmp_eq_u32_e32 vcc_lo, 0, v19
	s_delay_alu instid0(VALU_DEP_2) | instskip(NEXT) | instid1(VALU_DEP_1)
	v_cndmask_b32_e64 v21, v21, 0x70, vcc_lo
	v_dual_cndmask_b32 v54, v25, v54 :: v_dual_add_nc_u32 v23, 21, v21
	s_wait_loadcnt_dscnt 0xc0c
	s_delay_alu instid0(VALU_DEP_1) | instskip(NEXT) | instid1(VALU_DEP_2)
	v_lshrrev_b64 v[88:89], v21, v[54:55]
	v_lshlrev_b64_e64 v[82:83], v23, -1
	v_add_nc_u32_e32 v23, 20, v21
	s_delay_alu instid0(VALU_DEP_1) | instskip(NEXT) | instid1(VALU_DEP_3)
	v_lshlrev_b64_e64 v[90:91], v23, 1
	v_bfi_b32 v83, v83, 0, 0
	s_delay_alu instid0(VALU_DEP_4) | instskip(NEXT) | instid1(VALU_DEP_1)
	v_bfi_b32 v82, v82, 0, v54
	v_cmp_eq_u64_e64 s10, v[82:83], v[90:91]
	v_mov_b64_e32 v[90:91], v[88:89]
	s_and_saveexec_b32 s44, s10
; %bb.3336:                             ;   in Loop: Header=BB4_3084 Depth=2
	v_bfe_u32 v54, v88, 21, 1
	s_delay_alu instid0(VALU_DEP_1) | instskip(NEXT) | instid1(VALU_DEP_1)
	v_add_nc_u64_e32 v[82:83], v[88:89], v[54:55]
	v_add_nc_u64_e32 v[90:91], -1, v[82:83]
; %bb.3337:                             ;   in Loop: Header=BB4_3084 Depth=2
	s_or_b32 exec_lo, exec_lo, s44
	v_add_nc_u32_e32 v19, 0xffffff81, v19
	v_lshrrev_b32_e32 v23, 23, v88
	s_mov_b32 s10, exec_lo
	s_delay_alu instid0(VALU_DEP_2) | instskip(NEXT) | instid1(VALU_DEP_1)
	v_cndmask_b32_e64 v19, v19, 0xffffff82, vcc_lo
	v_add3_u32 v21, v21, v19, v23
	v_and_b32_e32 v19, 0x1fffff, v90
	s_delay_alu instid0(VALU_DEP_1) | instskip(NEXT) | instid1(VALU_DEP_1)
	v_dual_add_nc_u32 v23, 14, v21 :: v_dual_add_nc_u32 v54, v19, v88
                                        ; implicit-def: $vgpr88_vgpr89
                                        ; implicit-def: $vgpr19
	v_cmpx_ne_u32_e32 0, v23
	s_xor_b32 s10, exec_lo, s10
; %bb.3338:                             ;   in Loop: Header=BB4_3084 Depth=2
	s_delay_alu instid0(VALU_DEP_2) | instskip(SKIP_2) | instid1(VALU_DEP_2)
	v_cmp_lt_u64_e32 vcc_lo, 0xffffff, v[54:55]
	v_add_nc_u32_e32 v19, 15, v21
	v_cndmask_b32_e64 v21, 0, 1, vcc_lo
	v_cndmask_b32_e32 v19, v23, v19, vcc_lo
	s_delay_alu instid0(VALU_DEP_2)
	v_lshrrev_b64 v[88:89], v21, v[54:55]
; %bb.3339:                             ;   in Loop: Header=BB4_3084 Depth=2
	s_and_not1_saveexec_b32 s10, s10
; %bb.3340:                             ;   in Loop: Header=BB4_3084 Depth=2
	v_mov_b64_e32 v[88:89], v[54:55]
	v_bfe_u32 v19, v54, 23, 1
; %bb.3341:                             ;   in Loop: Header=BB4_3084 Depth=2
	s_or_b32 exec_lo, exec_lo, s10
	s_delay_alu instid0(VALU_DEP_2) | instskip(NEXT) | instid1(VALU_DEP_2)
	v_lshrrev_b64 v[82:83], 21, v[88:89]
	v_cmp_gt_i32_e32 vcc_lo, 32, v19
	v_cmp_ne_u32_e64 s10, 0, v19
	s_delay_alu instid0(VALU_DEP_3) | instskip(NEXT) | instid1(VALU_DEP_1)
	v_dual_cndmask_b32 v89, 0, v83 :: v_dual_cndmask_b32 v88, 3, v82
	v_cmp_ne_u64_e32 vcc_lo, 0, v[88:89]
                                        ; implicit-def: $vgpr89
	s_or_b32 s10, s10, vcc_lo
	s_delay_alu instid0(SALU_CYCLE_1) | instskip(NEXT) | instid1(SALU_CYCLE_1)
	s_and_saveexec_b32 s44, s10
	s_xor_b32 s10, exec_lo, s44
; %bb.3342:                             ;   in Loop: Header=BB4_3084 Depth=2
	v_min_i32_e32 v19, 31, v19
	s_delay_alu instid0(VALU_DEP_1) | instskip(NEXT) | instid1(VALU_DEP_1)
	v_lshl_or_b32 v17, v19, 2, v17
	v_and_or_b32 v89, v88, 3, v17
                                        ; implicit-def: $vgpr17
; %bb.3343:                             ;   in Loop: Header=BB4_3084 Depth=2
	s_and_not1_saveexec_b32 s10, s10
; %bb.3344:                             ;   in Loop: Header=BB4_3084 Depth=2
	v_mov_b32_e32 v89, v17
; %bb.3345:                             ;   in Loop: Header=BB4_3084 Depth=2
	s_or_b32 exec_lo, exec_lo, s10
.LBB4_3346:                             ;   in Loop: Header=BB4_3084 Depth=2
	s_delay_alu instid0(SALU_CYCLE_1)
	s_or_b32 exec_lo, exec_lo, s43
                                        ; implicit-def: $vgpr17
.LBB4_3347:                             ;   in Loop: Header=BB4_3084 Depth=2
	s_and_not1_saveexec_b32 s10, s42
; %bb.3348:                             ;   in Loop: Header=BB4_3084 Depth=2
	v_or_b32_e32 v89, 0x7b, v17
; %bb.3349:                             ;   in Loop: Header=BB4_3084 Depth=2
	s_or_b32 exec_lo, exec_lo, s10
                                        ; implicit-def: $vgpr19
.LBB4_3350:                             ;   in Loop: Header=BB4_3084 Depth=2
	s_and_not1_saveexec_b32 s10, s15
	s_cbranch_execz .LBB4_3356
; %bb.3351:                             ;   in Loop: Header=BB4_3084 Depth=2
	s_mov_b32 s15, exec_lo
                                        ; implicit-def: $vgpr89
	v_cmpx_ne_u64_e32 0, v[54:55]
	s_xor_b32 s15, exec_lo, s15
; %bb.3352:                             ;   in Loop: Header=BB4_3084 Depth=2
	v_lshrrev_b32_e32 v17, 24, v19
                                        ; implicit-def: $vgpr19
	s_delay_alu instid0(VALU_DEP_1)
	v_or_b32_e32 v89, 0x7f, v17
; %bb.3353:                             ;   in Loop: Header=BB4_3084 Depth=2
	s_and_not1_saveexec_b32 s15, s15
; %bb.3354:                             ;   in Loop: Header=BB4_3084 Depth=2
	v_cmp_lt_i32_e32 vcc_lo, -1, v19
	v_cndmask_b32_e64 v89, -4, 0x7c, vcc_lo
; %bb.3355:                             ;   in Loop: Header=BB4_3084 Depth=2
	s_or_b32 exec_lo, exec_lo, s15
.LBB4_3356:                             ;   in Loop: Header=BB4_3084 Depth=2
	s_delay_alu instid0(SALU_CYCLE_1)
	s_or_b32 exec_lo, exec_lo, s10
	v_and_b32_e32 v17, 0xff, v78
	v_cmp_ne_u16_e64 s10, 0, v78
	s_and_not1_b32 vcc_lo, exec_lo, s14
	s_mov_b32 s15, -1
                                        ; implicit-def: $vgpr19
	s_cbranch_vccnz .LBB4_3378
; %bb.3357:                             ;   in Loop: Header=BB4_3084 Depth=2
	v_dual_mov_b32 v21, 0 :: v_dual_mov_b32 v19, 0
	s_and_saveexec_b32 s15, s10
	s_cbranch_execz .LBB4_3367
; %bb.3358:                             ;   in Loop: Header=BB4_3084 Depth=2
	v_bfrev_b32_e32 v19, 1
	s_mov_b32 s42, exec_lo
	v_cmpx_ne_u16_e32 0xff80, v78
	s_cbranch_execz .LBB4_3366
; %bb.3359:                             ;   in Loop: Header=BB4_3084 Depth=2
	v_and_b32_e32 v19, 0x7c, v17
	v_and_b32_e32 v23, 3, v17
	s_delay_alu instid0(VALU_DEP_2) | instskip(SKIP_1) | instid1(SALU_CYCLE_1)
	v_cmp_ne_u32_e32 vcc_lo, 0x7c, v19
                                        ; implicit-def: $vgpr19
	s_and_saveexec_b32 s43, vcc_lo
	s_xor_b32 s43, exec_lo, s43
	s_cbranch_execz .LBB4_3363
; %bb.3360:                             ;   in Loop: Header=BB4_3084 Depth=2
	v_bfe_u32 v19, v17, 2, 5
	s_mov_b32 s44, exec_lo
	s_delay_alu instid0(VALU_DEP_1)
	v_cmpx_eq_u32_e32 0, v19
	s_cbranch_execz .LBB4_3362
; %bb.3361:                             ;   in Loop: Header=BB4_3084 Depth=2
	v_clz_i32_u32_e32 v19, v23
	s_delay_alu instid0(VALU_DEP_1) | instskip(SKIP_1) | instid1(VALU_DEP_2)
	v_min_u32_e32 v19, 32, v19
	v_mov_b32_e32 v79, v55
	v_subrev_nc_u32_e32 v23, 29, v19
	v_sub_nc_u32_e32 v19, 30, v19
	s_delay_alu instid0(VALU_DEP_2) | instskip(NEXT) | instid1(VALU_DEP_1)
	v_lshlrev_b64_e32 v[82:83], v23, v[78:79]
	v_and_b32_e32 v23, 3, v82
.LBB4_3362:                             ;   in Loop: Header=BB4_3084 Depth=2
	s_or_b32 exec_lo, exec_lo, s44
	v_bfe_i32 v25, v78, 0, 16
	s_delay_alu instid0(VALU_DEP_1) | instskip(NEXT) | instid1(VALU_DEP_1)
	v_and_b32_e32 v25, 0x80000000, v25
	v_lshl_add_u32 v19, v19, 23, v25
	s_delay_alu instid0(VALU_DEP_1) | instskip(NEXT) | instid1(VALU_DEP_1)
	v_lshl_or_b32 v19, v23, 21, v19
                                        ; implicit-def: $vgpr23
	v_add_nc_u32_e32 v19, 0x38000000, v19
.LBB4_3363:                             ;   in Loop: Header=BB4_3084 Depth=2
	s_and_not1_saveexec_b32 s43, s43
; %bb.3364:                             ;   in Loop: Header=BB4_3084 Depth=2
	v_cmp_lt_i16_e32 vcc_lo, -1, v78
	v_cndmask_b32_e32 v19, 0xff800000, v126, vcc_lo
	v_cmp_eq_u32_e32 vcc_lo, 0, v23
	s_delay_alu instid0(VALU_DEP_2)
	v_cndmask_b32_e32 v19, 0x7f800001, v19, vcc_lo
; %bb.3365:                             ;   in Loop: Header=BB4_3084 Depth=2
	s_or_b32 exec_lo, exec_lo, s43
.LBB4_3366:                             ;   in Loop: Header=BB4_3084 Depth=2
	s_delay_alu instid0(SALU_CYCLE_1)
	s_or_b32 exec_lo, exec_lo, s42
.LBB4_3367:                             ;   in Loop: Header=BB4_3084 Depth=2
	s_delay_alu instid0(SALU_CYCLE_1) | instskip(NEXT) | instid1(SALU_CYCLE_1)
	s_or_b32 exec_lo, exec_lo, s15
	s_mov_b32 s15, exec_lo
	s_wait_loadcnt_dscnt 0xb0b
	v_cmpx_ne_u16_e32 0, v76
	s_cbranch_execz .LBB4_3377
; %bb.3368:                             ;   in Loop: Header=BB4_3084 Depth=2
	v_bfrev_b32_e32 v21, 1
	s_mov_b32 s42, exec_lo
	v_cmpx_ne_u16_e32 0xff80, v76
	s_cbranch_execz .LBB4_3376
; %bb.3369:                             ;   in Loop: Header=BB4_3084 Depth=2
	v_and_b32_e32 v21, 0x7c, v76
	v_and_b32_e32 v23, 3, v76
	s_delay_alu instid0(VALU_DEP_2) | instskip(SKIP_1) | instid1(SALU_CYCLE_1)
	v_cmp_ne_u32_e32 vcc_lo, 0x7c, v21
                                        ; implicit-def: $vgpr21
	s_and_saveexec_b32 s43, vcc_lo
	s_xor_b32 s43, exec_lo, s43
	s_cbranch_execz .LBB4_3373
; %bb.3370:                             ;   in Loop: Header=BB4_3084 Depth=2
	v_and_b32_e32 v21, 0xff, v76
	s_mov_b32 s44, exec_lo
	s_delay_alu instid0(VALU_DEP_1) | instskip(NEXT) | instid1(VALU_DEP_1)
	v_bfe_u32 v21, v21, 2, 5
	v_cmpx_eq_u32_e32 0, v21
	s_cbranch_execz .LBB4_3372
; %bb.3371:                             ;   in Loop: Header=BB4_3084 Depth=2
	v_clz_i32_u32_e32 v21, v23
	s_delay_alu instid0(VALU_DEP_1) | instskip(SKIP_1) | instid1(VALU_DEP_2)
	v_min_u32_e32 v21, 32, v21
	v_mov_b32_e32 v77, v55
	v_subrev_nc_u32_e32 v23, 29, v21
	v_sub_nc_u32_e32 v21, 30, v21
	s_delay_alu instid0(VALU_DEP_2) | instskip(NEXT) | instid1(VALU_DEP_1)
	v_lshlrev_b64_e32 v[82:83], v23, v[76:77]
	v_and_b32_e32 v23, 3, v82
.LBB4_3372:                             ;   in Loop: Header=BB4_3084 Depth=2
	s_or_b32 exec_lo, exec_lo, s44
	v_bfe_i32 v25, v76, 0, 16
	s_delay_alu instid0(VALU_DEP_1) | instskip(NEXT) | instid1(VALU_DEP_1)
	v_and_b32_e32 v25, 0x80000000, v25
	v_lshl_add_u32 v21, v21, 23, v25
	s_delay_alu instid0(VALU_DEP_1) | instskip(NEXT) | instid1(VALU_DEP_1)
	v_lshl_or_b32 v21, v23, 21, v21
                                        ; implicit-def: $vgpr23
	v_add_nc_u32_e32 v21, 0x38000000, v21
.LBB4_3373:                             ;   in Loop: Header=BB4_3084 Depth=2
	s_and_not1_saveexec_b32 s43, s43
; %bb.3374:                             ;   in Loop: Header=BB4_3084 Depth=2
	v_cmp_lt_i16_e32 vcc_lo, -1, v76
	v_cndmask_b32_e32 v21, 0xff800000, v126, vcc_lo
	v_cmp_eq_u32_e32 vcc_lo, 0, v23
	s_delay_alu instid0(VALU_DEP_2)
	v_cndmask_b32_e32 v21, 0x7f800001, v21, vcc_lo
; %bb.3375:                             ;   in Loop: Header=BB4_3084 Depth=2
	s_or_b32 exec_lo, exec_lo, s43
.LBB4_3376:                             ;   in Loop: Header=BB4_3084 Depth=2
	s_delay_alu instid0(SALU_CYCLE_1)
	s_or_b32 exec_lo, exec_lo, s42
.LBB4_3377:                             ;   in Loop: Header=BB4_3084 Depth=2
	s_delay_alu instid0(SALU_CYCLE_1) | instskip(NEXT) | instid1(VALU_DEP_1)
	s_or_b32 exec_lo, exec_lo, s15
	v_dual_max_num_f32 v21, v21, v21 :: v_dual_max_num_f32 v19, v19, v19
	s_mov_b32 s15, 0
	s_delay_alu instid0(VALU_DEP_1)
	v_max_num_f32_e32 v19, v19, v21
.LBB4_3378:                             ;   in Loop: Header=BB4_3084 Depth=2
	s_and_b32 vcc_lo, exec_lo, s15
	s_cbranch_vccz .LBB4_3400
; %bb.3379:                             ;   in Loop: Header=BB4_3084 Depth=2
	v_dual_mov_b32 v21, 0 :: v_dual_mov_b32 v19, 0
	s_and_saveexec_b32 s15, s10
	s_cbranch_execz .LBB4_3389
; %bb.3380:                             ;   in Loop: Header=BB4_3084 Depth=2
	v_bfrev_b32_e32 v19, 1
	s_mov_b32 s10, exec_lo
	v_cmpx_ne_u16_e32 0xff80, v78
	s_cbranch_execz .LBB4_3388
; %bb.3381:                             ;   in Loop: Header=BB4_3084 Depth=2
	v_and_b32_e32 v19, 0x7c, v17
	v_and_b32_e32 v23, 3, v17
	s_delay_alu instid0(VALU_DEP_2) | instskip(SKIP_1) | instid1(SALU_CYCLE_1)
	v_cmp_ne_u32_e32 vcc_lo, 0x7c, v19
                                        ; implicit-def: $vgpr19
	s_and_saveexec_b32 s42, vcc_lo
	s_xor_b32 s42, exec_lo, s42
	s_cbranch_execz .LBB4_3385
; %bb.3382:                             ;   in Loop: Header=BB4_3084 Depth=2
	v_bfe_u32 v17, v17, 2, 5
	s_mov_b32 s43, exec_lo
	s_delay_alu instid0(VALU_DEP_1)
	v_cmpx_eq_u32_e32 0, v17
	s_cbranch_execz .LBB4_3384
; %bb.3383:                             ;   in Loop: Header=BB4_3084 Depth=2
	v_clz_i32_u32_e32 v17, v23
	s_delay_alu instid0(VALU_DEP_1) | instskip(SKIP_1) | instid1(VALU_DEP_2)
	v_min_u32_e32 v17, 32, v17
	v_mov_b32_e32 v79, v55
	v_subrev_nc_u32_e32 v19, 29, v17
	v_sub_nc_u32_e32 v17, 30, v17
	s_delay_alu instid0(VALU_DEP_2) | instskip(NEXT) | instid1(VALU_DEP_1)
	v_lshlrev_b64_e32 v[82:83], v19, v[78:79]
	v_and_b32_e32 v23, 3, v82
.LBB4_3384:                             ;   in Loop: Header=BB4_3084 Depth=2
	s_or_b32 exec_lo, exec_lo, s43
	v_bfe_i32 v19, v78, 0, 16
                                        ; implicit-def: $vgpr78
	s_delay_alu instid0(VALU_DEP_1) | instskip(NEXT) | instid1(VALU_DEP_1)
	v_and_b32_e32 v19, 0x80000000, v19
	v_lshl_add_u32 v17, v17, 23, v19
	s_delay_alu instid0(VALU_DEP_1) | instskip(NEXT) | instid1(VALU_DEP_1)
	v_lshl_or_b32 v17, v23, 21, v17
                                        ; implicit-def: $vgpr23
	v_add_nc_u32_e32 v19, 0x38000000, v17
.LBB4_3385:                             ;   in Loop: Header=BB4_3084 Depth=2
	s_and_not1_saveexec_b32 s42, s42
; %bb.3386:                             ;   in Loop: Header=BB4_3084 Depth=2
	v_cmp_lt_i16_e32 vcc_lo, -1, v78
	v_cndmask_b32_e32 v17, 0xff800000, v126, vcc_lo
	v_cmp_eq_u32_e32 vcc_lo, 0, v23
	s_delay_alu instid0(VALU_DEP_2)
	v_cndmask_b32_e32 v19, 0x7f800001, v17, vcc_lo
; %bb.3387:                             ;   in Loop: Header=BB4_3084 Depth=2
	s_or_b32 exec_lo, exec_lo, s42
.LBB4_3388:                             ;   in Loop: Header=BB4_3084 Depth=2
	s_delay_alu instid0(SALU_CYCLE_1)
	s_or_b32 exec_lo, exec_lo, s10
.LBB4_3389:                             ;   in Loop: Header=BB4_3084 Depth=2
	s_delay_alu instid0(SALU_CYCLE_1) | instskip(NEXT) | instid1(SALU_CYCLE_1)
	s_or_b32 exec_lo, exec_lo, s15
	s_mov_b32 s10, exec_lo
	s_wait_loadcnt_dscnt 0xb0b
	v_cmpx_ne_u16_e32 0, v76
	s_cbranch_execz .LBB4_3399
; %bb.3390:                             ;   in Loop: Header=BB4_3084 Depth=2
	v_bfrev_b32_e32 v21, 1
	s_mov_b32 s15, exec_lo
	v_cmpx_ne_u16_e32 0xff80, v76
	s_cbranch_execz .LBB4_3398
; %bb.3391:                             ;   in Loop: Header=BB4_3084 Depth=2
	v_and_b32_e32 v21, 0x7c, v76
	v_and_b32_e32 v17, 3, v76
	s_delay_alu instid0(VALU_DEP_2) | instskip(SKIP_1) | instid1(SALU_CYCLE_1)
	v_cmp_ne_u32_e32 vcc_lo, 0x7c, v21
                                        ; implicit-def: $vgpr21
	s_and_saveexec_b32 s42, vcc_lo
	s_xor_b32 s42, exec_lo, s42
	s_cbranch_execz .LBB4_3395
; %bb.3392:                             ;   in Loop: Header=BB4_3084 Depth=2
	v_and_b32_e32 v21, 0xff, v76
	s_mov_b32 s43, exec_lo
	s_delay_alu instid0(VALU_DEP_1) | instskip(NEXT) | instid1(VALU_DEP_1)
	v_bfe_u32 v21, v21, 2, 5
	v_cmpx_eq_u32_e32 0, v21
; %bb.3393:                             ;   in Loop: Header=BB4_3084 Depth=2
	v_clz_i32_u32_e32 v17, v17
	s_delay_alu instid0(VALU_DEP_1) | instskip(SKIP_1) | instid1(VALU_DEP_2)
	v_min_u32_e32 v17, 32, v17
	v_mov_b32_e32 v77, v55
	v_subrev_nc_u32_e32 v21, 29, v17
	s_delay_alu instid0(VALU_DEP_1) | instskip(NEXT) | instid1(VALU_DEP_1)
	v_lshlrev_b64_e32 v[82:83], v21, v[76:77]
	v_dual_sub_nc_u32 v21, 30, v17 :: v_dual_bitop2_b32 v17, 3, v82 bitop3:0x40
; %bb.3394:                             ;   in Loop: Header=BB4_3084 Depth=2
	s_or_b32 exec_lo, exec_lo, s43
	v_bfe_i32 v23, v76, 0, 16
                                        ; implicit-def: $vgpr76
	s_delay_alu instid0(VALU_DEP_1) | instskip(NEXT) | instid1(VALU_DEP_1)
	v_and_b32_e32 v23, 0x80000000, v23
	v_lshl_add_u32 v21, v21, 23, v23
	s_delay_alu instid0(VALU_DEP_1) | instskip(NEXT) | instid1(VALU_DEP_1)
	v_lshl_or_b32 v17, v17, 21, v21
	v_add_nc_u32_e32 v21, 0x38000000, v17
                                        ; implicit-def: $vgpr17
.LBB4_3395:                             ;   in Loop: Header=BB4_3084 Depth=2
	s_and_not1_saveexec_b32 s42, s42
; %bb.3396:                             ;   in Loop: Header=BB4_3084 Depth=2
	v_cmp_lt_i16_e32 vcc_lo, -1, v76
	v_cndmask_b32_e32 v21, 0xff800000, v126, vcc_lo
	v_cmp_eq_u32_e32 vcc_lo, 0, v17
	s_delay_alu instid0(VALU_DEP_2)
	v_cndmask_b32_e32 v21, 0x7f800001, v21, vcc_lo
; %bb.3397:                             ;   in Loop: Header=BB4_3084 Depth=2
	s_or_b32 exec_lo, exec_lo, s42
.LBB4_3398:                             ;   in Loop: Header=BB4_3084 Depth=2
	s_delay_alu instid0(SALU_CYCLE_1)
	s_or_b32 exec_lo, exec_lo, s15
.LBB4_3399:                             ;   in Loop: Header=BB4_3084 Depth=2
	s_delay_alu instid0(SALU_CYCLE_1) | instskip(NEXT) | instid1(VALU_DEP_1)
	s_or_b32 exec_lo, exec_lo, s10
	v_dual_max_num_f32 v17, v21, v21 :: v_dual_max_num_f32 v19, v19, v19
	s_delay_alu instid0(VALU_DEP_1)
	v_min_num_f32_e32 v19, v19, v17
.LBB4_3400:                             ;   in Loop: Header=BB4_3084 Depth=2
	s_delay_alu instid0(VALU_DEP_1) | instskip(SKIP_3) | instid1(VALU_DEP_2)
	v_and_b32_e32 v82, 0x7f800000, v19
	v_mov_b32_e32 v83, v55
	v_and_b32_e32 v54, 0x7fffff, v19
                                        ; implicit-def: $vgpr77
	s_mov_b32 s10, exec_lo
	v_cmpx_ne_u64_e32 0x7f800000, v[82:83]
	s_xor_b32 s15, exec_lo, s10
	s_cbranch_execz .LBB4_3418
; %bb.3401:                             ;   in Loop: Header=BB4_3084 Depth=2
	v_dual_mov_b32 v83, v55 :: v_dual_lshrrev_b32 v17, 24, v19
	v_and_b32_e32 v82, 0x7fffffff, v19
                                        ; implicit-def: $vgpr77
	s_mov_b32 s10, exec_lo
	s_delay_alu instid0(VALU_DEP_2) | instskip(NEXT) | instid1(VALU_DEP_2)
	v_and_b32_e32 v17, 0x80, v17
	v_cmpx_gt_u64_e32 0x47600001, v[82:83]
	s_xor_b32 s42, exec_lo, s10
	s_cbranch_execz .LBB4_3415
; %bb.3402:                             ;   in Loop: Header=BB4_3084 Depth=2
	v_mov_b32_e32 v77, 0
	s_mov_b32 s43, exec_lo
	v_cmpx_ne_u32_e32 0, v19
	s_cbranch_execz .LBB4_3414
; %bb.3403:                             ;   in Loop: Header=BB4_3084 Depth=2
	v_bfe_u32 v19, v19, 23, 8
	v_or_b32_e32 v25, 0x800000, v54
	s_delay_alu instid0(VALU_DEP_2) | instskip(SKIP_1) | instid1(VALU_DEP_2)
	v_sub_nc_u32_e32 v21, 0x71, v19
	v_cmp_gt_u32_e32 vcc_lo, 0x72, v19
	v_cndmask_b32_e32 v21, 0, v21, vcc_lo
	v_cmp_eq_u32_e32 vcc_lo, 0, v19
	s_delay_alu instid0(VALU_DEP_2) | instskip(NEXT) | instid1(VALU_DEP_1)
	v_cndmask_b32_e64 v21, v21, 0x70, vcc_lo
	v_dual_cndmask_b32 v54, v25, v54 :: v_dual_add_nc_u32 v23, 21, v21
	s_wait_loadcnt_dscnt 0xb0b
	s_delay_alu instid0(VALU_DEP_1) | instskip(NEXT) | instid1(VALU_DEP_2)
	v_lshrrev_b64 v[76:77], v21, v[54:55]
	v_lshlrev_b64_e64 v[82:83], v23, -1
	v_add_nc_u32_e32 v23, 20, v21
	s_delay_alu instid0(VALU_DEP_1) | instskip(NEXT) | instid1(VALU_DEP_3)
	v_lshlrev_b64_e64 v[78:79], v23, 1
	v_bfi_b32 v83, v83, 0, 0
	s_delay_alu instid0(VALU_DEP_4) | instskip(NEXT) | instid1(VALU_DEP_1)
	v_bfi_b32 v82, v82, 0, v54
	v_cmp_eq_u64_e64 s10, v[82:83], v[78:79]
	v_mov_b64_e32 v[78:79], v[76:77]
	s_and_saveexec_b32 s44, s10
; %bb.3404:                             ;   in Loop: Header=BB4_3084 Depth=2
	v_bfe_u32 v54, v76, 21, 1
	s_delay_alu instid0(VALU_DEP_1) | instskip(NEXT) | instid1(VALU_DEP_1)
	v_add_nc_u64_e32 v[82:83], v[76:77], v[54:55]
	v_add_nc_u64_e32 v[78:79], -1, v[82:83]
; %bb.3405:                             ;   in Loop: Header=BB4_3084 Depth=2
	s_or_b32 exec_lo, exec_lo, s44
	v_add_nc_u32_e32 v19, 0xffffff81, v19
	v_lshrrev_b32_e32 v23, 23, v76
	s_mov_b32 s10, exec_lo
	s_delay_alu instid0(VALU_DEP_2) | instskip(NEXT) | instid1(VALU_DEP_1)
	v_cndmask_b32_e64 v19, v19, 0xffffff82, vcc_lo
	v_add3_u32 v21, v21, v19, v23
	v_and_b32_e32 v19, 0x1fffff, v78
	s_delay_alu instid0(VALU_DEP_1) | instskip(NEXT) | instid1(VALU_DEP_1)
	v_dual_add_nc_u32 v23, 14, v21 :: v_dual_add_nc_u32 v54, v19, v76
                                        ; implicit-def: $vgpr76_vgpr77
                                        ; implicit-def: $vgpr19
	v_cmpx_ne_u32_e32 0, v23
	s_xor_b32 s10, exec_lo, s10
; %bb.3406:                             ;   in Loop: Header=BB4_3084 Depth=2
	s_delay_alu instid0(VALU_DEP_2) | instskip(SKIP_2) | instid1(VALU_DEP_2)
	v_cmp_lt_u64_e32 vcc_lo, 0xffffff, v[54:55]
	v_add_nc_u32_e32 v19, 15, v21
	v_cndmask_b32_e64 v21, 0, 1, vcc_lo
	v_cndmask_b32_e32 v19, v23, v19, vcc_lo
	s_delay_alu instid0(VALU_DEP_2)
	v_lshrrev_b64 v[76:77], v21, v[54:55]
; %bb.3407:                             ;   in Loop: Header=BB4_3084 Depth=2
	s_and_not1_saveexec_b32 s10, s10
; %bb.3408:                             ;   in Loop: Header=BB4_3084 Depth=2
	v_mov_b64_e32 v[76:77], v[54:55]
	v_bfe_u32 v19, v54, 23, 1
; %bb.3409:                             ;   in Loop: Header=BB4_3084 Depth=2
	s_or_b32 exec_lo, exec_lo, s10
	s_delay_alu instid0(VALU_DEP_2) | instskip(NEXT) | instid1(VALU_DEP_2)
	v_lshrrev_b64 v[82:83], 21, v[76:77]
	v_cmp_gt_i32_e32 vcc_lo, 32, v19
	v_cmp_ne_u32_e64 s10, 0, v19
	s_delay_alu instid0(VALU_DEP_3) | instskip(NEXT) | instid1(VALU_DEP_1)
	v_dual_cndmask_b32 v77, 0, v83 :: v_dual_cndmask_b32 v76, 3, v82
	v_cmp_ne_u64_e32 vcc_lo, 0, v[76:77]
                                        ; implicit-def: $vgpr77
	s_or_b32 s10, s10, vcc_lo
	s_delay_alu instid0(SALU_CYCLE_1) | instskip(NEXT) | instid1(SALU_CYCLE_1)
	s_and_saveexec_b32 s44, s10
	s_xor_b32 s10, exec_lo, s44
; %bb.3410:                             ;   in Loop: Header=BB4_3084 Depth=2
	v_min_i32_e32 v19, 31, v19
	s_delay_alu instid0(VALU_DEP_1) | instskip(NEXT) | instid1(VALU_DEP_1)
	v_lshl_or_b32 v17, v19, 2, v17
	v_and_or_b32 v77, v76, 3, v17
                                        ; implicit-def: $vgpr17
; %bb.3411:                             ;   in Loop: Header=BB4_3084 Depth=2
	s_and_not1_saveexec_b32 s10, s10
; %bb.3412:                             ;   in Loop: Header=BB4_3084 Depth=2
	v_mov_b32_e32 v77, v17
; %bb.3413:                             ;   in Loop: Header=BB4_3084 Depth=2
	s_or_b32 exec_lo, exec_lo, s10
.LBB4_3414:                             ;   in Loop: Header=BB4_3084 Depth=2
	s_delay_alu instid0(SALU_CYCLE_1)
	s_or_b32 exec_lo, exec_lo, s43
                                        ; implicit-def: $vgpr17
.LBB4_3415:                             ;   in Loop: Header=BB4_3084 Depth=2
	s_and_not1_saveexec_b32 s10, s42
; %bb.3416:                             ;   in Loop: Header=BB4_3084 Depth=2
	v_or_b32_e32 v77, 0x7b, v17
; %bb.3417:                             ;   in Loop: Header=BB4_3084 Depth=2
	s_or_b32 exec_lo, exec_lo, s10
                                        ; implicit-def: $vgpr19
.LBB4_3418:                             ;   in Loop: Header=BB4_3084 Depth=2
	s_and_not1_saveexec_b32 s10, s15
	s_cbranch_execz .LBB4_3424
; %bb.3419:                             ;   in Loop: Header=BB4_3084 Depth=2
	s_mov_b32 s15, exec_lo
                                        ; implicit-def: $vgpr77
	v_cmpx_ne_u64_e32 0, v[54:55]
	s_xor_b32 s15, exec_lo, s15
; %bb.3420:                             ;   in Loop: Header=BB4_3084 Depth=2
	v_lshrrev_b32_e32 v17, 24, v19
                                        ; implicit-def: $vgpr19
	s_delay_alu instid0(VALU_DEP_1)
	v_or_b32_e32 v77, 0x7f, v17
; %bb.3421:                             ;   in Loop: Header=BB4_3084 Depth=2
	s_and_not1_saveexec_b32 s15, s15
; %bb.3422:                             ;   in Loop: Header=BB4_3084 Depth=2
	v_cmp_lt_i32_e32 vcc_lo, -1, v19
	v_cndmask_b32_e64 v77, -4, 0x7c, vcc_lo
; %bb.3423:                             ;   in Loop: Header=BB4_3084 Depth=2
	s_or_b32 exec_lo, exec_lo, s15
.LBB4_3424:                             ;   in Loop: Header=BB4_3084 Depth=2
	s_delay_alu instid0(SALU_CYCLE_1)
	s_or_b32 exec_lo, exec_lo, s10
	v_and_b32_e32 v17, 0xff, v74
	v_cmp_ne_u16_e64 s10, 0, v74
	s_and_not1_b32 vcc_lo, exec_lo, s14
	s_mov_b32 s15, -1
                                        ; implicit-def: $vgpr19
	s_cbranch_vccnz .LBB4_3446
; %bb.3425:                             ;   in Loop: Header=BB4_3084 Depth=2
	v_dual_mov_b32 v21, 0 :: v_dual_mov_b32 v19, 0
	s_and_saveexec_b32 s15, s10
	s_cbranch_execz .LBB4_3435
; %bb.3426:                             ;   in Loop: Header=BB4_3084 Depth=2
	v_bfrev_b32_e32 v19, 1
	s_mov_b32 s42, exec_lo
	v_cmpx_ne_u16_e32 0xff80, v74
	s_cbranch_execz .LBB4_3434
; %bb.3427:                             ;   in Loop: Header=BB4_3084 Depth=2
	v_and_b32_e32 v19, 0x7c, v17
	v_and_b32_e32 v23, 3, v17
	s_delay_alu instid0(VALU_DEP_2) | instskip(SKIP_1) | instid1(SALU_CYCLE_1)
	v_cmp_ne_u32_e32 vcc_lo, 0x7c, v19
                                        ; implicit-def: $vgpr19
	s_and_saveexec_b32 s43, vcc_lo
	s_xor_b32 s43, exec_lo, s43
	s_cbranch_execz .LBB4_3431
; %bb.3428:                             ;   in Loop: Header=BB4_3084 Depth=2
	v_bfe_u32 v19, v17, 2, 5
	s_mov_b32 s44, exec_lo
	s_delay_alu instid0(VALU_DEP_1)
	v_cmpx_eq_u32_e32 0, v19
	s_cbranch_execz .LBB4_3430
; %bb.3429:                             ;   in Loop: Header=BB4_3084 Depth=2
	v_clz_i32_u32_e32 v19, v23
	s_delay_alu instid0(VALU_DEP_1) | instskip(SKIP_1) | instid1(VALU_DEP_2)
	v_min_u32_e32 v19, 32, v19
	v_mov_b32_e32 v75, v55
	v_subrev_nc_u32_e32 v23, 29, v19
	v_sub_nc_u32_e32 v19, 30, v19
	s_delay_alu instid0(VALU_DEP_2) | instskip(NEXT) | instid1(VALU_DEP_1)
	v_lshlrev_b64_e32 v[82:83], v23, v[74:75]
	v_and_b32_e32 v23, 3, v82
.LBB4_3430:                             ;   in Loop: Header=BB4_3084 Depth=2
	s_or_b32 exec_lo, exec_lo, s44
	v_bfe_i32 v25, v74, 0, 16
	s_delay_alu instid0(VALU_DEP_1) | instskip(NEXT) | instid1(VALU_DEP_1)
	v_and_b32_e32 v25, 0x80000000, v25
	v_lshl_add_u32 v19, v19, 23, v25
	s_delay_alu instid0(VALU_DEP_1) | instskip(NEXT) | instid1(VALU_DEP_1)
	v_lshl_or_b32 v19, v23, 21, v19
                                        ; implicit-def: $vgpr23
	v_add_nc_u32_e32 v19, 0x38000000, v19
.LBB4_3431:                             ;   in Loop: Header=BB4_3084 Depth=2
	s_and_not1_saveexec_b32 s43, s43
; %bb.3432:                             ;   in Loop: Header=BB4_3084 Depth=2
	v_cmp_lt_i16_e32 vcc_lo, -1, v74
	v_cndmask_b32_e32 v19, 0xff800000, v126, vcc_lo
	v_cmp_eq_u32_e32 vcc_lo, 0, v23
	s_delay_alu instid0(VALU_DEP_2)
	v_cndmask_b32_e32 v19, 0x7f800001, v19, vcc_lo
; %bb.3433:                             ;   in Loop: Header=BB4_3084 Depth=2
	s_or_b32 exec_lo, exec_lo, s43
.LBB4_3434:                             ;   in Loop: Header=BB4_3084 Depth=2
	s_delay_alu instid0(SALU_CYCLE_1)
	s_or_b32 exec_lo, exec_lo, s42
.LBB4_3435:                             ;   in Loop: Header=BB4_3084 Depth=2
	s_delay_alu instid0(SALU_CYCLE_1) | instskip(NEXT) | instid1(SALU_CYCLE_1)
	s_or_b32 exec_lo, exec_lo, s15
	s_mov_b32 s15, exec_lo
	s_wait_loadcnt_dscnt 0xa0a
	v_cmpx_ne_u16_e32 0, v72
	s_cbranch_execz .LBB4_3445
; %bb.3436:                             ;   in Loop: Header=BB4_3084 Depth=2
	v_bfrev_b32_e32 v21, 1
	s_mov_b32 s42, exec_lo
	v_cmpx_ne_u16_e32 0xff80, v72
	s_cbranch_execz .LBB4_3444
; %bb.3437:                             ;   in Loop: Header=BB4_3084 Depth=2
	v_and_b32_e32 v21, 0x7c, v72
	v_and_b32_e32 v23, 3, v72
	s_delay_alu instid0(VALU_DEP_2) | instskip(SKIP_1) | instid1(SALU_CYCLE_1)
	v_cmp_ne_u32_e32 vcc_lo, 0x7c, v21
                                        ; implicit-def: $vgpr21
	s_and_saveexec_b32 s43, vcc_lo
	s_xor_b32 s43, exec_lo, s43
	s_cbranch_execz .LBB4_3441
; %bb.3438:                             ;   in Loop: Header=BB4_3084 Depth=2
	v_and_b32_e32 v21, 0xff, v72
	s_mov_b32 s44, exec_lo
	s_delay_alu instid0(VALU_DEP_1) | instskip(NEXT) | instid1(VALU_DEP_1)
	v_bfe_u32 v21, v21, 2, 5
	v_cmpx_eq_u32_e32 0, v21
	s_cbranch_execz .LBB4_3440
; %bb.3439:                             ;   in Loop: Header=BB4_3084 Depth=2
	v_clz_i32_u32_e32 v21, v23
	s_delay_alu instid0(VALU_DEP_1) | instskip(SKIP_1) | instid1(VALU_DEP_2)
	v_min_u32_e32 v21, 32, v21
	v_mov_b32_e32 v73, v55
	v_subrev_nc_u32_e32 v23, 29, v21
	v_sub_nc_u32_e32 v21, 30, v21
	s_delay_alu instid0(VALU_DEP_2) | instskip(NEXT) | instid1(VALU_DEP_1)
	v_lshlrev_b64_e32 v[82:83], v23, v[72:73]
	v_and_b32_e32 v23, 3, v82
.LBB4_3440:                             ;   in Loop: Header=BB4_3084 Depth=2
	s_or_b32 exec_lo, exec_lo, s44
	v_bfe_i32 v25, v72, 0, 16
	s_delay_alu instid0(VALU_DEP_1) | instskip(NEXT) | instid1(VALU_DEP_1)
	v_and_b32_e32 v25, 0x80000000, v25
	v_lshl_add_u32 v21, v21, 23, v25
	s_delay_alu instid0(VALU_DEP_1) | instskip(NEXT) | instid1(VALU_DEP_1)
	v_lshl_or_b32 v21, v23, 21, v21
                                        ; implicit-def: $vgpr23
	v_add_nc_u32_e32 v21, 0x38000000, v21
.LBB4_3441:                             ;   in Loop: Header=BB4_3084 Depth=2
	s_and_not1_saveexec_b32 s43, s43
; %bb.3442:                             ;   in Loop: Header=BB4_3084 Depth=2
	v_cmp_lt_i16_e32 vcc_lo, -1, v72
	v_cndmask_b32_e32 v21, 0xff800000, v126, vcc_lo
	v_cmp_eq_u32_e32 vcc_lo, 0, v23
	s_delay_alu instid0(VALU_DEP_2)
	v_cndmask_b32_e32 v21, 0x7f800001, v21, vcc_lo
; %bb.3443:                             ;   in Loop: Header=BB4_3084 Depth=2
	s_or_b32 exec_lo, exec_lo, s43
.LBB4_3444:                             ;   in Loop: Header=BB4_3084 Depth=2
	s_delay_alu instid0(SALU_CYCLE_1)
	s_or_b32 exec_lo, exec_lo, s42
.LBB4_3445:                             ;   in Loop: Header=BB4_3084 Depth=2
	s_delay_alu instid0(SALU_CYCLE_1) | instskip(NEXT) | instid1(VALU_DEP_1)
	s_or_b32 exec_lo, exec_lo, s15
	v_dual_max_num_f32 v21, v21, v21 :: v_dual_max_num_f32 v19, v19, v19
	s_mov_b32 s15, 0
	s_delay_alu instid0(VALU_DEP_1)
	v_max_num_f32_e32 v19, v19, v21
.LBB4_3446:                             ;   in Loop: Header=BB4_3084 Depth=2
	s_and_b32 vcc_lo, exec_lo, s15
	s_cbranch_vccz .LBB4_3468
; %bb.3447:                             ;   in Loop: Header=BB4_3084 Depth=2
	v_dual_mov_b32 v21, 0 :: v_dual_mov_b32 v19, 0
	s_and_saveexec_b32 s15, s10
	s_cbranch_execz .LBB4_3457
; %bb.3448:                             ;   in Loop: Header=BB4_3084 Depth=2
	v_bfrev_b32_e32 v19, 1
	s_mov_b32 s10, exec_lo
	v_cmpx_ne_u16_e32 0xff80, v74
	s_cbranch_execz .LBB4_3456
; %bb.3449:                             ;   in Loop: Header=BB4_3084 Depth=2
	v_and_b32_e32 v19, 0x7c, v17
	v_and_b32_e32 v23, 3, v17
	s_delay_alu instid0(VALU_DEP_2) | instskip(SKIP_1) | instid1(SALU_CYCLE_1)
	v_cmp_ne_u32_e32 vcc_lo, 0x7c, v19
                                        ; implicit-def: $vgpr19
	s_and_saveexec_b32 s42, vcc_lo
	s_xor_b32 s42, exec_lo, s42
	s_cbranch_execz .LBB4_3453
; %bb.3450:                             ;   in Loop: Header=BB4_3084 Depth=2
	v_bfe_u32 v17, v17, 2, 5
	s_mov_b32 s43, exec_lo
	s_delay_alu instid0(VALU_DEP_1)
	v_cmpx_eq_u32_e32 0, v17
	s_cbranch_execz .LBB4_3452
; %bb.3451:                             ;   in Loop: Header=BB4_3084 Depth=2
	v_clz_i32_u32_e32 v17, v23
	s_delay_alu instid0(VALU_DEP_1) | instskip(SKIP_1) | instid1(VALU_DEP_2)
	v_min_u32_e32 v17, 32, v17
	v_mov_b32_e32 v75, v55
	v_subrev_nc_u32_e32 v19, 29, v17
	v_sub_nc_u32_e32 v17, 30, v17
	s_delay_alu instid0(VALU_DEP_2) | instskip(NEXT) | instid1(VALU_DEP_1)
	v_lshlrev_b64_e32 v[82:83], v19, v[74:75]
	v_and_b32_e32 v23, 3, v82
.LBB4_3452:                             ;   in Loop: Header=BB4_3084 Depth=2
	s_or_b32 exec_lo, exec_lo, s43
	v_bfe_i32 v19, v74, 0, 16
                                        ; implicit-def: $vgpr74
	s_delay_alu instid0(VALU_DEP_1) | instskip(NEXT) | instid1(VALU_DEP_1)
	v_and_b32_e32 v19, 0x80000000, v19
	v_lshl_add_u32 v17, v17, 23, v19
	s_delay_alu instid0(VALU_DEP_1) | instskip(NEXT) | instid1(VALU_DEP_1)
	v_lshl_or_b32 v17, v23, 21, v17
                                        ; implicit-def: $vgpr23
	v_add_nc_u32_e32 v19, 0x38000000, v17
.LBB4_3453:                             ;   in Loop: Header=BB4_3084 Depth=2
	s_and_not1_saveexec_b32 s42, s42
; %bb.3454:                             ;   in Loop: Header=BB4_3084 Depth=2
	v_cmp_lt_i16_e32 vcc_lo, -1, v74
	v_cndmask_b32_e32 v17, 0xff800000, v126, vcc_lo
	v_cmp_eq_u32_e32 vcc_lo, 0, v23
	s_delay_alu instid0(VALU_DEP_2)
	v_cndmask_b32_e32 v19, 0x7f800001, v17, vcc_lo
; %bb.3455:                             ;   in Loop: Header=BB4_3084 Depth=2
	s_or_b32 exec_lo, exec_lo, s42
.LBB4_3456:                             ;   in Loop: Header=BB4_3084 Depth=2
	s_delay_alu instid0(SALU_CYCLE_1)
	s_or_b32 exec_lo, exec_lo, s10
.LBB4_3457:                             ;   in Loop: Header=BB4_3084 Depth=2
	s_delay_alu instid0(SALU_CYCLE_1) | instskip(NEXT) | instid1(SALU_CYCLE_1)
	s_or_b32 exec_lo, exec_lo, s15
	s_mov_b32 s10, exec_lo
	s_wait_loadcnt_dscnt 0xa0a
	v_cmpx_ne_u16_e32 0, v72
	s_cbranch_execz .LBB4_3467
; %bb.3458:                             ;   in Loop: Header=BB4_3084 Depth=2
	v_bfrev_b32_e32 v21, 1
	s_mov_b32 s15, exec_lo
	v_cmpx_ne_u16_e32 0xff80, v72
	s_cbranch_execz .LBB4_3466
; %bb.3459:                             ;   in Loop: Header=BB4_3084 Depth=2
	v_and_b32_e32 v21, 0x7c, v72
	v_and_b32_e32 v17, 3, v72
	s_delay_alu instid0(VALU_DEP_2) | instskip(SKIP_1) | instid1(SALU_CYCLE_1)
	v_cmp_ne_u32_e32 vcc_lo, 0x7c, v21
                                        ; implicit-def: $vgpr21
	s_and_saveexec_b32 s42, vcc_lo
	s_xor_b32 s42, exec_lo, s42
	s_cbranch_execz .LBB4_3463
; %bb.3460:                             ;   in Loop: Header=BB4_3084 Depth=2
	v_and_b32_e32 v21, 0xff, v72
	s_mov_b32 s43, exec_lo
	s_delay_alu instid0(VALU_DEP_1) | instskip(NEXT) | instid1(VALU_DEP_1)
	v_bfe_u32 v21, v21, 2, 5
	v_cmpx_eq_u32_e32 0, v21
; %bb.3461:                             ;   in Loop: Header=BB4_3084 Depth=2
	v_clz_i32_u32_e32 v17, v17
	s_delay_alu instid0(VALU_DEP_1) | instskip(SKIP_1) | instid1(VALU_DEP_2)
	v_min_u32_e32 v17, 32, v17
	v_mov_b32_e32 v73, v55
	v_subrev_nc_u32_e32 v21, 29, v17
	s_delay_alu instid0(VALU_DEP_1) | instskip(NEXT) | instid1(VALU_DEP_1)
	v_lshlrev_b64_e32 v[82:83], v21, v[72:73]
	v_dual_sub_nc_u32 v21, 30, v17 :: v_dual_bitop2_b32 v17, 3, v82 bitop3:0x40
; %bb.3462:                             ;   in Loop: Header=BB4_3084 Depth=2
	s_or_b32 exec_lo, exec_lo, s43
	v_bfe_i32 v23, v72, 0, 16
                                        ; implicit-def: $vgpr72
	s_delay_alu instid0(VALU_DEP_1) | instskip(NEXT) | instid1(VALU_DEP_1)
	v_and_b32_e32 v23, 0x80000000, v23
	v_lshl_add_u32 v21, v21, 23, v23
	s_delay_alu instid0(VALU_DEP_1) | instskip(NEXT) | instid1(VALU_DEP_1)
	v_lshl_or_b32 v17, v17, 21, v21
	v_add_nc_u32_e32 v21, 0x38000000, v17
                                        ; implicit-def: $vgpr17
.LBB4_3463:                             ;   in Loop: Header=BB4_3084 Depth=2
	s_and_not1_saveexec_b32 s42, s42
; %bb.3464:                             ;   in Loop: Header=BB4_3084 Depth=2
	v_cmp_lt_i16_e32 vcc_lo, -1, v72
	v_cndmask_b32_e32 v21, 0xff800000, v126, vcc_lo
	v_cmp_eq_u32_e32 vcc_lo, 0, v17
	s_delay_alu instid0(VALU_DEP_2)
	v_cndmask_b32_e32 v21, 0x7f800001, v21, vcc_lo
; %bb.3465:                             ;   in Loop: Header=BB4_3084 Depth=2
	s_or_b32 exec_lo, exec_lo, s42
.LBB4_3466:                             ;   in Loop: Header=BB4_3084 Depth=2
	s_delay_alu instid0(SALU_CYCLE_1)
	s_or_b32 exec_lo, exec_lo, s15
.LBB4_3467:                             ;   in Loop: Header=BB4_3084 Depth=2
	s_delay_alu instid0(SALU_CYCLE_1) | instskip(NEXT) | instid1(VALU_DEP_1)
	s_or_b32 exec_lo, exec_lo, s10
	v_dual_max_num_f32 v17, v21, v21 :: v_dual_max_num_f32 v19, v19, v19
	s_delay_alu instid0(VALU_DEP_1)
	v_min_num_f32_e32 v19, v19, v17
.LBB4_3468:                             ;   in Loop: Header=BB4_3084 Depth=2
	s_delay_alu instid0(VALU_DEP_1) | instskip(SKIP_3) | instid1(VALU_DEP_2)
	v_and_b32_e32 v82, 0x7f800000, v19
	v_mov_b32_e32 v83, v55
	v_and_b32_e32 v54, 0x7fffff, v19
                                        ; implicit-def: $vgpr73
	s_mov_b32 s10, exec_lo
	v_cmpx_ne_u64_e32 0x7f800000, v[82:83]
	s_xor_b32 s15, exec_lo, s10
	s_cbranch_execz .LBB4_3486
; %bb.3469:                             ;   in Loop: Header=BB4_3084 Depth=2
	v_dual_mov_b32 v83, v55 :: v_dual_lshrrev_b32 v17, 24, v19
	v_and_b32_e32 v82, 0x7fffffff, v19
                                        ; implicit-def: $vgpr73
	s_mov_b32 s10, exec_lo
	s_delay_alu instid0(VALU_DEP_2) | instskip(NEXT) | instid1(VALU_DEP_2)
	v_and_b32_e32 v17, 0x80, v17
	v_cmpx_gt_u64_e32 0x47600001, v[82:83]
	s_xor_b32 s42, exec_lo, s10
	s_cbranch_execz .LBB4_3483
; %bb.3470:                             ;   in Loop: Header=BB4_3084 Depth=2
	v_mov_b32_e32 v73, 0
	s_mov_b32 s43, exec_lo
	v_cmpx_ne_u32_e32 0, v19
	s_cbranch_execz .LBB4_3482
; %bb.3471:                             ;   in Loop: Header=BB4_3084 Depth=2
	v_bfe_u32 v19, v19, 23, 8
	v_or_b32_e32 v25, 0x800000, v54
	s_delay_alu instid0(VALU_DEP_2) | instskip(SKIP_1) | instid1(VALU_DEP_2)
	v_sub_nc_u32_e32 v21, 0x71, v19
	v_cmp_gt_u32_e32 vcc_lo, 0x72, v19
	v_cndmask_b32_e32 v21, 0, v21, vcc_lo
	v_cmp_eq_u32_e32 vcc_lo, 0, v19
	s_delay_alu instid0(VALU_DEP_2) | instskip(NEXT) | instid1(VALU_DEP_1)
	v_cndmask_b32_e64 v21, v21, 0x70, vcc_lo
	v_dual_cndmask_b32 v54, v25, v54 :: v_dual_add_nc_u32 v23, 21, v21
	s_wait_loadcnt_dscnt 0xa0a
	s_delay_alu instid0(VALU_DEP_1) | instskip(NEXT) | instid1(VALU_DEP_2)
	v_lshrrev_b64 v[72:73], v21, v[54:55]
	v_lshlrev_b64_e64 v[82:83], v23, -1
	v_add_nc_u32_e32 v23, 20, v21
	s_delay_alu instid0(VALU_DEP_1) | instskip(NEXT) | instid1(VALU_DEP_3)
	v_lshlrev_b64_e64 v[74:75], v23, 1
	v_bfi_b32 v83, v83, 0, 0
	s_delay_alu instid0(VALU_DEP_4) | instskip(NEXT) | instid1(VALU_DEP_1)
	v_bfi_b32 v82, v82, 0, v54
	v_cmp_eq_u64_e64 s10, v[82:83], v[74:75]
	v_mov_b64_e32 v[74:75], v[72:73]
	s_and_saveexec_b32 s44, s10
; %bb.3472:                             ;   in Loop: Header=BB4_3084 Depth=2
	v_bfe_u32 v54, v72, 21, 1
	s_delay_alu instid0(VALU_DEP_1) | instskip(NEXT) | instid1(VALU_DEP_1)
	v_add_nc_u64_e32 v[82:83], v[72:73], v[54:55]
	v_add_nc_u64_e32 v[74:75], -1, v[82:83]
; %bb.3473:                             ;   in Loop: Header=BB4_3084 Depth=2
	s_or_b32 exec_lo, exec_lo, s44
	v_add_nc_u32_e32 v19, 0xffffff81, v19
	v_lshrrev_b32_e32 v23, 23, v72
	s_mov_b32 s10, exec_lo
	s_delay_alu instid0(VALU_DEP_2) | instskip(NEXT) | instid1(VALU_DEP_1)
	v_cndmask_b32_e64 v19, v19, 0xffffff82, vcc_lo
	v_add3_u32 v21, v21, v19, v23
	v_and_b32_e32 v19, 0x1fffff, v74
	s_delay_alu instid0(VALU_DEP_1) | instskip(NEXT) | instid1(VALU_DEP_1)
	v_dual_add_nc_u32 v23, 14, v21 :: v_dual_add_nc_u32 v54, v19, v72
                                        ; implicit-def: $vgpr72_vgpr73
                                        ; implicit-def: $vgpr19
	v_cmpx_ne_u32_e32 0, v23
	s_xor_b32 s10, exec_lo, s10
; %bb.3474:                             ;   in Loop: Header=BB4_3084 Depth=2
	s_delay_alu instid0(VALU_DEP_2) | instskip(SKIP_2) | instid1(VALU_DEP_2)
	v_cmp_lt_u64_e32 vcc_lo, 0xffffff, v[54:55]
	v_add_nc_u32_e32 v19, 15, v21
	v_cndmask_b32_e64 v21, 0, 1, vcc_lo
	v_cndmask_b32_e32 v19, v23, v19, vcc_lo
	s_delay_alu instid0(VALU_DEP_2)
	v_lshrrev_b64 v[72:73], v21, v[54:55]
; %bb.3475:                             ;   in Loop: Header=BB4_3084 Depth=2
	s_and_not1_saveexec_b32 s10, s10
; %bb.3476:                             ;   in Loop: Header=BB4_3084 Depth=2
	v_mov_b64_e32 v[72:73], v[54:55]
	v_bfe_u32 v19, v54, 23, 1
; %bb.3477:                             ;   in Loop: Header=BB4_3084 Depth=2
	s_or_b32 exec_lo, exec_lo, s10
	s_delay_alu instid0(VALU_DEP_2) | instskip(NEXT) | instid1(VALU_DEP_2)
	v_lshrrev_b64 v[82:83], 21, v[72:73]
	v_cmp_gt_i32_e32 vcc_lo, 32, v19
	v_cmp_ne_u32_e64 s10, 0, v19
	s_delay_alu instid0(VALU_DEP_3) | instskip(NEXT) | instid1(VALU_DEP_1)
	v_dual_cndmask_b32 v73, 0, v83 :: v_dual_cndmask_b32 v72, 3, v82
	v_cmp_ne_u64_e32 vcc_lo, 0, v[72:73]
                                        ; implicit-def: $vgpr73
	s_or_b32 s10, s10, vcc_lo
	s_delay_alu instid0(SALU_CYCLE_1) | instskip(NEXT) | instid1(SALU_CYCLE_1)
	s_and_saveexec_b32 s44, s10
	s_xor_b32 s10, exec_lo, s44
; %bb.3478:                             ;   in Loop: Header=BB4_3084 Depth=2
	v_min_i32_e32 v19, 31, v19
	s_delay_alu instid0(VALU_DEP_1) | instskip(NEXT) | instid1(VALU_DEP_1)
	v_lshl_or_b32 v17, v19, 2, v17
	v_and_or_b32 v73, v72, 3, v17
                                        ; implicit-def: $vgpr17
; %bb.3479:                             ;   in Loop: Header=BB4_3084 Depth=2
	s_and_not1_saveexec_b32 s10, s10
; %bb.3480:                             ;   in Loop: Header=BB4_3084 Depth=2
	v_mov_b32_e32 v73, v17
; %bb.3481:                             ;   in Loop: Header=BB4_3084 Depth=2
	s_or_b32 exec_lo, exec_lo, s10
.LBB4_3482:                             ;   in Loop: Header=BB4_3084 Depth=2
	s_delay_alu instid0(SALU_CYCLE_1)
	s_or_b32 exec_lo, exec_lo, s43
                                        ; implicit-def: $vgpr17
.LBB4_3483:                             ;   in Loop: Header=BB4_3084 Depth=2
	s_and_not1_saveexec_b32 s10, s42
; %bb.3484:                             ;   in Loop: Header=BB4_3084 Depth=2
	v_or_b32_e32 v73, 0x7b, v17
; %bb.3485:                             ;   in Loop: Header=BB4_3084 Depth=2
	s_or_b32 exec_lo, exec_lo, s10
                                        ; implicit-def: $vgpr19
.LBB4_3486:                             ;   in Loop: Header=BB4_3084 Depth=2
	s_and_not1_saveexec_b32 s10, s15
	s_cbranch_execz .LBB4_3492
; %bb.3487:                             ;   in Loop: Header=BB4_3084 Depth=2
	s_mov_b32 s15, exec_lo
                                        ; implicit-def: $vgpr73
	v_cmpx_ne_u64_e32 0, v[54:55]
	s_xor_b32 s15, exec_lo, s15
; %bb.3488:                             ;   in Loop: Header=BB4_3084 Depth=2
	v_lshrrev_b32_e32 v17, 24, v19
                                        ; implicit-def: $vgpr19
	s_delay_alu instid0(VALU_DEP_1)
	v_or_b32_e32 v73, 0x7f, v17
; %bb.3489:                             ;   in Loop: Header=BB4_3084 Depth=2
	s_and_not1_saveexec_b32 s15, s15
; %bb.3490:                             ;   in Loop: Header=BB4_3084 Depth=2
	v_cmp_lt_i32_e32 vcc_lo, -1, v19
	v_cndmask_b32_e64 v73, -4, 0x7c, vcc_lo
; %bb.3491:                             ;   in Loop: Header=BB4_3084 Depth=2
	s_or_b32 exec_lo, exec_lo, s15
.LBB4_3492:                             ;   in Loop: Header=BB4_3084 Depth=2
	s_delay_alu instid0(SALU_CYCLE_1)
	s_or_b32 exec_lo, exec_lo, s10
	v_and_b32_e32 v17, 0xff, v62
	v_cmp_ne_u16_e64 s10, 0, v62
	s_and_not1_b32 vcc_lo, exec_lo, s14
	s_mov_b32 s15, -1
                                        ; implicit-def: $vgpr19
	s_cbranch_vccnz .LBB4_3514
; %bb.3493:                             ;   in Loop: Header=BB4_3084 Depth=2
	v_dual_mov_b32 v21, 0 :: v_dual_mov_b32 v19, 0
	s_and_saveexec_b32 s15, s10
	s_cbranch_execz .LBB4_3503
; %bb.3494:                             ;   in Loop: Header=BB4_3084 Depth=2
	v_bfrev_b32_e32 v19, 1
	s_mov_b32 s42, exec_lo
	v_cmpx_ne_u16_e32 0xff80, v62
	s_cbranch_execz .LBB4_3502
; %bb.3495:                             ;   in Loop: Header=BB4_3084 Depth=2
	v_and_b32_e32 v19, 0x7c, v17
	v_and_b32_e32 v23, 3, v17
	s_delay_alu instid0(VALU_DEP_2) | instskip(SKIP_1) | instid1(SALU_CYCLE_1)
	v_cmp_ne_u32_e32 vcc_lo, 0x7c, v19
                                        ; implicit-def: $vgpr19
	s_and_saveexec_b32 s43, vcc_lo
	s_xor_b32 s43, exec_lo, s43
	s_cbranch_execz .LBB4_3499
; %bb.3496:                             ;   in Loop: Header=BB4_3084 Depth=2
	v_bfe_u32 v19, v17, 2, 5
	s_mov_b32 s44, exec_lo
	s_delay_alu instid0(VALU_DEP_1)
	v_cmpx_eq_u32_e32 0, v19
	s_cbranch_execz .LBB4_3498
; %bb.3497:                             ;   in Loop: Header=BB4_3084 Depth=2
	v_clz_i32_u32_e32 v19, v23
	s_delay_alu instid0(VALU_DEP_1) | instskip(SKIP_1) | instid1(VALU_DEP_2)
	v_min_u32_e32 v19, 32, v19
	v_mov_b32_e32 v63, v55
	v_subrev_nc_u32_e32 v23, 29, v19
	v_sub_nc_u32_e32 v19, 30, v19
	s_delay_alu instid0(VALU_DEP_2) | instskip(NEXT) | instid1(VALU_DEP_1)
	v_lshlrev_b64_e32 v[82:83], v23, v[62:63]
	v_and_b32_e32 v23, 3, v82
.LBB4_3498:                             ;   in Loop: Header=BB4_3084 Depth=2
	s_or_b32 exec_lo, exec_lo, s44
	v_bfe_i32 v25, v62, 0, 16
	s_delay_alu instid0(VALU_DEP_1) | instskip(NEXT) | instid1(VALU_DEP_1)
	v_and_b32_e32 v25, 0x80000000, v25
	v_lshl_add_u32 v19, v19, 23, v25
	s_delay_alu instid0(VALU_DEP_1) | instskip(NEXT) | instid1(VALU_DEP_1)
	v_lshl_or_b32 v19, v23, 21, v19
                                        ; implicit-def: $vgpr23
	v_add_nc_u32_e32 v19, 0x38000000, v19
.LBB4_3499:                             ;   in Loop: Header=BB4_3084 Depth=2
	s_and_not1_saveexec_b32 s43, s43
; %bb.3500:                             ;   in Loop: Header=BB4_3084 Depth=2
	v_cmp_lt_i16_e32 vcc_lo, -1, v62
	v_cndmask_b32_e32 v19, 0xff800000, v126, vcc_lo
	v_cmp_eq_u32_e32 vcc_lo, 0, v23
	s_delay_alu instid0(VALU_DEP_2)
	v_cndmask_b32_e32 v19, 0x7f800001, v19, vcc_lo
; %bb.3501:                             ;   in Loop: Header=BB4_3084 Depth=2
	s_or_b32 exec_lo, exec_lo, s43
.LBB4_3502:                             ;   in Loop: Header=BB4_3084 Depth=2
	s_delay_alu instid0(SALU_CYCLE_1)
	s_or_b32 exec_lo, exec_lo, s42
.LBB4_3503:                             ;   in Loop: Header=BB4_3084 Depth=2
	s_delay_alu instid0(SALU_CYCLE_1) | instskip(NEXT) | instid1(SALU_CYCLE_1)
	s_or_b32 exec_lo, exec_lo, s15
	s_mov_b32 s15, exec_lo
	s_wait_loadcnt_dscnt 0x909
	v_cmpx_ne_u16_e32 0, v60
	s_cbranch_execz .LBB4_3513
; %bb.3504:                             ;   in Loop: Header=BB4_3084 Depth=2
	v_bfrev_b32_e32 v21, 1
	s_mov_b32 s42, exec_lo
	v_cmpx_ne_u16_e32 0xff80, v60
	s_cbranch_execz .LBB4_3512
; %bb.3505:                             ;   in Loop: Header=BB4_3084 Depth=2
	v_and_b32_e32 v21, 0x7c, v60
	v_and_b32_e32 v23, 3, v60
	s_delay_alu instid0(VALU_DEP_2) | instskip(SKIP_1) | instid1(SALU_CYCLE_1)
	v_cmp_ne_u32_e32 vcc_lo, 0x7c, v21
                                        ; implicit-def: $vgpr21
	s_and_saveexec_b32 s43, vcc_lo
	s_xor_b32 s43, exec_lo, s43
	s_cbranch_execz .LBB4_3509
; %bb.3506:                             ;   in Loop: Header=BB4_3084 Depth=2
	v_and_b32_e32 v21, 0xff, v60
	s_mov_b32 s44, exec_lo
	s_delay_alu instid0(VALU_DEP_1) | instskip(NEXT) | instid1(VALU_DEP_1)
	v_bfe_u32 v21, v21, 2, 5
	v_cmpx_eq_u32_e32 0, v21
	s_cbranch_execz .LBB4_3508
; %bb.3507:                             ;   in Loop: Header=BB4_3084 Depth=2
	v_clz_i32_u32_e32 v21, v23
	s_delay_alu instid0(VALU_DEP_1) | instskip(SKIP_1) | instid1(VALU_DEP_2)
	v_min_u32_e32 v21, 32, v21
	v_mov_b32_e32 v61, v55
	v_subrev_nc_u32_e32 v23, 29, v21
	v_sub_nc_u32_e32 v21, 30, v21
	s_delay_alu instid0(VALU_DEP_2) | instskip(NEXT) | instid1(VALU_DEP_1)
	v_lshlrev_b64_e32 v[82:83], v23, v[60:61]
	v_and_b32_e32 v23, 3, v82
.LBB4_3508:                             ;   in Loop: Header=BB4_3084 Depth=2
	s_or_b32 exec_lo, exec_lo, s44
	v_bfe_i32 v25, v60, 0, 16
	s_delay_alu instid0(VALU_DEP_1) | instskip(NEXT) | instid1(VALU_DEP_1)
	v_and_b32_e32 v25, 0x80000000, v25
	v_lshl_add_u32 v21, v21, 23, v25
	s_delay_alu instid0(VALU_DEP_1) | instskip(NEXT) | instid1(VALU_DEP_1)
	v_lshl_or_b32 v21, v23, 21, v21
                                        ; implicit-def: $vgpr23
	v_add_nc_u32_e32 v21, 0x38000000, v21
.LBB4_3509:                             ;   in Loop: Header=BB4_3084 Depth=2
	s_and_not1_saveexec_b32 s43, s43
; %bb.3510:                             ;   in Loop: Header=BB4_3084 Depth=2
	v_cmp_lt_i16_e32 vcc_lo, -1, v60
	v_cndmask_b32_e32 v21, 0xff800000, v126, vcc_lo
	v_cmp_eq_u32_e32 vcc_lo, 0, v23
	s_delay_alu instid0(VALU_DEP_2)
	v_cndmask_b32_e32 v21, 0x7f800001, v21, vcc_lo
; %bb.3511:                             ;   in Loop: Header=BB4_3084 Depth=2
	s_or_b32 exec_lo, exec_lo, s43
.LBB4_3512:                             ;   in Loop: Header=BB4_3084 Depth=2
	s_delay_alu instid0(SALU_CYCLE_1)
	s_or_b32 exec_lo, exec_lo, s42
.LBB4_3513:                             ;   in Loop: Header=BB4_3084 Depth=2
	s_delay_alu instid0(SALU_CYCLE_1) | instskip(NEXT) | instid1(VALU_DEP_1)
	s_or_b32 exec_lo, exec_lo, s15
	v_dual_max_num_f32 v21, v21, v21 :: v_dual_max_num_f32 v19, v19, v19
	s_mov_b32 s15, 0
	s_delay_alu instid0(VALU_DEP_1)
	v_max_num_f32_e32 v19, v19, v21
.LBB4_3514:                             ;   in Loop: Header=BB4_3084 Depth=2
	s_and_b32 vcc_lo, exec_lo, s15
	s_cbranch_vccz .LBB4_3536
; %bb.3515:                             ;   in Loop: Header=BB4_3084 Depth=2
	v_dual_mov_b32 v21, 0 :: v_dual_mov_b32 v19, 0
	s_and_saveexec_b32 s15, s10
	s_cbranch_execz .LBB4_3525
; %bb.3516:                             ;   in Loop: Header=BB4_3084 Depth=2
	v_bfrev_b32_e32 v19, 1
	s_mov_b32 s10, exec_lo
	v_cmpx_ne_u16_e32 0xff80, v62
	s_cbranch_execz .LBB4_3524
; %bb.3517:                             ;   in Loop: Header=BB4_3084 Depth=2
	v_and_b32_e32 v19, 0x7c, v17
	v_and_b32_e32 v23, 3, v17
	s_delay_alu instid0(VALU_DEP_2) | instskip(SKIP_1) | instid1(SALU_CYCLE_1)
	v_cmp_ne_u32_e32 vcc_lo, 0x7c, v19
                                        ; implicit-def: $vgpr19
	s_and_saveexec_b32 s42, vcc_lo
	s_xor_b32 s42, exec_lo, s42
	s_cbranch_execz .LBB4_3521
; %bb.3518:                             ;   in Loop: Header=BB4_3084 Depth=2
	v_bfe_u32 v17, v17, 2, 5
	s_mov_b32 s43, exec_lo
	s_delay_alu instid0(VALU_DEP_1)
	v_cmpx_eq_u32_e32 0, v17
	s_cbranch_execz .LBB4_3520
; %bb.3519:                             ;   in Loop: Header=BB4_3084 Depth=2
	v_clz_i32_u32_e32 v17, v23
	s_delay_alu instid0(VALU_DEP_1) | instskip(SKIP_1) | instid1(VALU_DEP_2)
	v_min_u32_e32 v17, 32, v17
	v_mov_b32_e32 v63, v55
	v_subrev_nc_u32_e32 v19, 29, v17
	v_sub_nc_u32_e32 v17, 30, v17
	s_delay_alu instid0(VALU_DEP_2) | instskip(NEXT) | instid1(VALU_DEP_1)
	v_lshlrev_b64_e32 v[82:83], v19, v[62:63]
	v_and_b32_e32 v23, 3, v82
.LBB4_3520:                             ;   in Loop: Header=BB4_3084 Depth=2
	s_or_b32 exec_lo, exec_lo, s43
	v_bfe_i32 v19, v62, 0, 16
                                        ; implicit-def: $vgpr62
	s_delay_alu instid0(VALU_DEP_1) | instskip(NEXT) | instid1(VALU_DEP_1)
	v_and_b32_e32 v19, 0x80000000, v19
	v_lshl_add_u32 v17, v17, 23, v19
	s_delay_alu instid0(VALU_DEP_1) | instskip(NEXT) | instid1(VALU_DEP_1)
	v_lshl_or_b32 v17, v23, 21, v17
                                        ; implicit-def: $vgpr23
	v_add_nc_u32_e32 v19, 0x38000000, v17
.LBB4_3521:                             ;   in Loop: Header=BB4_3084 Depth=2
	s_and_not1_saveexec_b32 s42, s42
; %bb.3522:                             ;   in Loop: Header=BB4_3084 Depth=2
	v_cmp_lt_i16_e32 vcc_lo, -1, v62
	v_cndmask_b32_e32 v17, 0xff800000, v126, vcc_lo
	v_cmp_eq_u32_e32 vcc_lo, 0, v23
	s_delay_alu instid0(VALU_DEP_2)
	v_cndmask_b32_e32 v19, 0x7f800001, v17, vcc_lo
; %bb.3523:                             ;   in Loop: Header=BB4_3084 Depth=2
	s_or_b32 exec_lo, exec_lo, s42
.LBB4_3524:                             ;   in Loop: Header=BB4_3084 Depth=2
	s_delay_alu instid0(SALU_CYCLE_1)
	s_or_b32 exec_lo, exec_lo, s10
.LBB4_3525:                             ;   in Loop: Header=BB4_3084 Depth=2
	s_delay_alu instid0(SALU_CYCLE_1) | instskip(NEXT) | instid1(SALU_CYCLE_1)
	s_or_b32 exec_lo, exec_lo, s15
	s_mov_b32 s10, exec_lo
	s_wait_loadcnt_dscnt 0x909
	v_cmpx_ne_u16_e32 0, v60
	s_cbranch_execz .LBB4_3535
; %bb.3526:                             ;   in Loop: Header=BB4_3084 Depth=2
	v_bfrev_b32_e32 v21, 1
	s_mov_b32 s15, exec_lo
	v_cmpx_ne_u16_e32 0xff80, v60
	s_cbranch_execz .LBB4_3534
; %bb.3527:                             ;   in Loop: Header=BB4_3084 Depth=2
	v_and_b32_e32 v21, 0x7c, v60
	v_and_b32_e32 v17, 3, v60
	s_delay_alu instid0(VALU_DEP_2) | instskip(SKIP_1) | instid1(SALU_CYCLE_1)
	v_cmp_ne_u32_e32 vcc_lo, 0x7c, v21
                                        ; implicit-def: $vgpr21
	s_and_saveexec_b32 s42, vcc_lo
	s_xor_b32 s42, exec_lo, s42
	s_cbranch_execz .LBB4_3531
; %bb.3528:                             ;   in Loop: Header=BB4_3084 Depth=2
	v_and_b32_e32 v21, 0xff, v60
	s_mov_b32 s43, exec_lo
	s_delay_alu instid0(VALU_DEP_1) | instskip(NEXT) | instid1(VALU_DEP_1)
	v_bfe_u32 v21, v21, 2, 5
	v_cmpx_eq_u32_e32 0, v21
; %bb.3529:                             ;   in Loop: Header=BB4_3084 Depth=2
	v_clz_i32_u32_e32 v17, v17
	s_delay_alu instid0(VALU_DEP_1) | instskip(SKIP_1) | instid1(VALU_DEP_2)
	v_min_u32_e32 v17, 32, v17
	v_mov_b32_e32 v61, v55
	v_subrev_nc_u32_e32 v21, 29, v17
	s_delay_alu instid0(VALU_DEP_1) | instskip(NEXT) | instid1(VALU_DEP_1)
	v_lshlrev_b64_e32 v[82:83], v21, v[60:61]
	v_dual_sub_nc_u32 v21, 30, v17 :: v_dual_bitop2_b32 v17, 3, v82 bitop3:0x40
; %bb.3530:                             ;   in Loop: Header=BB4_3084 Depth=2
	s_or_b32 exec_lo, exec_lo, s43
	v_bfe_i32 v23, v60, 0, 16
                                        ; implicit-def: $vgpr60
	s_delay_alu instid0(VALU_DEP_1) | instskip(NEXT) | instid1(VALU_DEP_1)
	v_and_b32_e32 v23, 0x80000000, v23
	v_lshl_add_u32 v21, v21, 23, v23
	s_delay_alu instid0(VALU_DEP_1) | instskip(NEXT) | instid1(VALU_DEP_1)
	v_lshl_or_b32 v17, v17, 21, v21
	v_add_nc_u32_e32 v21, 0x38000000, v17
                                        ; implicit-def: $vgpr17
.LBB4_3531:                             ;   in Loop: Header=BB4_3084 Depth=2
	s_and_not1_saveexec_b32 s42, s42
; %bb.3532:                             ;   in Loop: Header=BB4_3084 Depth=2
	v_cmp_lt_i16_e32 vcc_lo, -1, v60
	v_cndmask_b32_e32 v21, 0xff800000, v126, vcc_lo
	v_cmp_eq_u32_e32 vcc_lo, 0, v17
	s_delay_alu instid0(VALU_DEP_2)
	v_cndmask_b32_e32 v21, 0x7f800001, v21, vcc_lo
; %bb.3533:                             ;   in Loop: Header=BB4_3084 Depth=2
	s_or_b32 exec_lo, exec_lo, s42
.LBB4_3534:                             ;   in Loop: Header=BB4_3084 Depth=2
	s_delay_alu instid0(SALU_CYCLE_1)
	s_or_b32 exec_lo, exec_lo, s15
.LBB4_3535:                             ;   in Loop: Header=BB4_3084 Depth=2
	s_delay_alu instid0(SALU_CYCLE_1) | instskip(NEXT) | instid1(VALU_DEP_1)
	s_or_b32 exec_lo, exec_lo, s10
	v_dual_max_num_f32 v17, v21, v21 :: v_dual_max_num_f32 v19, v19, v19
	s_delay_alu instid0(VALU_DEP_1)
	v_min_num_f32_e32 v19, v19, v17
.LBB4_3536:                             ;   in Loop: Header=BB4_3084 Depth=2
	s_delay_alu instid0(VALU_DEP_1) | instskip(SKIP_3) | instid1(VALU_DEP_2)
	v_and_b32_e32 v82, 0x7f800000, v19
	v_mov_b32_e32 v83, v55
	v_and_b32_e32 v54, 0x7fffff, v19
                                        ; implicit-def: $vgpr61
	s_mov_b32 s10, exec_lo
	v_cmpx_ne_u64_e32 0x7f800000, v[82:83]
	s_xor_b32 s15, exec_lo, s10
	s_cbranch_execz .LBB4_3554
; %bb.3537:                             ;   in Loop: Header=BB4_3084 Depth=2
	v_dual_mov_b32 v83, v55 :: v_dual_lshrrev_b32 v17, 24, v19
	v_and_b32_e32 v82, 0x7fffffff, v19
                                        ; implicit-def: $vgpr61
	s_mov_b32 s10, exec_lo
	s_delay_alu instid0(VALU_DEP_2) | instskip(NEXT) | instid1(VALU_DEP_2)
	v_and_b32_e32 v17, 0x80, v17
	v_cmpx_gt_u64_e32 0x47600001, v[82:83]
	s_xor_b32 s42, exec_lo, s10
	s_cbranch_execz .LBB4_3551
; %bb.3538:                             ;   in Loop: Header=BB4_3084 Depth=2
	v_mov_b32_e32 v61, 0
	s_mov_b32 s43, exec_lo
	v_cmpx_ne_u32_e32 0, v19
	s_cbranch_execz .LBB4_3550
; %bb.3539:                             ;   in Loop: Header=BB4_3084 Depth=2
	v_bfe_u32 v19, v19, 23, 8
	v_or_b32_e32 v25, 0x800000, v54
	s_delay_alu instid0(VALU_DEP_2) | instskip(SKIP_1) | instid1(VALU_DEP_2)
	v_sub_nc_u32_e32 v21, 0x71, v19
	v_cmp_gt_u32_e32 vcc_lo, 0x72, v19
	v_cndmask_b32_e32 v21, 0, v21, vcc_lo
	v_cmp_eq_u32_e32 vcc_lo, 0, v19
	s_delay_alu instid0(VALU_DEP_2) | instskip(NEXT) | instid1(VALU_DEP_1)
	v_cndmask_b32_e64 v21, v21, 0x70, vcc_lo
	v_dual_cndmask_b32 v54, v25, v54 :: v_dual_add_nc_u32 v23, 21, v21
	s_wait_loadcnt_dscnt 0x909
	s_delay_alu instid0(VALU_DEP_1) | instskip(NEXT) | instid1(VALU_DEP_2)
	v_lshrrev_b64 v[60:61], v21, v[54:55]
	v_lshlrev_b64_e64 v[82:83], v23, -1
	v_add_nc_u32_e32 v23, 20, v21
	s_delay_alu instid0(VALU_DEP_1) | instskip(NEXT) | instid1(VALU_DEP_3)
	v_lshlrev_b64_e64 v[62:63], v23, 1
	v_bfi_b32 v83, v83, 0, 0
	s_delay_alu instid0(VALU_DEP_4) | instskip(NEXT) | instid1(VALU_DEP_1)
	v_bfi_b32 v82, v82, 0, v54
	v_cmp_eq_u64_e64 s10, v[82:83], v[62:63]
	v_mov_b64_e32 v[62:63], v[60:61]
	s_and_saveexec_b32 s44, s10
; %bb.3540:                             ;   in Loop: Header=BB4_3084 Depth=2
	v_bfe_u32 v54, v60, 21, 1
	s_delay_alu instid0(VALU_DEP_1) | instskip(NEXT) | instid1(VALU_DEP_1)
	v_add_nc_u64_e32 v[82:83], v[60:61], v[54:55]
	v_add_nc_u64_e32 v[62:63], -1, v[82:83]
; %bb.3541:                             ;   in Loop: Header=BB4_3084 Depth=2
	s_or_b32 exec_lo, exec_lo, s44
	v_add_nc_u32_e32 v19, 0xffffff81, v19
	v_lshrrev_b32_e32 v23, 23, v60
	s_mov_b32 s10, exec_lo
	s_delay_alu instid0(VALU_DEP_2) | instskip(NEXT) | instid1(VALU_DEP_1)
	v_cndmask_b32_e64 v19, v19, 0xffffff82, vcc_lo
	v_add3_u32 v21, v21, v19, v23
	v_and_b32_e32 v19, 0x1fffff, v62
	s_delay_alu instid0(VALU_DEP_1) | instskip(NEXT) | instid1(VALU_DEP_1)
	v_dual_add_nc_u32 v23, 14, v21 :: v_dual_add_nc_u32 v54, v19, v60
                                        ; implicit-def: $vgpr60_vgpr61
                                        ; implicit-def: $vgpr19
	v_cmpx_ne_u32_e32 0, v23
	s_xor_b32 s10, exec_lo, s10
; %bb.3542:                             ;   in Loop: Header=BB4_3084 Depth=2
	s_delay_alu instid0(VALU_DEP_2) | instskip(SKIP_2) | instid1(VALU_DEP_2)
	v_cmp_lt_u64_e32 vcc_lo, 0xffffff, v[54:55]
	v_add_nc_u32_e32 v19, 15, v21
	v_cndmask_b32_e64 v21, 0, 1, vcc_lo
	v_cndmask_b32_e32 v19, v23, v19, vcc_lo
	s_delay_alu instid0(VALU_DEP_2)
	v_lshrrev_b64 v[60:61], v21, v[54:55]
; %bb.3543:                             ;   in Loop: Header=BB4_3084 Depth=2
	s_and_not1_saveexec_b32 s10, s10
; %bb.3544:                             ;   in Loop: Header=BB4_3084 Depth=2
	v_mov_b64_e32 v[60:61], v[54:55]
	v_bfe_u32 v19, v54, 23, 1
; %bb.3545:                             ;   in Loop: Header=BB4_3084 Depth=2
	s_or_b32 exec_lo, exec_lo, s10
	s_delay_alu instid0(VALU_DEP_2) | instskip(NEXT) | instid1(VALU_DEP_2)
	v_lshrrev_b64 v[82:83], 21, v[60:61]
	v_cmp_gt_i32_e32 vcc_lo, 32, v19
	v_cmp_ne_u32_e64 s10, 0, v19
	s_delay_alu instid0(VALU_DEP_3) | instskip(NEXT) | instid1(VALU_DEP_1)
	v_dual_cndmask_b32 v61, 0, v83 :: v_dual_cndmask_b32 v60, 3, v82
	v_cmp_ne_u64_e32 vcc_lo, 0, v[60:61]
                                        ; implicit-def: $vgpr61
	s_or_b32 s10, s10, vcc_lo
	s_delay_alu instid0(SALU_CYCLE_1) | instskip(NEXT) | instid1(SALU_CYCLE_1)
	s_and_saveexec_b32 s44, s10
	s_xor_b32 s10, exec_lo, s44
; %bb.3546:                             ;   in Loop: Header=BB4_3084 Depth=2
	v_min_i32_e32 v19, 31, v19
	s_delay_alu instid0(VALU_DEP_1) | instskip(NEXT) | instid1(VALU_DEP_1)
	v_lshl_or_b32 v17, v19, 2, v17
	v_and_or_b32 v61, v60, 3, v17
                                        ; implicit-def: $vgpr17
; %bb.3547:                             ;   in Loop: Header=BB4_3084 Depth=2
	s_and_not1_saveexec_b32 s10, s10
; %bb.3548:                             ;   in Loop: Header=BB4_3084 Depth=2
	v_mov_b32_e32 v61, v17
; %bb.3549:                             ;   in Loop: Header=BB4_3084 Depth=2
	s_or_b32 exec_lo, exec_lo, s10
.LBB4_3550:                             ;   in Loop: Header=BB4_3084 Depth=2
	s_delay_alu instid0(SALU_CYCLE_1)
	s_or_b32 exec_lo, exec_lo, s43
                                        ; implicit-def: $vgpr17
.LBB4_3551:                             ;   in Loop: Header=BB4_3084 Depth=2
	s_and_not1_saveexec_b32 s10, s42
; %bb.3552:                             ;   in Loop: Header=BB4_3084 Depth=2
	v_or_b32_e32 v61, 0x7b, v17
; %bb.3553:                             ;   in Loop: Header=BB4_3084 Depth=2
	s_or_b32 exec_lo, exec_lo, s10
                                        ; implicit-def: $vgpr19
.LBB4_3554:                             ;   in Loop: Header=BB4_3084 Depth=2
	s_and_not1_saveexec_b32 s10, s15
	s_cbranch_execz .LBB4_3560
; %bb.3555:                             ;   in Loop: Header=BB4_3084 Depth=2
	s_mov_b32 s15, exec_lo
                                        ; implicit-def: $vgpr61
	v_cmpx_ne_u64_e32 0, v[54:55]
	s_xor_b32 s15, exec_lo, s15
; %bb.3556:                             ;   in Loop: Header=BB4_3084 Depth=2
	v_lshrrev_b32_e32 v17, 24, v19
                                        ; implicit-def: $vgpr19
	s_delay_alu instid0(VALU_DEP_1)
	v_or_b32_e32 v61, 0x7f, v17
; %bb.3557:                             ;   in Loop: Header=BB4_3084 Depth=2
	s_and_not1_saveexec_b32 s15, s15
; %bb.3558:                             ;   in Loop: Header=BB4_3084 Depth=2
	v_cmp_lt_i32_e32 vcc_lo, -1, v19
	v_cndmask_b32_e64 v61, -4, 0x7c, vcc_lo
; %bb.3559:                             ;   in Loop: Header=BB4_3084 Depth=2
	s_or_b32 exec_lo, exec_lo, s15
.LBB4_3560:                             ;   in Loop: Header=BB4_3084 Depth=2
	s_delay_alu instid0(SALU_CYCLE_1)
	s_or_b32 exec_lo, exec_lo, s10
	v_and_b32_e32 v17, 0xff, v58
	v_cmp_ne_u16_e64 s10, 0, v58
	s_and_not1_b32 vcc_lo, exec_lo, s14
	s_mov_b32 s15, -1
                                        ; implicit-def: $vgpr19
	s_cbranch_vccnz .LBB4_3582
; %bb.3561:                             ;   in Loop: Header=BB4_3084 Depth=2
	v_dual_mov_b32 v21, 0 :: v_dual_mov_b32 v19, 0
	s_and_saveexec_b32 s15, s10
	s_cbranch_execz .LBB4_3571
; %bb.3562:                             ;   in Loop: Header=BB4_3084 Depth=2
	v_bfrev_b32_e32 v19, 1
	s_mov_b32 s42, exec_lo
	v_cmpx_ne_u16_e32 0xff80, v58
	s_cbranch_execz .LBB4_3570
; %bb.3563:                             ;   in Loop: Header=BB4_3084 Depth=2
	v_and_b32_e32 v19, 0x7c, v17
	v_and_b32_e32 v23, 3, v17
	s_delay_alu instid0(VALU_DEP_2) | instskip(SKIP_1) | instid1(SALU_CYCLE_1)
	v_cmp_ne_u32_e32 vcc_lo, 0x7c, v19
                                        ; implicit-def: $vgpr19
	s_and_saveexec_b32 s43, vcc_lo
	s_xor_b32 s43, exec_lo, s43
	s_cbranch_execz .LBB4_3567
; %bb.3564:                             ;   in Loop: Header=BB4_3084 Depth=2
	v_bfe_u32 v19, v17, 2, 5
	s_mov_b32 s44, exec_lo
	s_delay_alu instid0(VALU_DEP_1)
	v_cmpx_eq_u32_e32 0, v19
	s_cbranch_execz .LBB4_3566
; %bb.3565:                             ;   in Loop: Header=BB4_3084 Depth=2
	v_clz_i32_u32_e32 v19, v23
	s_delay_alu instid0(VALU_DEP_1) | instskip(SKIP_1) | instid1(VALU_DEP_2)
	v_min_u32_e32 v19, 32, v19
	v_mov_b32_e32 v59, v55
	v_subrev_nc_u32_e32 v23, 29, v19
	v_sub_nc_u32_e32 v19, 30, v19
	s_delay_alu instid0(VALU_DEP_2) | instskip(NEXT) | instid1(VALU_DEP_1)
	v_lshlrev_b64_e32 v[82:83], v23, v[58:59]
	v_and_b32_e32 v23, 3, v82
.LBB4_3566:                             ;   in Loop: Header=BB4_3084 Depth=2
	s_or_b32 exec_lo, exec_lo, s44
	v_bfe_i32 v25, v58, 0, 16
	s_delay_alu instid0(VALU_DEP_1) | instskip(NEXT) | instid1(VALU_DEP_1)
	v_and_b32_e32 v25, 0x80000000, v25
	v_lshl_add_u32 v19, v19, 23, v25
	s_delay_alu instid0(VALU_DEP_1) | instskip(NEXT) | instid1(VALU_DEP_1)
	v_lshl_or_b32 v19, v23, 21, v19
                                        ; implicit-def: $vgpr23
	v_add_nc_u32_e32 v19, 0x38000000, v19
.LBB4_3567:                             ;   in Loop: Header=BB4_3084 Depth=2
	s_and_not1_saveexec_b32 s43, s43
; %bb.3568:                             ;   in Loop: Header=BB4_3084 Depth=2
	v_cmp_lt_i16_e32 vcc_lo, -1, v58
	v_cndmask_b32_e32 v19, 0xff800000, v126, vcc_lo
	v_cmp_eq_u32_e32 vcc_lo, 0, v23
	s_delay_alu instid0(VALU_DEP_2)
	v_cndmask_b32_e32 v19, 0x7f800001, v19, vcc_lo
; %bb.3569:                             ;   in Loop: Header=BB4_3084 Depth=2
	s_or_b32 exec_lo, exec_lo, s43
.LBB4_3570:                             ;   in Loop: Header=BB4_3084 Depth=2
	s_delay_alu instid0(SALU_CYCLE_1)
	s_or_b32 exec_lo, exec_lo, s42
.LBB4_3571:                             ;   in Loop: Header=BB4_3084 Depth=2
	s_delay_alu instid0(SALU_CYCLE_1) | instskip(NEXT) | instid1(SALU_CYCLE_1)
	s_or_b32 exec_lo, exec_lo, s15
	s_mov_b32 s15, exec_lo
	s_wait_loadcnt_dscnt 0x808
	v_cmpx_ne_u16_e32 0, v56
	s_cbranch_execz .LBB4_3581
; %bb.3572:                             ;   in Loop: Header=BB4_3084 Depth=2
	v_bfrev_b32_e32 v21, 1
	s_mov_b32 s42, exec_lo
	v_cmpx_ne_u16_e32 0xff80, v56
	s_cbranch_execz .LBB4_3580
; %bb.3573:                             ;   in Loop: Header=BB4_3084 Depth=2
	v_and_b32_e32 v21, 0x7c, v56
	v_and_b32_e32 v23, 3, v56
	s_delay_alu instid0(VALU_DEP_2) | instskip(SKIP_1) | instid1(SALU_CYCLE_1)
	v_cmp_ne_u32_e32 vcc_lo, 0x7c, v21
                                        ; implicit-def: $vgpr21
	s_and_saveexec_b32 s43, vcc_lo
	s_xor_b32 s43, exec_lo, s43
	s_cbranch_execz .LBB4_3577
; %bb.3574:                             ;   in Loop: Header=BB4_3084 Depth=2
	v_and_b32_e32 v21, 0xff, v56
	s_mov_b32 s44, exec_lo
	s_delay_alu instid0(VALU_DEP_1) | instskip(NEXT) | instid1(VALU_DEP_1)
	v_bfe_u32 v21, v21, 2, 5
	v_cmpx_eq_u32_e32 0, v21
	s_cbranch_execz .LBB4_3576
; %bb.3575:                             ;   in Loop: Header=BB4_3084 Depth=2
	v_clz_i32_u32_e32 v21, v23
	s_delay_alu instid0(VALU_DEP_1) | instskip(SKIP_1) | instid1(VALU_DEP_2)
	v_min_u32_e32 v21, 32, v21
	v_mov_b32_e32 v57, v55
	v_subrev_nc_u32_e32 v23, 29, v21
	v_sub_nc_u32_e32 v21, 30, v21
	s_delay_alu instid0(VALU_DEP_2) | instskip(NEXT) | instid1(VALU_DEP_1)
	v_lshlrev_b64_e32 v[82:83], v23, v[56:57]
	v_and_b32_e32 v23, 3, v82
.LBB4_3576:                             ;   in Loop: Header=BB4_3084 Depth=2
	s_or_b32 exec_lo, exec_lo, s44
	v_bfe_i32 v25, v56, 0, 16
	s_delay_alu instid0(VALU_DEP_1) | instskip(NEXT) | instid1(VALU_DEP_1)
	v_and_b32_e32 v25, 0x80000000, v25
	v_lshl_add_u32 v21, v21, 23, v25
	s_delay_alu instid0(VALU_DEP_1) | instskip(NEXT) | instid1(VALU_DEP_1)
	v_lshl_or_b32 v21, v23, 21, v21
                                        ; implicit-def: $vgpr23
	v_add_nc_u32_e32 v21, 0x38000000, v21
.LBB4_3577:                             ;   in Loop: Header=BB4_3084 Depth=2
	s_and_not1_saveexec_b32 s43, s43
; %bb.3578:                             ;   in Loop: Header=BB4_3084 Depth=2
	v_cmp_lt_i16_e32 vcc_lo, -1, v56
	v_cndmask_b32_e32 v21, 0xff800000, v126, vcc_lo
	v_cmp_eq_u32_e32 vcc_lo, 0, v23
	s_delay_alu instid0(VALU_DEP_2)
	v_cndmask_b32_e32 v21, 0x7f800001, v21, vcc_lo
; %bb.3579:                             ;   in Loop: Header=BB4_3084 Depth=2
	s_or_b32 exec_lo, exec_lo, s43
.LBB4_3580:                             ;   in Loop: Header=BB4_3084 Depth=2
	s_delay_alu instid0(SALU_CYCLE_1)
	s_or_b32 exec_lo, exec_lo, s42
.LBB4_3581:                             ;   in Loop: Header=BB4_3084 Depth=2
	s_delay_alu instid0(SALU_CYCLE_1) | instskip(NEXT) | instid1(VALU_DEP_1)
	s_or_b32 exec_lo, exec_lo, s15
	v_dual_max_num_f32 v21, v21, v21 :: v_dual_max_num_f32 v19, v19, v19
	s_mov_b32 s15, 0
	s_delay_alu instid0(VALU_DEP_1)
	v_max_num_f32_e32 v19, v19, v21
.LBB4_3582:                             ;   in Loop: Header=BB4_3084 Depth=2
	s_and_b32 vcc_lo, exec_lo, s15
	s_cbranch_vccz .LBB4_3604
; %bb.3583:                             ;   in Loop: Header=BB4_3084 Depth=2
	v_dual_mov_b32 v21, 0 :: v_dual_mov_b32 v19, 0
	s_and_saveexec_b32 s15, s10
	s_cbranch_execz .LBB4_3593
; %bb.3584:                             ;   in Loop: Header=BB4_3084 Depth=2
	v_bfrev_b32_e32 v19, 1
	s_mov_b32 s10, exec_lo
	v_cmpx_ne_u16_e32 0xff80, v58
	s_cbranch_execz .LBB4_3592
; %bb.3585:                             ;   in Loop: Header=BB4_3084 Depth=2
	v_and_b32_e32 v19, 0x7c, v17
	v_and_b32_e32 v23, 3, v17
	s_delay_alu instid0(VALU_DEP_2) | instskip(SKIP_1) | instid1(SALU_CYCLE_1)
	v_cmp_ne_u32_e32 vcc_lo, 0x7c, v19
                                        ; implicit-def: $vgpr19
	s_and_saveexec_b32 s42, vcc_lo
	s_xor_b32 s42, exec_lo, s42
	s_cbranch_execz .LBB4_3589
; %bb.3586:                             ;   in Loop: Header=BB4_3084 Depth=2
	v_bfe_u32 v17, v17, 2, 5
	s_mov_b32 s43, exec_lo
	s_delay_alu instid0(VALU_DEP_1)
	v_cmpx_eq_u32_e32 0, v17
	s_cbranch_execz .LBB4_3588
; %bb.3587:                             ;   in Loop: Header=BB4_3084 Depth=2
	v_clz_i32_u32_e32 v17, v23
	s_delay_alu instid0(VALU_DEP_1) | instskip(SKIP_1) | instid1(VALU_DEP_2)
	v_min_u32_e32 v17, 32, v17
	v_mov_b32_e32 v59, v55
	v_subrev_nc_u32_e32 v19, 29, v17
	v_sub_nc_u32_e32 v17, 30, v17
	s_delay_alu instid0(VALU_DEP_2) | instskip(NEXT) | instid1(VALU_DEP_1)
	v_lshlrev_b64_e32 v[82:83], v19, v[58:59]
	v_and_b32_e32 v23, 3, v82
.LBB4_3588:                             ;   in Loop: Header=BB4_3084 Depth=2
	s_or_b32 exec_lo, exec_lo, s43
	v_bfe_i32 v19, v58, 0, 16
                                        ; implicit-def: $vgpr58
	s_delay_alu instid0(VALU_DEP_1) | instskip(NEXT) | instid1(VALU_DEP_1)
	v_and_b32_e32 v19, 0x80000000, v19
	v_lshl_add_u32 v17, v17, 23, v19
	s_delay_alu instid0(VALU_DEP_1) | instskip(NEXT) | instid1(VALU_DEP_1)
	v_lshl_or_b32 v17, v23, 21, v17
                                        ; implicit-def: $vgpr23
	v_add_nc_u32_e32 v19, 0x38000000, v17
.LBB4_3589:                             ;   in Loop: Header=BB4_3084 Depth=2
	s_and_not1_saveexec_b32 s42, s42
; %bb.3590:                             ;   in Loop: Header=BB4_3084 Depth=2
	v_cmp_lt_i16_e32 vcc_lo, -1, v58
	v_cndmask_b32_e32 v17, 0xff800000, v126, vcc_lo
	v_cmp_eq_u32_e32 vcc_lo, 0, v23
	s_delay_alu instid0(VALU_DEP_2)
	v_cndmask_b32_e32 v19, 0x7f800001, v17, vcc_lo
; %bb.3591:                             ;   in Loop: Header=BB4_3084 Depth=2
	s_or_b32 exec_lo, exec_lo, s42
.LBB4_3592:                             ;   in Loop: Header=BB4_3084 Depth=2
	s_delay_alu instid0(SALU_CYCLE_1)
	s_or_b32 exec_lo, exec_lo, s10
.LBB4_3593:                             ;   in Loop: Header=BB4_3084 Depth=2
	s_delay_alu instid0(SALU_CYCLE_1) | instskip(NEXT) | instid1(SALU_CYCLE_1)
	s_or_b32 exec_lo, exec_lo, s15
	s_mov_b32 s10, exec_lo
	s_wait_loadcnt_dscnt 0x808
	v_cmpx_ne_u16_e32 0, v56
	s_cbranch_execz .LBB4_3603
; %bb.3594:                             ;   in Loop: Header=BB4_3084 Depth=2
	v_bfrev_b32_e32 v21, 1
	s_mov_b32 s15, exec_lo
	v_cmpx_ne_u16_e32 0xff80, v56
	s_cbranch_execz .LBB4_3602
; %bb.3595:                             ;   in Loop: Header=BB4_3084 Depth=2
	v_and_b32_e32 v21, 0x7c, v56
	v_and_b32_e32 v17, 3, v56
	s_delay_alu instid0(VALU_DEP_2) | instskip(SKIP_1) | instid1(SALU_CYCLE_1)
	v_cmp_ne_u32_e32 vcc_lo, 0x7c, v21
                                        ; implicit-def: $vgpr21
	s_and_saveexec_b32 s42, vcc_lo
	s_xor_b32 s42, exec_lo, s42
	s_cbranch_execz .LBB4_3599
; %bb.3596:                             ;   in Loop: Header=BB4_3084 Depth=2
	v_and_b32_e32 v21, 0xff, v56
	s_mov_b32 s43, exec_lo
	s_delay_alu instid0(VALU_DEP_1) | instskip(NEXT) | instid1(VALU_DEP_1)
	v_bfe_u32 v21, v21, 2, 5
	v_cmpx_eq_u32_e32 0, v21
; %bb.3597:                             ;   in Loop: Header=BB4_3084 Depth=2
	v_clz_i32_u32_e32 v17, v17
	s_delay_alu instid0(VALU_DEP_1) | instskip(SKIP_1) | instid1(VALU_DEP_2)
	v_min_u32_e32 v17, 32, v17
	v_mov_b32_e32 v57, v55
	v_subrev_nc_u32_e32 v21, 29, v17
	s_delay_alu instid0(VALU_DEP_1) | instskip(NEXT) | instid1(VALU_DEP_1)
	v_lshlrev_b64_e32 v[82:83], v21, v[56:57]
	v_dual_sub_nc_u32 v21, 30, v17 :: v_dual_bitop2_b32 v17, 3, v82 bitop3:0x40
; %bb.3598:                             ;   in Loop: Header=BB4_3084 Depth=2
	s_or_b32 exec_lo, exec_lo, s43
	v_bfe_i32 v23, v56, 0, 16
                                        ; implicit-def: $vgpr56
	s_delay_alu instid0(VALU_DEP_1) | instskip(NEXT) | instid1(VALU_DEP_1)
	v_and_b32_e32 v23, 0x80000000, v23
	v_lshl_add_u32 v21, v21, 23, v23
	s_delay_alu instid0(VALU_DEP_1) | instskip(NEXT) | instid1(VALU_DEP_1)
	v_lshl_or_b32 v17, v17, 21, v21
	v_add_nc_u32_e32 v21, 0x38000000, v17
                                        ; implicit-def: $vgpr17
.LBB4_3599:                             ;   in Loop: Header=BB4_3084 Depth=2
	s_and_not1_saveexec_b32 s42, s42
; %bb.3600:                             ;   in Loop: Header=BB4_3084 Depth=2
	v_cmp_lt_i16_e32 vcc_lo, -1, v56
	v_cndmask_b32_e32 v21, 0xff800000, v126, vcc_lo
	v_cmp_eq_u32_e32 vcc_lo, 0, v17
	s_delay_alu instid0(VALU_DEP_2)
	v_cndmask_b32_e32 v21, 0x7f800001, v21, vcc_lo
; %bb.3601:                             ;   in Loop: Header=BB4_3084 Depth=2
	s_or_b32 exec_lo, exec_lo, s42
.LBB4_3602:                             ;   in Loop: Header=BB4_3084 Depth=2
	s_delay_alu instid0(SALU_CYCLE_1)
	s_or_b32 exec_lo, exec_lo, s15
.LBB4_3603:                             ;   in Loop: Header=BB4_3084 Depth=2
	s_delay_alu instid0(SALU_CYCLE_1) | instskip(NEXT) | instid1(VALU_DEP_1)
	s_or_b32 exec_lo, exec_lo, s10
	v_dual_max_num_f32 v17, v21, v21 :: v_dual_max_num_f32 v19, v19, v19
	s_delay_alu instid0(VALU_DEP_1)
	v_min_num_f32_e32 v19, v19, v17
.LBB4_3604:                             ;   in Loop: Header=BB4_3084 Depth=2
	s_delay_alu instid0(VALU_DEP_1) | instskip(SKIP_3) | instid1(VALU_DEP_2)
	v_and_b32_e32 v82, 0x7f800000, v19
	v_mov_b32_e32 v83, v55
	v_and_b32_e32 v54, 0x7fffff, v19
                                        ; implicit-def: $vgpr57
	s_mov_b32 s10, exec_lo
	v_cmpx_ne_u64_e32 0x7f800000, v[82:83]
	s_xor_b32 s15, exec_lo, s10
	s_cbranch_execz .LBB4_3622
; %bb.3605:                             ;   in Loop: Header=BB4_3084 Depth=2
	v_dual_mov_b32 v83, v55 :: v_dual_lshrrev_b32 v17, 24, v19
	v_and_b32_e32 v82, 0x7fffffff, v19
                                        ; implicit-def: $vgpr57
	s_mov_b32 s10, exec_lo
	s_delay_alu instid0(VALU_DEP_2) | instskip(NEXT) | instid1(VALU_DEP_2)
	v_and_b32_e32 v17, 0x80, v17
	v_cmpx_gt_u64_e32 0x47600001, v[82:83]
	s_xor_b32 s42, exec_lo, s10
	s_cbranch_execz .LBB4_3619
; %bb.3606:                             ;   in Loop: Header=BB4_3084 Depth=2
	v_mov_b32_e32 v57, 0
	s_mov_b32 s43, exec_lo
	v_cmpx_ne_u32_e32 0, v19
	s_cbranch_execz .LBB4_3618
; %bb.3607:                             ;   in Loop: Header=BB4_3084 Depth=2
	v_bfe_u32 v19, v19, 23, 8
	v_or_b32_e32 v25, 0x800000, v54
	s_delay_alu instid0(VALU_DEP_2) | instskip(SKIP_1) | instid1(VALU_DEP_2)
	v_sub_nc_u32_e32 v21, 0x71, v19
	v_cmp_gt_u32_e32 vcc_lo, 0x72, v19
	v_cndmask_b32_e32 v21, 0, v21, vcc_lo
	v_cmp_eq_u32_e32 vcc_lo, 0, v19
	s_delay_alu instid0(VALU_DEP_2) | instskip(NEXT) | instid1(VALU_DEP_1)
	v_cndmask_b32_e64 v21, v21, 0x70, vcc_lo
	v_dual_cndmask_b32 v54, v25, v54 :: v_dual_add_nc_u32 v23, 21, v21
	s_wait_loadcnt_dscnt 0x808
	s_delay_alu instid0(VALU_DEP_1) | instskip(NEXT) | instid1(VALU_DEP_2)
	v_lshrrev_b64 v[56:57], v21, v[54:55]
	v_lshlrev_b64_e64 v[82:83], v23, -1
	v_add_nc_u32_e32 v23, 20, v21
	s_delay_alu instid0(VALU_DEP_1) | instskip(NEXT) | instid1(VALU_DEP_3)
	v_lshlrev_b64_e64 v[58:59], v23, 1
	v_bfi_b32 v83, v83, 0, 0
	s_delay_alu instid0(VALU_DEP_4) | instskip(NEXT) | instid1(VALU_DEP_1)
	v_bfi_b32 v82, v82, 0, v54
	v_cmp_eq_u64_e64 s10, v[82:83], v[58:59]
	v_mov_b64_e32 v[58:59], v[56:57]
	s_and_saveexec_b32 s44, s10
; %bb.3608:                             ;   in Loop: Header=BB4_3084 Depth=2
	v_bfe_u32 v54, v56, 21, 1
	s_delay_alu instid0(VALU_DEP_1) | instskip(NEXT) | instid1(VALU_DEP_1)
	v_add_nc_u64_e32 v[82:83], v[56:57], v[54:55]
	v_add_nc_u64_e32 v[58:59], -1, v[82:83]
; %bb.3609:                             ;   in Loop: Header=BB4_3084 Depth=2
	s_or_b32 exec_lo, exec_lo, s44
	v_add_nc_u32_e32 v19, 0xffffff81, v19
	v_lshrrev_b32_e32 v23, 23, v56
	s_mov_b32 s10, exec_lo
	s_delay_alu instid0(VALU_DEP_2) | instskip(NEXT) | instid1(VALU_DEP_1)
	v_cndmask_b32_e64 v19, v19, 0xffffff82, vcc_lo
	v_add3_u32 v21, v21, v19, v23
	v_and_b32_e32 v19, 0x1fffff, v58
	s_delay_alu instid0(VALU_DEP_1) | instskip(NEXT) | instid1(VALU_DEP_1)
	v_dual_add_nc_u32 v23, 14, v21 :: v_dual_add_nc_u32 v54, v19, v56
                                        ; implicit-def: $vgpr56_vgpr57
                                        ; implicit-def: $vgpr19
	v_cmpx_ne_u32_e32 0, v23
	s_xor_b32 s10, exec_lo, s10
; %bb.3610:                             ;   in Loop: Header=BB4_3084 Depth=2
	s_delay_alu instid0(VALU_DEP_2) | instskip(SKIP_2) | instid1(VALU_DEP_2)
	v_cmp_lt_u64_e32 vcc_lo, 0xffffff, v[54:55]
	v_add_nc_u32_e32 v19, 15, v21
	v_cndmask_b32_e64 v21, 0, 1, vcc_lo
	v_cndmask_b32_e32 v19, v23, v19, vcc_lo
	s_delay_alu instid0(VALU_DEP_2)
	v_lshrrev_b64 v[56:57], v21, v[54:55]
; %bb.3611:                             ;   in Loop: Header=BB4_3084 Depth=2
	s_and_not1_saveexec_b32 s10, s10
; %bb.3612:                             ;   in Loop: Header=BB4_3084 Depth=2
	v_mov_b64_e32 v[56:57], v[54:55]
	v_bfe_u32 v19, v54, 23, 1
; %bb.3613:                             ;   in Loop: Header=BB4_3084 Depth=2
	s_or_b32 exec_lo, exec_lo, s10
	s_delay_alu instid0(VALU_DEP_2) | instskip(NEXT) | instid1(VALU_DEP_2)
	v_lshrrev_b64 v[82:83], 21, v[56:57]
	v_cmp_gt_i32_e32 vcc_lo, 32, v19
	v_cmp_ne_u32_e64 s10, 0, v19
	s_delay_alu instid0(VALU_DEP_3) | instskip(NEXT) | instid1(VALU_DEP_1)
	v_dual_cndmask_b32 v57, 0, v83 :: v_dual_cndmask_b32 v56, 3, v82
	v_cmp_ne_u64_e32 vcc_lo, 0, v[56:57]
                                        ; implicit-def: $vgpr57
	s_or_b32 s10, s10, vcc_lo
	s_delay_alu instid0(SALU_CYCLE_1) | instskip(NEXT) | instid1(SALU_CYCLE_1)
	s_and_saveexec_b32 s44, s10
	s_xor_b32 s10, exec_lo, s44
; %bb.3614:                             ;   in Loop: Header=BB4_3084 Depth=2
	v_min_i32_e32 v19, 31, v19
	s_delay_alu instid0(VALU_DEP_1) | instskip(NEXT) | instid1(VALU_DEP_1)
	v_lshl_or_b32 v17, v19, 2, v17
	v_and_or_b32 v57, v56, 3, v17
                                        ; implicit-def: $vgpr17
; %bb.3615:                             ;   in Loop: Header=BB4_3084 Depth=2
	s_and_not1_saveexec_b32 s10, s10
; %bb.3616:                             ;   in Loop: Header=BB4_3084 Depth=2
	v_mov_b32_e32 v57, v17
; %bb.3617:                             ;   in Loop: Header=BB4_3084 Depth=2
	s_or_b32 exec_lo, exec_lo, s10
.LBB4_3618:                             ;   in Loop: Header=BB4_3084 Depth=2
	s_delay_alu instid0(SALU_CYCLE_1)
	s_or_b32 exec_lo, exec_lo, s43
                                        ; implicit-def: $vgpr17
.LBB4_3619:                             ;   in Loop: Header=BB4_3084 Depth=2
	s_and_not1_saveexec_b32 s10, s42
; %bb.3620:                             ;   in Loop: Header=BB4_3084 Depth=2
	v_or_b32_e32 v57, 0x7b, v17
; %bb.3621:                             ;   in Loop: Header=BB4_3084 Depth=2
	s_or_b32 exec_lo, exec_lo, s10
                                        ; implicit-def: $vgpr19
.LBB4_3622:                             ;   in Loop: Header=BB4_3084 Depth=2
	s_and_not1_saveexec_b32 s10, s15
	s_cbranch_execz .LBB4_3628
; %bb.3623:                             ;   in Loop: Header=BB4_3084 Depth=2
	s_mov_b32 s15, exec_lo
                                        ; implicit-def: $vgpr57
	v_cmpx_ne_u64_e32 0, v[54:55]
	s_xor_b32 s15, exec_lo, s15
; %bb.3624:                             ;   in Loop: Header=BB4_3084 Depth=2
	v_lshrrev_b32_e32 v17, 24, v19
                                        ; implicit-def: $vgpr19
	s_delay_alu instid0(VALU_DEP_1)
	v_or_b32_e32 v57, 0x7f, v17
; %bb.3625:                             ;   in Loop: Header=BB4_3084 Depth=2
	s_and_not1_saveexec_b32 s15, s15
; %bb.3626:                             ;   in Loop: Header=BB4_3084 Depth=2
	v_cmp_lt_i32_e32 vcc_lo, -1, v19
	v_cndmask_b32_e64 v57, -4, 0x7c, vcc_lo
; %bb.3627:                             ;   in Loop: Header=BB4_3084 Depth=2
	s_or_b32 exec_lo, exec_lo, s15
.LBB4_3628:                             ;   in Loop: Header=BB4_3084 Depth=2
	s_delay_alu instid0(SALU_CYCLE_1)
	s_or_b32 exec_lo, exec_lo, s10
	v_and_b32_e32 v17, 0xff, v46
	v_cmp_ne_u16_e64 s10, 0, v46
	s_and_not1_b32 vcc_lo, exec_lo, s14
	s_mov_b32 s15, -1
                                        ; implicit-def: $vgpr19
	s_cbranch_vccnz .LBB4_3650
; %bb.3629:                             ;   in Loop: Header=BB4_3084 Depth=2
	v_dual_mov_b32 v21, 0 :: v_dual_mov_b32 v19, 0
	s_and_saveexec_b32 s15, s10
	s_cbranch_execz .LBB4_3639
; %bb.3630:                             ;   in Loop: Header=BB4_3084 Depth=2
	v_bfrev_b32_e32 v19, 1
	s_mov_b32 s42, exec_lo
	v_cmpx_ne_u16_e32 0xff80, v46
	s_cbranch_execz .LBB4_3638
; %bb.3631:                             ;   in Loop: Header=BB4_3084 Depth=2
	v_and_b32_e32 v19, 0x7c, v17
	v_and_b32_e32 v23, 3, v17
	s_delay_alu instid0(VALU_DEP_2) | instskip(SKIP_1) | instid1(SALU_CYCLE_1)
	v_cmp_ne_u32_e32 vcc_lo, 0x7c, v19
                                        ; implicit-def: $vgpr19
	s_and_saveexec_b32 s43, vcc_lo
	s_xor_b32 s43, exec_lo, s43
	s_cbranch_execz .LBB4_3635
; %bb.3632:                             ;   in Loop: Header=BB4_3084 Depth=2
	v_bfe_u32 v19, v17, 2, 5
	s_mov_b32 s44, exec_lo
	s_delay_alu instid0(VALU_DEP_1)
	v_cmpx_eq_u32_e32 0, v19
	s_cbranch_execz .LBB4_3634
; %bb.3633:                             ;   in Loop: Header=BB4_3084 Depth=2
	v_clz_i32_u32_e32 v19, v23
	s_delay_alu instid0(VALU_DEP_1) | instskip(SKIP_1) | instid1(VALU_DEP_2)
	v_min_u32_e32 v19, 32, v19
	v_mov_b32_e32 v47, v55
	v_subrev_nc_u32_e32 v23, 29, v19
	v_sub_nc_u32_e32 v19, 30, v19
	s_delay_alu instid0(VALU_DEP_2) | instskip(NEXT) | instid1(VALU_DEP_1)
	v_lshlrev_b64_e32 v[82:83], v23, v[46:47]
	v_and_b32_e32 v23, 3, v82
.LBB4_3634:                             ;   in Loop: Header=BB4_3084 Depth=2
	s_or_b32 exec_lo, exec_lo, s44
	v_bfe_i32 v25, v46, 0, 16
	s_delay_alu instid0(VALU_DEP_1) | instskip(NEXT) | instid1(VALU_DEP_1)
	v_and_b32_e32 v25, 0x80000000, v25
	v_lshl_add_u32 v19, v19, 23, v25
	s_delay_alu instid0(VALU_DEP_1) | instskip(NEXT) | instid1(VALU_DEP_1)
	v_lshl_or_b32 v19, v23, 21, v19
                                        ; implicit-def: $vgpr23
	v_add_nc_u32_e32 v19, 0x38000000, v19
.LBB4_3635:                             ;   in Loop: Header=BB4_3084 Depth=2
	s_and_not1_saveexec_b32 s43, s43
; %bb.3636:                             ;   in Loop: Header=BB4_3084 Depth=2
	v_cmp_lt_i16_e32 vcc_lo, -1, v46
	v_cndmask_b32_e32 v19, 0xff800000, v126, vcc_lo
	v_cmp_eq_u32_e32 vcc_lo, 0, v23
	s_delay_alu instid0(VALU_DEP_2)
	v_cndmask_b32_e32 v19, 0x7f800001, v19, vcc_lo
; %bb.3637:                             ;   in Loop: Header=BB4_3084 Depth=2
	s_or_b32 exec_lo, exec_lo, s43
.LBB4_3638:                             ;   in Loop: Header=BB4_3084 Depth=2
	s_delay_alu instid0(SALU_CYCLE_1)
	s_or_b32 exec_lo, exec_lo, s42
.LBB4_3639:                             ;   in Loop: Header=BB4_3084 Depth=2
	s_delay_alu instid0(SALU_CYCLE_1) | instskip(NEXT) | instid1(SALU_CYCLE_1)
	s_or_b32 exec_lo, exec_lo, s15
	s_mov_b32 s15, exec_lo
	s_wait_loadcnt_dscnt 0x707
	v_cmpx_ne_u16_e32 0, v44
	s_cbranch_execz .LBB4_3649
; %bb.3640:                             ;   in Loop: Header=BB4_3084 Depth=2
	v_bfrev_b32_e32 v21, 1
	s_mov_b32 s42, exec_lo
	v_cmpx_ne_u16_e32 0xff80, v44
	s_cbranch_execz .LBB4_3648
; %bb.3641:                             ;   in Loop: Header=BB4_3084 Depth=2
	v_and_b32_e32 v21, 0x7c, v44
	v_and_b32_e32 v23, 3, v44
	s_delay_alu instid0(VALU_DEP_2) | instskip(SKIP_1) | instid1(SALU_CYCLE_1)
	v_cmp_ne_u32_e32 vcc_lo, 0x7c, v21
                                        ; implicit-def: $vgpr21
	s_and_saveexec_b32 s43, vcc_lo
	s_xor_b32 s43, exec_lo, s43
	s_cbranch_execz .LBB4_3645
; %bb.3642:                             ;   in Loop: Header=BB4_3084 Depth=2
	v_and_b32_e32 v21, 0xff, v44
	s_mov_b32 s44, exec_lo
	s_delay_alu instid0(VALU_DEP_1) | instskip(NEXT) | instid1(VALU_DEP_1)
	v_bfe_u32 v21, v21, 2, 5
	v_cmpx_eq_u32_e32 0, v21
	s_cbranch_execz .LBB4_3644
; %bb.3643:                             ;   in Loop: Header=BB4_3084 Depth=2
	v_clz_i32_u32_e32 v21, v23
	s_delay_alu instid0(VALU_DEP_1) | instskip(SKIP_1) | instid1(VALU_DEP_2)
	v_min_u32_e32 v21, 32, v21
	v_mov_b32_e32 v45, v55
	v_subrev_nc_u32_e32 v23, 29, v21
	v_sub_nc_u32_e32 v21, 30, v21
	s_delay_alu instid0(VALU_DEP_2) | instskip(NEXT) | instid1(VALU_DEP_1)
	v_lshlrev_b64_e32 v[82:83], v23, v[44:45]
	v_and_b32_e32 v23, 3, v82
.LBB4_3644:                             ;   in Loop: Header=BB4_3084 Depth=2
	s_or_b32 exec_lo, exec_lo, s44
	v_bfe_i32 v25, v44, 0, 16
	s_delay_alu instid0(VALU_DEP_1) | instskip(NEXT) | instid1(VALU_DEP_1)
	v_and_b32_e32 v25, 0x80000000, v25
	v_lshl_add_u32 v21, v21, 23, v25
	s_delay_alu instid0(VALU_DEP_1) | instskip(NEXT) | instid1(VALU_DEP_1)
	v_lshl_or_b32 v21, v23, 21, v21
                                        ; implicit-def: $vgpr23
	v_add_nc_u32_e32 v21, 0x38000000, v21
.LBB4_3645:                             ;   in Loop: Header=BB4_3084 Depth=2
	s_and_not1_saveexec_b32 s43, s43
; %bb.3646:                             ;   in Loop: Header=BB4_3084 Depth=2
	v_cmp_lt_i16_e32 vcc_lo, -1, v44
	v_cndmask_b32_e32 v21, 0xff800000, v126, vcc_lo
	v_cmp_eq_u32_e32 vcc_lo, 0, v23
	s_delay_alu instid0(VALU_DEP_2)
	v_cndmask_b32_e32 v21, 0x7f800001, v21, vcc_lo
; %bb.3647:                             ;   in Loop: Header=BB4_3084 Depth=2
	s_or_b32 exec_lo, exec_lo, s43
.LBB4_3648:                             ;   in Loop: Header=BB4_3084 Depth=2
	s_delay_alu instid0(SALU_CYCLE_1)
	s_or_b32 exec_lo, exec_lo, s42
.LBB4_3649:                             ;   in Loop: Header=BB4_3084 Depth=2
	s_delay_alu instid0(SALU_CYCLE_1) | instskip(NEXT) | instid1(VALU_DEP_1)
	s_or_b32 exec_lo, exec_lo, s15
	v_dual_max_num_f32 v21, v21, v21 :: v_dual_max_num_f32 v19, v19, v19
	s_mov_b32 s15, 0
	s_delay_alu instid0(VALU_DEP_1)
	v_max_num_f32_e32 v19, v19, v21
.LBB4_3650:                             ;   in Loop: Header=BB4_3084 Depth=2
	s_and_b32 vcc_lo, exec_lo, s15
	s_cbranch_vccz .LBB4_3672
; %bb.3651:                             ;   in Loop: Header=BB4_3084 Depth=2
	v_dual_mov_b32 v21, 0 :: v_dual_mov_b32 v19, 0
	s_and_saveexec_b32 s15, s10
	s_cbranch_execz .LBB4_3661
; %bb.3652:                             ;   in Loop: Header=BB4_3084 Depth=2
	v_bfrev_b32_e32 v19, 1
	s_mov_b32 s10, exec_lo
	v_cmpx_ne_u16_e32 0xff80, v46
	s_cbranch_execz .LBB4_3660
; %bb.3653:                             ;   in Loop: Header=BB4_3084 Depth=2
	v_and_b32_e32 v19, 0x7c, v17
	v_and_b32_e32 v23, 3, v17
	s_delay_alu instid0(VALU_DEP_2) | instskip(SKIP_1) | instid1(SALU_CYCLE_1)
	v_cmp_ne_u32_e32 vcc_lo, 0x7c, v19
                                        ; implicit-def: $vgpr19
	s_and_saveexec_b32 s42, vcc_lo
	s_xor_b32 s42, exec_lo, s42
	s_cbranch_execz .LBB4_3657
; %bb.3654:                             ;   in Loop: Header=BB4_3084 Depth=2
	v_bfe_u32 v17, v17, 2, 5
	s_mov_b32 s43, exec_lo
	s_delay_alu instid0(VALU_DEP_1)
	v_cmpx_eq_u32_e32 0, v17
	s_cbranch_execz .LBB4_3656
; %bb.3655:                             ;   in Loop: Header=BB4_3084 Depth=2
	v_clz_i32_u32_e32 v17, v23
	s_delay_alu instid0(VALU_DEP_1) | instskip(SKIP_1) | instid1(VALU_DEP_2)
	v_min_u32_e32 v17, 32, v17
	v_mov_b32_e32 v47, v55
	v_subrev_nc_u32_e32 v19, 29, v17
	v_sub_nc_u32_e32 v17, 30, v17
	s_delay_alu instid0(VALU_DEP_2) | instskip(NEXT) | instid1(VALU_DEP_1)
	v_lshlrev_b64_e32 v[82:83], v19, v[46:47]
	v_and_b32_e32 v23, 3, v82
.LBB4_3656:                             ;   in Loop: Header=BB4_3084 Depth=2
	s_or_b32 exec_lo, exec_lo, s43
	v_bfe_i32 v19, v46, 0, 16
                                        ; implicit-def: $vgpr46
	s_delay_alu instid0(VALU_DEP_1) | instskip(NEXT) | instid1(VALU_DEP_1)
	v_and_b32_e32 v19, 0x80000000, v19
	v_lshl_add_u32 v17, v17, 23, v19
	s_delay_alu instid0(VALU_DEP_1) | instskip(NEXT) | instid1(VALU_DEP_1)
	v_lshl_or_b32 v17, v23, 21, v17
                                        ; implicit-def: $vgpr23
	v_add_nc_u32_e32 v19, 0x38000000, v17
.LBB4_3657:                             ;   in Loop: Header=BB4_3084 Depth=2
	s_and_not1_saveexec_b32 s42, s42
; %bb.3658:                             ;   in Loop: Header=BB4_3084 Depth=2
	v_cmp_lt_i16_e32 vcc_lo, -1, v46
	v_cndmask_b32_e32 v17, 0xff800000, v126, vcc_lo
	v_cmp_eq_u32_e32 vcc_lo, 0, v23
	s_delay_alu instid0(VALU_DEP_2)
	v_cndmask_b32_e32 v19, 0x7f800001, v17, vcc_lo
; %bb.3659:                             ;   in Loop: Header=BB4_3084 Depth=2
	s_or_b32 exec_lo, exec_lo, s42
.LBB4_3660:                             ;   in Loop: Header=BB4_3084 Depth=2
	s_delay_alu instid0(SALU_CYCLE_1)
	s_or_b32 exec_lo, exec_lo, s10
.LBB4_3661:                             ;   in Loop: Header=BB4_3084 Depth=2
	s_delay_alu instid0(SALU_CYCLE_1) | instskip(NEXT) | instid1(SALU_CYCLE_1)
	s_or_b32 exec_lo, exec_lo, s15
	s_mov_b32 s10, exec_lo
	s_wait_loadcnt_dscnt 0x707
	v_cmpx_ne_u16_e32 0, v44
	s_cbranch_execz .LBB4_3671
; %bb.3662:                             ;   in Loop: Header=BB4_3084 Depth=2
	v_bfrev_b32_e32 v21, 1
	s_mov_b32 s15, exec_lo
	v_cmpx_ne_u16_e32 0xff80, v44
	s_cbranch_execz .LBB4_3670
; %bb.3663:                             ;   in Loop: Header=BB4_3084 Depth=2
	v_and_b32_e32 v21, 0x7c, v44
	v_and_b32_e32 v17, 3, v44
	s_delay_alu instid0(VALU_DEP_2) | instskip(SKIP_1) | instid1(SALU_CYCLE_1)
	v_cmp_ne_u32_e32 vcc_lo, 0x7c, v21
                                        ; implicit-def: $vgpr21
	s_and_saveexec_b32 s42, vcc_lo
	s_xor_b32 s42, exec_lo, s42
	s_cbranch_execz .LBB4_3667
; %bb.3664:                             ;   in Loop: Header=BB4_3084 Depth=2
	v_and_b32_e32 v21, 0xff, v44
	s_mov_b32 s43, exec_lo
	s_delay_alu instid0(VALU_DEP_1) | instskip(NEXT) | instid1(VALU_DEP_1)
	v_bfe_u32 v21, v21, 2, 5
	v_cmpx_eq_u32_e32 0, v21
; %bb.3665:                             ;   in Loop: Header=BB4_3084 Depth=2
	v_clz_i32_u32_e32 v17, v17
	s_delay_alu instid0(VALU_DEP_1) | instskip(SKIP_1) | instid1(VALU_DEP_2)
	v_min_u32_e32 v17, 32, v17
	v_mov_b32_e32 v45, v55
	v_subrev_nc_u32_e32 v21, 29, v17
	s_delay_alu instid0(VALU_DEP_1) | instskip(NEXT) | instid1(VALU_DEP_1)
	v_lshlrev_b64_e32 v[82:83], v21, v[44:45]
	v_dual_sub_nc_u32 v21, 30, v17 :: v_dual_bitop2_b32 v17, 3, v82 bitop3:0x40
; %bb.3666:                             ;   in Loop: Header=BB4_3084 Depth=2
	s_or_b32 exec_lo, exec_lo, s43
	v_bfe_i32 v23, v44, 0, 16
                                        ; implicit-def: $vgpr44
	s_delay_alu instid0(VALU_DEP_1) | instskip(NEXT) | instid1(VALU_DEP_1)
	v_and_b32_e32 v23, 0x80000000, v23
	v_lshl_add_u32 v21, v21, 23, v23
	s_delay_alu instid0(VALU_DEP_1) | instskip(NEXT) | instid1(VALU_DEP_1)
	v_lshl_or_b32 v17, v17, 21, v21
	v_add_nc_u32_e32 v21, 0x38000000, v17
                                        ; implicit-def: $vgpr17
.LBB4_3667:                             ;   in Loop: Header=BB4_3084 Depth=2
	s_and_not1_saveexec_b32 s42, s42
; %bb.3668:                             ;   in Loop: Header=BB4_3084 Depth=2
	v_cmp_lt_i16_e32 vcc_lo, -1, v44
	v_cndmask_b32_e32 v21, 0xff800000, v126, vcc_lo
	v_cmp_eq_u32_e32 vcc_lo, 0, v17
	s_delay_alu instid0(VALU_DEP_2)
	v_cndmask_b32_e32 v21, 0x7f800001, v21, vcc_lo
; %bb.3669:                             ;   in Loop: Header=BB4_3084 Depth=2
	s_or_b32 exec_lo, exec_lo, s42
.LBB4_3670:                             ;   in Loop: Header=BB4_3084 Depth=2
	s_delay_alu instid0(SALU_CYCLE_1)
	s_or_b32 exec_lo, exec_lo, s15
.LBB4_3671:                             ;   in Loop: Header=BB4_3084 Depth=2
	s_delay_alu instid0(SALU_CYCLE_1) | instskip(NEXT) | instid1(VALU_DEP_1)
	s_or_b32 exec_lo, exec_lo, s10
	v_dual_max_num_f32 v17, v21, v21 :: v_dual_max_num_f32 v19, v19, v19
	s_delay_alu instid0(VALU_DEP_1)
	v_min_num_f32_e32 v19, v19, v17
.LBB4_3672:                             ;   in Loop: Header=BB4_3084 Depth=2
	s_delay_alu instid0(VALU_DEP_1) | instskip(SKIP_3) | instid1(VALU_DEP_2)
	v_and_b32_e32 v82, 0x7f800000, v19
	v_mov_b32_e32 v83, v55
	v_and_b32_e32 v54, 0x7fffff, v19
                                        ; implicit-def: $vgpr45
	s_mov_b32 s10, exec_lo
	v_cmpx_ne_u64_e32 0x7f800000, v[82:83]
	s_xor_b32 s15, exec_lo, s10
	s_cbranch_execz .LBB4_3690
; %bb.3673:                             ;   in Loop: Header=BB4_3084 Depth=2
	v_dual_mov_b32 v83, v55 :: v_dual_lshrrev_b32 v17, 24, v19
	v_and_b32_e32 v82, 0x7fffffff, v19
                                        ; implicit-def: $vgpr45
	s_mov_b32 s10, exec_lo
	s_delay_alu instid0(VALU_DEP_2) | instskip(NEXT) | instid1(VALU_DEP_2)
	v_and_b32_e32 v17, 0x80, v17
	v_cmpx_gt_u64_e32 0x47600001, v[82:83]
	s_xor_b32 s42, exec_lo, s10
	s_cbranch_execz .LBB4_3687
; %bb.3674:                             ;   in Loop: Header=BB4_3084 Depth=2
	v_mov_b32_e32 v45, 0
	s_mov_b32 s43, exec_lo
	v_cmpx_ne_u32_e32 0, v19
	s_cbranch_execz .LBB4_3686
; %bb.3675:                             ;   in Loop: Header=BB4_3084 Depth=2
	v_bfe_u32 v19, v19, 23, 8
	v_or_b32_e32 v25, 0x800000, v54
	s_delay_alu instid0(VALU_DEP_2) | instskip(SKIP_1) | instid1(VALU_DEP_2)
	v_sub_nc_u32_e32 v21, 0x71, v19
	v_cmp_gt_u32_e32 vcc_lo, 0x72, v19
	v_cndmask_b32_e32 v21, 0, v21, vcc_lo
	v_cmp_eq_u32_e32 vcc_lo, 0, v19
	s_delay_alu instid0(VALU_DEP_2) | instskip(NEXT) | instid1(VALU_DEP_1)
	v_cndmask_b32_e64 v21, v21, 0x70, vcc_lo
	v_dual_cndmask_b32 v54, v25, v54 :: v_dual_add_nc_u32 v23, 21, v21
	s_wait_loadcnt_dscnt 0x707
	s_delay_alu instid0(VALU_DEP_1) | instskip(NEXT) | instid1(VALU_DEP_2)
	v_lshrrev_b64 v[44:45], v21, v[54:55]
	v_lshlrev_b64_e64 v[82:83], v23, -1
	v_add_nc_u32_e32 v23, 20, v21
	s_delay_alu instid0(VALU_DEP_1) | instskip(NEXT) | instid1(VALU_DEP_3)
	v_lshlrev_b64_e64 v[46:47], v23, 1
	v_bfi_b32 v83, v83, 0, 0
	s_delay_alu instid0(VALU_DEP_4) | instskip(NEXT) | instid1(VALU_DEP_1)
	v_bfi_b32 v82, v82, 0, v54
	v_cmp_eq_u64_e64 s10, v[82:83], v[46:47]
	v_mov_b64_e32 v[46:47], v[44:45]
	s_and_saveexec_b32 s44, s10
; %bb.3676:                             ;   in Loop: Header=BB4_3084 Depth=2
	v_bfe_u32 v54, v44, 21, 1
	s_delay_alu instid0(VALU_DEP_1) | instskip(NEXT) | instid1(VALU_DEP_1)
	v_add_nc_u64_e32 v[82:83], v[44:45], v[54:55]
	v_add_nc_u64_e32 v[46:47], -1, v[82:83]
; %bb.3677:                             ;   in Loop: Header=BB4_3084 Depth=2
	s_or_b32 exec_lo, exec_lo, s44
	v_add_nc_u32_e32 v19, 0xffffff81, v19
	v_lshrrev_b32_e32 v23, 23, v44
	s_mov_b32 s10, exec_lo
	s_delay_alu instid0(VALU_DEP_2) | instskip(NEXT) | instid1(VALU_DEP_1)
	v_cndmask_b32_e64 v19, v19, 0xffffff82, vcc_lo
	v_add3_u32 v21, v21, v19, v23
	v_and_b32_e32 v19, 0x1fffff, v46
	s_delay_alu instid0(VALU_DEP_1) | instskip(NEXT) | instid1(VALU_DEP_1)
	v_dual_add_nc_u32 v23, 14, v21 :: v_dual_add_nc_u32 v54, v19, v44
                                        ; implicit-def: $vgpr44_vgpr45
                                        ; implicit-def: $vgpr19
	v_cmpx_ne_u32_e32 0, v23
	s_xor_b32 s10, exec_lo, s10
; %bb.3678:                             ;   in Loop: Header=BB4_3084 Depth=2
	s_delay_alu instid0(VALU_DEP_2) | instskip(SKIP_2) | instid1(VALU_DEP_2)
	v_cmp_lt_u64_e32 vcc_lo, 0xffffff, v[54:55]
	v_add_nc_u32_e32 v19, 15, v21
	v_cndmask_b32_e64 v21, 0, 1, vcc_lo
	v_cndmask_b32_e32 v19, v23, v19, vcc_lo
	s_delay_alu instid0(VALU_DEP_2)
	v_lshrrev_b64 v[44:45], v21, v[54:55]
; %bb.3679:                             ;   in Loop: Header=BB4_3084 Depth=2
	s_and_not1_saveexec_b32 s10, s10
; %bb.3680:                             ;   in Loop: Header=BB4_3084 Depth=2
	v_mov_b64_e32 v[44:45], v[54:55]
	v_bfe_u32 v19, v54, 23, 1
; %bb.3681:                             ;   in Loop: Header=BB4_3084 Depth=2
	s_or_b32 exec_lo, exec_lo, s10
	s_delay_alu instid0(VALU_DEP_2) | instskip(NEXT) | instid1(VALU_DEP_2)
	v_lshrrev_b64 v[82:83], 21, v[44:45]
	v_cmp_gt_i32_e32 vcc_lo, 32, v19
	v_cmp_ne_u32_e64 s10, 0, v19
	s_delay_alu instid0(VALU_DEP_3) | instskip(NEXT) | instid1(VALU_DEP_1)
	v_dual_cndmask_b32 v45, 0, v83 :: v_dual_cndmask_b32 v44, 3, v82
	v_cmp_ne_u64_e32 vcc_lo, 0, v[44:45]
                                        ; implicit-def: $vgpr45
	s_or_b32 s10, s10, vcc_lo
	s_delay_alu instid0(SALU_CYCLE_1) | instskip(NEXT) | instid1(SALU_CYCLE_1)
	s_and_saveexec_b32 s44, s10
	s_xor_b32 s10, exec_lo, s44
; %bb.3682:                             ;   in Loop: Header=BB4_3084 Depth=2
	v_min_i32_e32 v19, 31, v19
	s_delay_alu instid0(VALU_DEP_1) | instskip(NEXT) | instid1(VALU_DEP_1)
	v_lshl_or_b32 v17, v19, 2, v17
	v_and_or_b32 v45, v44, 3, v17
                                        ; implicit-def: $vgpr17
; %bb.3683:                             ;   in Loop: Header=BB4_3084 Depth=2
	s_and_not1_saveexec_b32 s10, s10
; %bb.3684:                             ;   in Loop: Header=BB4_3084 Depth=2
	v_mov_b32_e32 v45, v17
; %bb.3685:                             ;   in Loop: Header=BB4_3084 Depth=2
	s_or_b32 exec_lo, exec_lo, s10
.LBB4_3686:                             ;   in Loop: Header=BB4_3084 Depth=2
	s_delay_alu instid0(SALU_CYCLE_1)
	s_or_b32 exec_lo, exec_lo, s43
                                        ; implicit-def: $vgpr17
.LBB4_3687:                             ;   in Loop: Header=BB4_3084 Depth=2
	s_and_not1_saveexec_b32 s10, s42
; %bb.3688:                             ;   in Loop: Header=BB4_3084 Depth=2
	v_or_b32_e32 v45, 0x7b, v17
; %bb.3689:                             ;   in Loop: Header=BB4_3084 Depth=2
	s_or_b32 exec_lo, exec_lo, s10
                                        ; implicit-def: $vgpr19
.LBB4_3690:                             ;   in Loop: Header=BB4_3084 Depth=2
	s_and_not1_saveexec_b32 s10, s15
	s_cbranch_execz .LBB4_3696
; %bb.3691:                             ;   in Loop: Header=BB4_3084 Depth=2
	s_mov_b32 s15, exec_lo
                                        ; implicit-def: $vgpr45
	v_cmpx_ne_u64_e32 0, v[54:55]
	s_xor_b32 s15, exec_lo, s15
; %bb.3692:                             ;   in Loop: Header=BB4_3084 Depth=2
	v_lshrrev_b32_e32 v17, 24, v19
                                        ; implicit-def: $vgpr19
	s_delay_alu instid0(VALU_DEP_1)
	v_or_b32_e32 v45, 0x7f, v17
; %bb.3693:                             ;   in Loop: Header=BB4_3084 Depth=2
	s_and_not1_saveexec_b32 s15, s15
; %bb.3694:                             ;   in Loop: Header=BB4_3084 Depth=2
	v_cmp_lt_i32_e32 vcc_lo, -1, v19
	v_cndmask_b32_e64 v45, -4, 0x7c, vcc_lo
; %bb.3695:                             ;   in Loop: Header=BB4_3084 Depth=2
	s_or_b32 exec_lo, exec_lo, s15
.LBB4_3696:                             ;   in Loop: Header=BB4_3084 Depth=2
	s_delay_alu instid0(SALU_CYCLE_1)
	s_or_b32 exec_lo, exec_lo, s10
	v_and_b32_e32 v17, 0xff, v42
	v_cmp_ne_u16_e64 s10, 0, v42
	s_and_not1_b32 vcc_lo, exec_lo, s14
	s_mov_b32 s15, -1
                                        ; implicit-def: $vgpr19
	s_cbranch_vccnz .LBB4_3718
; %bb.3697:                             ;   in Loop: Header=BB4_3084 Depth=2
	v_dual_mov_b32 v21, 0 :: v_dual_mov_b32 v19, 0
	s_and_saveexec_b32 s15, s10
	s_cbranch_execz .LBB4_3707
; %bb.3698:                             ;   in Loop: Header=BB4_3084 Depth=2
	v_bfrev_b32_e32 v19, 1
	s_mov_b32 s42, exec_lo
	v_cmpx_ne_u16_e32 0xff80, v42
	s_cbranch_execz .LBB4_3706
; %bb.3699:                             ;   in Loop: Header=BB4_3084 Depth=2
	v_and_b32_e32 v19, 0x7c, v17
	v_and_b32_e32 v23, 3, v17
	s_delay_alu instid0(VALU_DEP_2) | instskip(SKIP_1) | instid1(SALU_CYCLE_1)
	v_cmp_ne_u32_e32 vcc_lo, 0x7c, v19
                                        ; implicit-def: $vgpr19
	s_and_saveexec_b32 s43, vcc_lo
	s_xor_b32 s43, exec_lo, s43
	s_cbranch_execz .LBB4_3703
; %bb.3700:                             ;   in Loop: Header=BB4_3084 Depth=2
	v_bfe_u32 v19, v17, 2, 5
	s_mov_b32 s44, exec_lo
	s_delay_alu instid0(VALU_DEP_1)
	v_cmpx_eq_u32_e32 0, v19
	s_cbranch_execz .LBB4_3702
; %bb.3701:                             ;   in Loop: Header=BB4_3084 Depth=2
	v_clz_i32_u32_e32 v19, v23
	s_delay_alu instid0(VALU_DEP_1) | instskip(SKIP_1) | instid1(VALU_DEP_2)
	v_min_u32_e32 v19, 32, v19
	v_mov_b32_e32 v43, v55
	v_subrev_nc_u32_e32 v23, 29, v19
	v_sub_nc_u32_e32 v19, 30, v19
	s_delay_alu instid0(VALU_DEP_2) | instskip(NEXT) | instid1(VALU_DEP_1)
	v_lshlrev_b64_e32 v[82:83], v23, v[42:43]
	v_and_b32_e32 v23, 3, v82
.LBB4_3702:                             ;   in Loop: Header=BB4_3084 Depth=2
	s_or_b32 exec_lo, exec_lo, s44
	v_bfe_i32 v25, v42, 0, 16
	s_delay_alu instid0(VALU_DEP_1) | instskip(NEXT) | instid1(VALU_DEP_1)
	v_and_b32_e32 v25, 0x80000000, v25
	v_lshl_add_u32 v19, v19, 23, v25
	s_delay_alu instid0(VALU_DEP_1) | instskip(NEXT) | instid1(VALU_DEP_1)
	v_lshl_or_b32 v19, v23, 21, v19
                                        ; implicit-def: $vgpr23
	v_add_nc_u32_e32 v19, 0x38000000, v19
.LBB4_3703:                             ;   in Loop: Header=BB4_3084 Depth=2
	s_and_not1_saveexec_b32 s43, s43
; %bb.3704:                             ;   in Loop: Header=BB4_3084 Depth=2
	v_cmp_lt_i16_e32 vcc_lo, -1, v42
	v_cndmask_b32_e32 v19, 0xff800000, v126, vcc_lo
	v_cmp_eq_u32_e32 vcc_lo, 0, v23
	s_delay_alu instid0(VALU_DEP_2)
	v_cndmask_b32_e32 v19, 0x7f800001, v19, vcc_lo
; %bb.3705:                             ;   in Loop: Header=BB4_3084 Depth=2
	s_or_b32 exec_lo, exec_lo, s43
.LBB4_3706:                             ;   in Loop: Header=BB4_3084 Depth=2
	s_delay_alu instid0(SALU_CYCLE_1)
	s_or_b32 exec_lo, exec_lo, s42
.LBB4_3707:                             ;   in Loop: Header=BB4_3084 Depth=2
	s_delay_alu instid0(SALU_CYCLE_1) | instskip(NEXT) | instid1(SALU_CYCLE_1)
	s_or_b32 exec_lo, exec_lo, s15
	s_mov_b32 s15, exec_lo
	s_wait_loadcnt_dscnt 0x606
	v_cmpx_ne_u16_e32 0, v40
	s_cbranch_execz .LBB4_3717
; %bb.3708:                             ;   in Loop: Header=BB4_3084 Depth=2
	v_bfrev_b32_e32 v21, 1
	s_mov_b32 s42, exec_lo
	v_cmpx_ne_u16_e32 0xff80, v40
	s_cbranch_execz .LBB4_3716
; %bb.3709:                             ;   in Loop: Header=BB4_3084 Depth=2
	v_and_b32_e32 v21, 0x7c, v40
	v_and_b32_e32 v23, 3, v40
	s_delay_alu instid0(VALU_DEP_2) | instskip(SKIP_1) | instid1(SALU_CYCLE_1)
	v_cmp_ne_u32_e32 vcc_lo, 0x7c, v21
                                        ; implicit-def: $vgpr21
	s_and_saveexec_b32 s43, vcc_lo
	s_xor_b32 s43, exec_lo, s43
	s_cbranch_execz .LBB4_3713
; %bb.3710:                             ;   in Loop: Header=BB4_3084 Depth=2
	v_and_b32_e32 v21, 0xff, v40
	s_mov_b32 s44, exec_lo
	s_delay_alu instid0(VALU_DEP_1) | instskip(NEXT) | instid1(VALU_DEP_1)
	v_bfe_u32 v21, v21, 2, 5
	v_cmpx_eq_u32_e32 0, v21
	s_cbranch_execz .LBB4_3712
; %bb.3711:                             ;   in Loop: Header=BB4_3084 Depth=2
	v_clz_i32_u32_e32 v21, v23
	s_delay_alu instid0(VALU_DEP_1) | instskip(SKIP_1) | instid1(VALU_DEP_2)
	v_min_u32_e32 v21, 32, v21
	v_mov_b32_e32 v41, v55
	v_subrev_nc_u32_e32 v23, 29, v21
	v_sub_nc_u32_e32 v21, 30, v21
	s_delay_alu instid0(VALU_DEP_2) | instskip(NEXT) | instid1(VALU_DEP_1)
	v_lshlrev_b64_e32 v[82:83], v23, v[40:41]
	v_and_b32_e32 v23, 3, v82
.LBB4_3712:                             ;   in Loop: Header=BB4_3084 Depth=2
	s_or_b32 exec_lo, exec_lo, s44
	v_bfe_i32 v25, v40, 0, 16
	s_delay_alu instid0(VALU_DEP_1) | instskip(NEXT) | instid1(VALU_DEP_1)
	v_and_b32_e32 v25, 0x80000000, v25
	v_lshl_add_u32 v21, v21, 23, v25
	s_delay_alu instid0(VALU_DEP_1) | instskip(NEXT) | instid1(VALU_DEP_1)
	v_lshl_or_b32 v21, v23, 21, v21
                                        ; implicit-def: $vgpr23
	v_add_nc_u32_e32 v21, 0x38000000, v21
.LBB4_3713:                             ;   in Loop: Header=BB4_3084 Depth=2
	s_and_not1_saveexec_b32 s43, s43
; %bb.3714:                             ;   in Loop: Header=BB4_3084 Depth=2
	v_cmp_lt_i16_e32 vcc_lo, -1, v40
	v_cndmask_b32_e32 v21, 0xff800000, v126, vcc_lo
	v_cmp_eq_u32_e32 vcc_lo, 0, v23
	s_delay_alu instid0(VALU_DEP_2)
	v_cndmask_b32_e32 v21, 0x7f800001, v21, vcc_lo
; %bb.3715:                             ;   in Loop: Header=BB4_3084 Depth=2
	s_or_b32 exec_lo, exec_lo, s43
.LBB4_3716:                             ;   in Loop: Header=BB4_3084 Depth=2
	s_delay_alu instid0(SALU_CYCLE_1)
	s_or_b32 exec_lo, exec_lo, s42
.LBB4_3717:                             ;   in Loop: Header=BB4_3084 Depth=2
	s_delay_alu instid0(SALU_CYCLE_1) | instskip(NEXT) | instid1(VALU_DEP_1)
	s_or_b32 exec_lo, exec_lo, s15
	v_dual_max_num_f32 v21, v21, v21 :: v_dual_max_num_f32 v19, v19, v19
	s_mov_b32 s15, 0
	s_delay_alu instid0(VALU_DEP_1)
	v_max_num_f32_e32 v19, v19, v21
.LBB4_3718:                             ;   in Loop: Header=BB4_3084 Depth=2
	s_and_b32 vcc_lo, exec_lo, s15
	s_cbranch_vccz .LBB4_3740
; %bb.3719:                             ;   in Loop: Header=BB4_3084 Depth=2
	v_dual_mov_b32 v21, 0 :: v_dual_mov_b32 v19, 0
	s_and_saveexec_b32 s15, s10
	s_cbranch_execz .LBB4_3729
; %bb.3720:                             ;   in Loop: Header=BB4_3084 Depth=2
	v_bfrev_b32_e32 v19, 1
	s_mov_b32 s10, exec_lo
	v_cmpx_ne_u16_e32 0xff80, v42
	s_cbranch_execz .LBB4_3728
; %bb.3721:                             ;   in Loop: Header=BB4_3084 Depth=2
	v_and_b32_e32 v19, 0x7c, v17
	v_and_b32_e32 v23, 3, v17
	s_delay_alu instid0(VALU_DEP_2) | instskip(SKIP_1) | instid1(SALU_CYCLE_1)
	v_cmp_ne_u32_e32 vcc_lo, 0x7c, v19
                                        ; implicit-def: $vgpr19
	s_and_saveexec_b32 s42, vcc_lo
	s_xor_b32 s42, exec_lo, s42
	s_cbranch_execz .LBB4_3725
; %bb.3722:                             ;   in Loop: Header=BB4_3084 Depth=2
	v_bfe_u32 v17, v17, 2, 5
	s_mov_b32 s43, exec_lo
	s_delay_alu instid0(VALU_DEP_1)
	v_cmpx_eq_u32_e32 0, v17
	s_cbranch_execz .LBB4_3724
; %bb.3723:                             ;   in Loop: Header=BB4_3084 Depth=2
	v_clz_i32_u32_e32 v17, v23
	s_delay_alu instid0(VALU_DEP_1) | instskip(SKIP_1) | instid1(VALU_DEP_2)
	v_min_u32_e32 v17, 32, v17
	v_mov_b32_e32 v43, v55
	v_subrev_nc_u32_e32 v19, 29, v17
	v_sub_nc_u32_e32 v17, 30, v17
	s_delay_alu instid0(VALU_DEP_2) | instskip(NEXT) | instid1(VALU_DEP_1)
	v_lshlrev_b64_e32 v[82:83], v19, v[42:43]
	v_and_b32_e32 v23, 3, v82
.LBB4_3724:                             ;   in Loop: Header=BB4_3084 Depth=2
	s_or_b32 exec_lo, exec_lo, s43
	v_bfe_i32 v19, v42, 0, 16
                                        ; implicit-def: $vgpr42
	s_delay_alu instid0(VALU_DEP_1) | instskip(NEXT) | instid1(VALU_DEP_1)
	v_and_b32_e32 v19, 0x80000000, v19
	v_lshl_add_u32 v17, v17, 23, v19
	s_delay_alu instid0(VALU_DEP_1) | instskip(NEXT) | instid1(VALU_DEP_1)
	v_lshl_or_b32 v17, v23, 21, v17
                                        ; implicit-def: $vgpr23
	v_add_nc_u32_e32 v19, 0x38000000, v17
.LBB4_3725:                             ;   in Loop: Header=BB4_3084 Depth=2
	s_and_not1_saveexec_b32 s42, s42
; %bb.3726:                             ;   in Loop: Header=BB4_3084 Depth=2
	v_cmp_lt_i16_e32 vcc_lo, -1, v42
	v_cndmask_b32_e32 v17, 0xff800000, v126, vcc_lo
	v_cmp_eq_u32_e32 vcc_lo, 0, v23
	s_delay_alu instid0(VALU_DEP_2)
	v_cndmask_b32_e32 v19, 0x7f800001, v17, vcc_lo
; %bb.3727:                             ;   in Loop: Header=BB4_3084 Depth=2
	s_or_b32 exec_lo, exec_lo, s42
.LBB4_3728:                             ;   in Loop: Header=BB4_3084 Depth=2
	s_delay_alu instid0(SALU_CYCLE_1)
	s_or_b32 exec_lo, exec_lo, s10
.LBB4_3729:                             ;   in Loop: Header=BB4_3084 Depth=2
	s_delay_alu instid0(SALU_CYCLE_1) | instskip(NEXT) | instid1(SALU_CYCLE_1)
	s_or_b32 exec_lo, exec_lo, s15
	s_mov_b32 s10, exec_lo
	s_wait_loadcnt_dscnt 0x606
	v_cmpx_ne_u16_e32 0, v40
	s_cbranch_execz .LBB4_3739
; %bb.3730:                             ;   in Loop: Header=BB4_3084 Depth=2
	v_bfrev_b32_e32 v21, 1
	s_mov_b32 s15, exec_lo
	v_cmpx_ne_u16_e32 0xff80, v40
	s_cbranch_execz .LBB4_3738
; %bb.3731:                             ;   in Loop: Header=BB4_3084 Depth=2
	v_and_b32_e32 v21, 0x7c, v40
	v_and_b32_e32 v17, 3, v40
	s_delay_alu instid0(VALU_DEP_2) | instskip(SKIP_1) | instid1(SALU_CYCLE_1)
	v_cmp_ne_u32_e32 vcc_lo, 0x7c, v21
                                        ; implicit-def: $vgpr21
	s_and_saveexec_b32 s42, vcc_lo
	s_xor_b32 s42, exec_lo, s42
	s_cbranch_execz .LBB4_3735
; %bb.3732:                             ;   in Loop: Header=BB4_3084 Depth=2
	v_and_b32_e32 v21, 0xff, v40
	s_mov_b32 s43, exec_lo
	s_delay_alu instid0(VALU_DEP_1) | instskip(NEXT) | instid1(VALU_DEP_1)
	v_bfe_u32 v21, v21, 2, 5
	v_cmpx_eq_u32_e32 0, v21
; %bb.3733:                             ;   in Loop: Header=BB4_3084 Depth=2
	v_clz_i32_u32_e32 v17, v17
	s_delay_alu instid0(VALU_DEP_1) | instskip(SKIP_1) | instid1(VALU_DEP_2)
	v_min_u32_e32 v17, 32, v17
	v_mov_b32_e32 v41, v55
	v_subrev_nc_u32_e32 v21, 29, v17
	s_delay_alu instid0(VALU_DEP_1) | instskip(NEXT) | instid1(VALU_DEP_1)
	v_lshlrev_b64_e32 v[82:83], v21, v[40:41]
	v_dual_sub_nc_u32 v21, 30, v17 :: v_dual_bitop2_b32 v17, 3, v82 bitop3:0x40
; %bb.3734:                             ;   in Loop: Header=BB4_3084 Depth=2
	s_or_b32 exec_lo, exec_lo, s43
	v_bfe_i32 v23, v40, 0, 16
                                        ; implicit-def: $vgpr40
	s_delay_alu instid0(VALU_DEP_1) | instskip(NEXT) | instid1(VALU_DEP_1)
	v_and_b32_e32 v23, 0x80000000, v23
	v_lshl_add_u32 v21, v21, 23, v23
	s_delay_alu instid0(VALU_DEP_1) | instskip(NEXT) | instid1(VALU_DEP_1)
	v_lshl_or_b32 v17, v17, 21, v21
	v_add_nc_u32_e32 v21, 0x38000000, v17
                                        ; implicit-def: $vgpr17
.LBB4_3735:                             ;   in Loop: Header=BB4_3084 Depth=2
	s_and_not1_saveexec_b32 s42, s42
; %bb.3736:                             ;   in Loop: Header=BB4_3084 Depth=2
	v_cmp_lt_i16_e32 vcc_lo, -1, v40
	v_cndmask_b32_e32 v21, 0xff800000, v126, vcc_lo
	v_cmp_eq_u32_e32 vcc_lo, 0, v17
	s_delay_alu instid0(VALU_DEP_2)
	v_cndmask_b32_e32 v21, 0x7f800001, v21, vcc_lo
; %bb.3737:                             ;   in Loop: Header=BB4_3084 Depth=2
	s_or_b32 exec_lo, exec_lo, s42
.LBB4_3738:                             ;   in Loop: Header=BB4_3084 Depth=2
	s_delay_alu instid0(SALU_CYCLE_1)
	s_or_b32 exec_lo, exec_lo, s15
.LBB4_3739:                             ;   in Loop: Header=BB4_3084 Depth=2
	s_delay_alu instid0(SALU_CYCLE_1) | instskip(NEXT) | instid1(VALU_DEP_1)
	s_or_b32 exec_lo, exec_lo, s10
	v_dual_max_num_f32 v17, v21, v21 :: v_dual_max_num_f32 v19, v19, v19
	s_delay_alu instid0(VALU_DEP_1)
	v_min_num_f32_e32 v19, v19, v17
.LBB4_3740:                             ;   in Loop: Header=BB4_3084 Depth=2
	s_delay_alu instid0(VALU_DEP_1) | instskip(SKIP_3) | instid1(VALU_DEP_2)
	v_and_b32_e32 v82, 0x7f800000, v19
	v_mov_b32_e32 v83, v55
	v_and_b32_e32 v54, 0x7fffff, v19
                                        ; implicit-def: $vgpr41
	s_mov_b32 s10, exec_lo
	v_cmpx_ne_u64_e32 0x7f800000, v[82:83]
	s_xor_b32 s15, exec_lo, s10
	s_cbranch_execz .LBB4_3758
; %bb.3741:                             ;   in Loop: Header=BB4_3084 Depth=2
	v_dual_mov_b32 v83, v55 :: v_dual_lshrrev_b32 v17, 24, v19
	v_and_b32_e32 v82, 0x7fffffff, v19
                                        ; implicit-def: $vgpr41
	s_mov_b32 s10, exec_lo
	s_delay_alu instid0(VALU_DEP_2) | instskip(NEXT) | instid1(VALU_DEP_2)
	v_and_b32_e32 v17, 0x80, v17
	v_cmpx_gt_u64_e32 0x47600001, v[82:83]
	s_xor_b32 s42, exec_lo, s10
	s_cbranch_execz .LBB4_3755
; %bb.3742:                             ;   in Loop: Header=BB4_3084 Depth=2
	v_mov_b32_e32 v41, 0
	s_mov_b32 s43, exec_lo
	v_cmpx_ne_u32_e32 0, v19
	s_cbranch_execz .LBB4_3754
; %bb.3743:                             ;   in Loop: Header=BB4_3084 Depth=2
	v_bfe_u32 v19, v19, 23, 8
	v_or_b32_e32 v25, 0x800000, v54
	s_delay_alu instid0(VALU_DEP_2) | instskip(SKIP_1) | instid1(VALU_DEP_2)
	v_sub_nc_u32_e32 v21, 0x71, v19
	v_cmp_gt_u32_e32 vcc_lo, 0x72, v19
	v_cndmask_b32_e32 v21, 0, v21, vcc_lo
	v_cmp_eq_u32_e32 vcc_lo, 0, v19
	s_delay_alu instid0(VALU_DEP_2) | instskip(NEXT) | instid1(VALU_DEP_1)
	v_cndmask_b32_e64 v21, v21, 0x70, vcc_lo
	v_dual_cndmask_b32 v54, v25, v54 :: v_dual_add_nc_u32 v23, 21, v21
	s_wait_loadcnt_dscnt 0x606
	s_delay_alu instid0(VALU_DEP_1) | instskip(NEXT) | instid1(VALU_DEP_2)
	v_lshrrev_b64 v[40:41], v21, v[54:55]
	v_lshlrev_b64_e64 v[82:83], v23, -1
	v_add_nc_u32_e32 v23, 20, v21
	s_delay_alu instid0(VALU_DEP_1) | instskip(NEXT) | instid1(VALU_DEP_3)
	v_lshlrev_b64_e64 v[42:43], v23, 1
	v_bfi_b32 v83, v83, 0, 0
	s_delay_alu instid0(VALU_DEP_4) | instskip(NEXT) | instid1(VALU_DEP_1)
	v_bfi_b32 v82, v82, 0, v54
	v_cmp_eq_u64_e64 s10, v[82:83], v[42:43]
	v_mov_b64_e32 v[42:43], v[40:41]
	s_and_saveexec_b32 s44, s10
; %bb.3744:                             ;   in Loop: Header=BB4_3084 Depth=2
	v_bfe_u32 v54, v40, 21, 1
	s_delay_alu instid0(VALU_DEP_1) | instskip(NEXT) | instid1(VALU_DEP_1)
	v_add_nc_u64_e32 v[82:83], v[40:41], v[54:55]
	v_add_nc_u64_e32 v[42:43], -1, v[82:83]
; %bb.3745:                             ;   in Loop: Header=BB4_3084 Depth=2
	s_or_b32 exec_lo, exec_lo, s44
	v_add_nc_u32_e32 v19, 0xffffff81, v19
	v_lshrrev_b32_e32 v23, 23, v40
	s_mov_b32 s10, exec_lo
	s_delay_alu instid0(VALU_DEP_2) | instskip(NEXT) | instid1(VALU_DEP_1)
	v_cndmask_b32_e64 v19, v19, 0xffffff82, vcc_lo
	v_add3_u32 v21, v21, v19, v23
	v_and_b32_e32 v19, 0x1fffff, v42
	s_delay_alu instid0(VALU_DEP_1) | instskip(NEXT) | instid1(VALU_DEP_1)
	v_dual_add_nc_u32 v23, 14, v21 :: v_dual_add_nc_u32 v54, v19, v40
                                        ; implicit-def: $vgpr40_vgpr41
                                        ; implicit-def: $vgpr19
	v_cmpx_ne_u32_e32 0, v23
	s_xor_b32 s10, exec_lo, s10
; %bb.3746:                             ;   in Loop: Header=BB4_3084 Depth=2
	s_delay_alu instid0(VALU_DEP_2) | instskip(SKIP_2) | instid1(VALU_DEP_2)
	v_cmp_lt_u64_e32 vcc_lo, 0xffffff, v[54:55]
	v_add_nc_u32_e32 v19, 15, v21
	v_cndmask_b32_e64 v21, 0, 1, vcc_lo
	v_cndmask_b32_e32 v19, v23, v19, vcc_lo
	s_delay_alu instid0(VALU_DEP_2)
	v_lshrrev_b64 v[40:41], v21, v[54:55]
; %bb.3747:                             ;   in Loop: Header=BB4_3084 Depth=2
	s_and_not1_saveexec_b32 s10, s10
; %bb.3748:                             ;   in Loop: Header=BB4_3084 Depth=2
	v_mov_b64_e32 v[40:41], v[54:55]
	v_bfe_u32 v19, v54, 23, 1
; %bb.3749:                             ;   in Loop: Header=BB4_3084 Depth=2
	s_or_b32 exec_lo, exec_lo, s10
	s_delay_alu instid0(VALU_DEP_2) | instskip(NEXT) | instid1(VALU_DEP_2)
	v_lshrrev_b64 v[82:83], 21, v[40:41]
	v_cmp_gt_i32_e32 vcc_lo, 32, v19
	v_cmp_ne_u32_e64 s10, 0, v19
	s_delay_alu instid0(VALU_DEP_3) | instskip(NEXT) | instid1(VALU_DEP_1)
	v_dual_cndmask_b32 v41, 0, v83 :: v_dual_cndmask_b32 v40, 3, v82
	v_cmp_ne_u64_e32 vcc_lo, 0, v[40:41]
                                        ; implicit-def: $vgpr41
	s_or_b32 s10, s10, vcc_lo
	s_delay_alu instid0(SALU_CYCLE_1) | instskip(NEXT) | instid1(SALU_CYCLE_1)
	s_and_saveexec_b32 s44, s10
	s_xor_b32 s10, exec_lo, s44
; %bb.3750:                             ;   in Loop: Header=BB4_3084 Depth=2
	v_min_i32_e32 v19, 31, v19
	s_delay_alu instid0(VALU_DEP_1) | instskip(NEXT) | instid1(VALU_DEP_1)
	v_lshl_or_b32 v17, v19, 2, v17
	v_and_or_b32 v41, v40, 3, v17
                                        ; implicit-def: $vgpr17
; %bb.3751:                             ;   in Loop: Header=BB4_3084 Depth=2
	s_and_not1_saveexec_b32 s10, s10
; %bb.3752:                             ;   in Loop: Header=BB4_3084 Depth=2
	v_mov_b32_e32 v41, v17
; %bb.3753:                             ;   in Loop: Header=BB4_3084 Depth=2
	s_or_b32 exec_lo, exec_lo, s10
.LBB4_3754:                             ;   in Loop: Header=BB4_3084 Depth=2
	s_delay_alu instid0(SALU_CYCLE_1)
	s_or_b32 exec_lo, exec_lo, s43
                                        ; implicit-def: $vgpr17
.LBB4_3755:                             ;   in Loop: Header=BB4_3084 Depth=2
	s_and_not1_saveexec_b32 s10, s42
; %bb.3756:                             ;   in Loop: Header=BB4_3084 Depth=2
	v_or_b32_e32 v41, 0x7b, v17
; %bb.3757:                             ;   in Loop: Header=BB4_3084 Depth=2
	s_or_b32 exec_lo, exec_lo, s10
                                        ; implicit-def: $vgpr19
.LBB4_3758:                             ;   in Loop: Header=BB4_3084 Depth=2
	s_and_not1_saveexec_b32 s10, s15
	s_cbranch_execz .LBB4_3764
; %bb.3759:                             ;   in Loop: Header=BB4_3084 Depth=2
	s_mov_b32 s15, exec_lo
                                        ; implicit-def: $vgpr41
	v_cmpx_ne_u64_e32 0, v[54:55]
	s_xor_b32 s15, exec_lo, s15
; %bb.3760:                             ;   in Loop: Header=BB4_3084 Depth=2
	v_lshrrev_b32_e32 v17, 24, v19
                                        ; implicit-def: $vgpr19
	s_delay_alu instid0(VALU_DEP_1)
	v_or_b32_e32 v41, 0x7f, v17
; %bb.3761:                             ;   in Loop: Header=BB4_3084 Depth=2
	s_and_not1_saveexec_b32 s15, s15
; %bb.3762:                             ;   in Loop: Header=BB4_3084 Depth=2
	v_cmp_lt_i32_e32 vcc_lo, -1, v19
	v_cndmask_b32_e64 v41, -4, 0x7c, vcc_lo
; %bb.3763:                             ;   in Loop: Header=BB4_3084 Depth=2
	s_or_b32 exec_lo, exec_lo, s15
.LBB4_3764:                             ;   in Loop: Header=BB4_3084 Depth=2
	s_delay_alu instid0(SALU_CYCLE_1)
	s_or_b32 exec_lo, exec_lo, s10
	v_and_b32_e32 v17, 0xff, v118
	v_cmp_ne_u16_e64 s10, 0, v118
	s_and_not1_b32 vcc_lo, exec_lo, s14
	s_mov_b32 s15, -1
                                        ; implicit-def: $vgpr19
	s_cbranch_vccnz .LBB4_3786
; %bb.3765:                             ;   in Loop: Header=BB4_3084 Depth=2
	v_dual_mov_b32 v21, 0 :: v_dual_mov_b32 v19, 0
	s_and_saveexec_b32 s15, s10
	s_cbranch_execz .LBB4_3775
; %bb.3766:                             ;   in Loop: Header=BB4_3084 Depth=2
	v_bfrev_b32_e32 v19, 1
	s_mov_b32 s42, exec_lo
	v_cmpx_ne_u16_e32 0xff80, v118
	s_cbranch_execz .LBB4_3774
; %bb.3767:                             ;   in Loop: Header=BB4_3084 Depth=2
	v_and_b32_e32 v19, 0x7c, v17
	v_and_b32_e32 v23, 3, v17
	s_delay_alu instid0(VALU_DEP_2) | instskip(SKIP_1) | instid1(SALU_CYCLE_1)
	v_cmp_ne_u32_e32 vcc_lo, 0x7c, v19
                                        ; implicit-def: $vgpr19
	s_and_saveexec_b32 s43, vcc_lo
	s_xor_b32 s43, exec_lo, s43
	s_cbranch_execz .LBB4_3771
; %bb.3768:                             ;   in Loop: Header=BB4_3084 Depth=2
	v_bfe_u32 v19, v17, 2, 5
	s_mov_b32 s44, exec_lo
	s_delay_alu instid0(VALU_DEP_1)
	v_cmpx_eq_u32_e32 0, v19
	s_cbranch_execz .LBB4_3770
; %bb.3769:                             ;   in Loop: Header=BB4_3084 Depth=2
	v_clz_i32_u32_e32 v19, v23
	s_delay_alu instid0(VALU_DEP_1) | instskip(SKIP_1) | instid1(VALU_DEP_2)
	v_min_u32_e32 v19, 32, v19
	v_mov_b32_e32 v119, v55
	v_subrev_nc_u32_e32 v23, 29, v19
	v_sub_nc_u32_e32 v19, 30, v19
	s_delay_alu instid0(VALU_DEP_2) | instskip(NEXT) | instid1(VALU_DEP_1)
	v_lshlrev_b64_e32 v[82:83], v23, v[118:119]
	v_and_b32_e32 v23, 3, v82
.LBB4_3770:                             ;   in Loop: Header=BB4_3084 Depth=2
	s_or_b32 exec_lo, exec_lo, s44
	v_bfe_i32 v25, v118, 0, 16
	s_delay_alu instid0(VALU_DEP_1) | instskip(NEXT) | instid1(VALU_DEP_1)
	v_and_b32_e32 v25, 0x80000000, v25
	v_lshl_add_u32 v19, v19, 23, v25
	s_delay_alu instid0(VALU_DEP_1) | instskip(NEXT) | instid1(VALU_DEP_1)
	v_lshl_or_b32 v19, v23, 21, v19
                                        ; implicit-def: $vgpr23
	v_add_nc_u32_e32 v19, 0x38000000, v19
.LBB4_3771:                             ;   in Loop: Header=BB4_3084 Depth=2
	s_and_not1_saveexec_b32 s43, s43
; %bb.3772:                             ;   in Loop: Header=BB4_3084 Depth=2
	v_cmp_lt_i16_e32 vcc_lo, -1, v118
	v_cndmask_b32_e32 v19, 0xff800000, v126, vcc_lo
	v_cmp_eq_u32_e32 vcc_lo, 0, v23
	s_delay_alu instid0(VALU_DEP_2)
	v_cndmask_b32_e32 v19, 0x7f800001, v19, vcc_lo
; %bb.3773:                             ;   in Loop: Header=BB4_3084 Depth=2
	s_or_b32 exec_lo, exec_lo, s43
.LBB4_3774:                             ;   in Loop: Header=BB4_3084 Depth=2
	s_delay_alu instid0(SALU_CYCLE_1)
	s_or_b32 exec_lo, exec_lo, s42
.LBB4_3775:                             ;   in Loop: Header=BB4_3084 Depth=2
	s_delay_alu instid0(SALU_CYCLE_1) | instskip(NEXT) | instid1(SALU_CYCLE_1)
	s_or_b32 exec_lo, exec_lo, s15
	s_mov_b32 s15, exec_lo
	s_wait_loadcnt_dscnt 0x505
	v_cmpx_ne_u16_e32 0, v116
	s_cbranch_execz .LBB4_3785
; %bb.3776:                             ;   in Loop: Header=BB4_3084 Depth=2
	v_bfrev_b32_e32 v21, 1
	s_mov_b32 s42, exec_lo
	v_cmpx_ne_u16_e32 0xff80, v116
	s_cbranch_execz .LBB4_3784
; %bb.3777:                             ;   in Loop: Header=BB4_3084 Depth=2
	v_and_b32_e32 v21, 0x7c, v116
	v_and_b32_e32 v23, 3, v116
	s_delay_alu instid0(VALU_DEP_2) | instskip(SKIP_1) | instid1(SALU_CYCLE_1)
	v_cmp_ne_u32_e32 vcc_lo, 0x7c, v21
                                        ; implicit-def: $vgpr21
	s_and_saveexec_b32 s43, vcc_lo
	s_xor_b32 s43, exec_lo, s43
	s_cbranch_execz .LBB4_3781
; %bb.3778:                             ;   in Loop: Header=BB4_3084 Depth=2
	v_and_b32_e32 v21, 0xff, v116
	s_mov_b32 s44, exec_lo
	s_delay_alu instid0(VALU_DEP_1) | instskip(NEXT) | instid1(VALU_DEP_1)
	v_bfe_u32 v21, v21, 2, 5
	v_cmpx_eq_u32_e32 0, v21
	s_cbranch_execz .LBB4_3780
; %bb.3779:                             ;   in Loop: Header=BB4_3084 Depth=2
	v_clz_i32_u32_e32 v21, v23
	s_delay_alu instid0(VALU_DEP_1) | instskip(SKIP_1) | instid1(VALU_DEP_2)
	v_min_u32_e32 v21, 32, v21
	v_mov_b32_e32 v117, v55
	v_subrev_nc_u32_e32 v23, 29, v21
	v_sub_nc_u32_e32 v21, 30, v21
	s_delay_alu instid0(VALU_DEP_2) | instskip(NEXT) | instid1(VALU_DEP_1)
	v_lshlrev_b64_e32 v[82:83], v23, v[116:117]
	v_and_b32_e32 v23, 3, v82
.LBB4_3780:                             ;   in Loop: Header=BB4_3084 Depth=2
	s_or_b32 exec_lo, exec_lo, s44
	v_bfe_i32 v25, v116, 0, 16
	s_delay_alu instid0(VALU_DEP_1) | instskip(NEXT) | instid1(VALU_DEP_1)
	v_and_b32_e32 v25, 0x80000000, v25
	v_lshl_add_u32 v21, v21, 23, v25
	s_delay_alu instid0(VALU_DEP_1) | instskip(NEXT) | instid1(VALU_DEP_1)
	v_lshl_or_b32 v21, v23, 21, v21
                                        ; implicit-def: $vgpr23
	v_add_nc_u32_e32 v21, 0x38000000, v21
.LBB4_3781:                             ;   in Loop: Header=BB4_3084 Depth=2
	s_and_not1_saveexec_b32 s43, s43
; %bb.3782:                             ;   in Loop: Header=BB4_3084 Depth=2
	v_cmp_lt_i16_e32 vcc_lo, -1, v116
	v_cndmask_b32_e32 v21, 0xff800000, v126, vcc_lo
	v_cmp_eq_u32_e32 vcc_lo, 0, v23
	s_delay_alu instid0(VALU_DEP_2)
	v_cndmask_b32_e32 v21, 0x7f800001, v21, vcc_lo
; %bb.3783:                             ;   in Loop: Header=BB4_3084 Depth=2
	s_or_b32 exec_lo, exec_lo, s43
.LBB4_3784:                             ;   in Loop: Header=BB4_3084 Depth=2
	s_delay_alu instid0(SALU_CYCLE_1)
	s_or_b32 exec_lo, exec_lo, s42
.LBB4_3785:                             ;   in Loop: Header=BB4_3084 Depth=2
	s_delay_alu instid0(SALU_CYCLE_1) | instskip(NEXT) | instid1(VALU_DEP_1)
	s_or_b32 exec_lo, exec_lo, s15
	v_dual_max_num_f32 v21, v21, v21 :: v_dual_max_num_f32 v19, v19, v19
	s_mov_b32 s15, 0
	s_delay_alu instid0(VALU_DEP_1)
	v_max_num_f32_e32 v19, v19, v21
.LBB4_3786:                             ;   in Loop: Header=BB4_3084 Depth=2
	s_and_b32 vcc_lo, exec_lo, s15
	s_cbranch_vccz .LBB4_3808
; %bb.3787:                             ;   in Loop: Header=BB4_3084 Depth=2
	v_dual_mov_b32 v21, 0 :: v_dual_mov_b32 v19, 0
	s_and_saveexec_b32 s15, s10
	s_cbranch_execz .LBB4_3797
; %bb.3788:                             ;   in Loop: Header=BB4_3084 Depth=2
	v_bfrev_b32_e32 v19, 1
	s_mov_b32 s10, exec_lo
	v_cmpx_ne_u16_e32 0xff80, v118
	s_cbranch_execz .LBB4_3796
; %bb.3789:                             ;   in Loop: Header=BB4_3084 Depth=2
	v_and_b32_e32 v19, 0x7c, v17
	v_and_b32_e32 v23, 3, v17
	s_delay_alu instid0(VALU_DEP_2) | instskip(SKIP_1) | instid1(SALU_CYCLE_1)
	v_cmp_ne_u32_e32 vcc_lo, 0x7c, v19
                                        ; implicit-def: $vgpr19
	s_and_saveexec_b32 s42, vcc_lo
	s_xor_b32 s42, exec_lo, s42
	s_cbranch_execz .LBB4_3793
; %bb.3790:                             ;   in Loop: Header=BB4_3084 Depth=2
	v_bfe_u32 v17, v17, 2, 5
	s_mov_b32 s43, exec_lo
	s_delay_alu instid0(VALU_DEP_1)
	v_cmpx_eq_u32_e32 0, v17
	s_cbranch_execz .LBB4_3792
; %bb.3791:                             ;   in Loop: Header=BB4_3084 Depth=2
	v_clz_i32_u32_e32 v17, v23
	s_delay_alu instid0(VALU_DEP_1) | instskip(SKIP_1) | instid1(VALU_DEP_2)
	v_min_u32_e32 v17, 32, v17
	v_mov_b32_e32 v119, v55
	v_subrev_nc_u32_e32 v19, 29, v17
	v_sub_nc_u32_e32 v17, 30, v17
	s_delay_alu instid0(VALU_DEP_2) | instskip(NEXT) | instid1(VALU_DEP_1)
	v_lshlrev_b64_e32 v[82:83], v19, v[118:119]
	v_and_b32_e32 v23, 3, v82
.LBB4_3792:                             ;   in Loop: Header=BB4_3084 Depth=2
	s_or_b32 exec_lo, exec_lo, s43
	v_bfe_i32 v19, v118, 0, 16
                                        ; implicit-def: $vgpr118
	s_delay_alu instid0(VALU_DEP_1) | instskip(NEXT) | instid1(VALU_DEP_1)
	v_and_b32_e32 v19, 0x80000000, v19
	v_lshl_add_u32 v17, v17, 23, v19
	s_delay_alu instid0(VALU_DEP_1) | instskip(NEXT) | instid1(VALU_DEP_1)
	v_lshl_or_b32 v17, v23, 21, v17
                                        ; implicit-def: $vgpr23
	v_add_nc_u32_e32 v19, 0x38000000, v17
.LBB4_3793:                             ;   in Loop: Header=BB4_3084 Depth=2
	s_and_not1_saveexec_b32 s42, s42
; %bb.3794:                             ;   in Loop: Header=BB4_3084 Depth=2
	v_cmp_lt_i16_e32 vcc_lo, -1, v118
	v_cndmask_b32_e32 v17, 0xff800000, v126, vcc_lo
	v_cmp_eq_u32_e32 vcc_lo, 0, v23
	s_delay_alu instid0(VALU_DEP_2)
	v_cndmask_b32_e32 v19, 0x7f800001, v17, vcc_lo
; %bb.3795:                             ;   in Loop: Header=BB4_3084 Depth=2
	s_or_b32 exec_lo, exec_lo, s42
.LBB4_3796:                             ;   in Loop: Header=BB4_3084 Depth=2
	s_delay_alu instid0(SALU_CYCLE_1)
	s_or_b32 exec_lo, exec_lo, s10
.LBB4_3797:                             ;   in Loop: Header=BB4_3084 Depth=2
	s_delay_alu instid0(SALU_CYCLE_1) | instskip(NEXT) | instid1(SALU_CYCLE_1)
	s_or_b32 exec_lo, exec_lo, s15
	s_mov_b32 s10, exec_lo
	s_wait_loadcnt_dscnt 0x505
	v_cmpx_ne_u16_e32 0, v116
	s_cbranch_execz .LBB4_3807
; %bb.3798:                             ;   in Loop: Header=BB4_3084 Depth=2
	v_bfrev_b32_e32 v21, 1
	s_mov_b32 s15, exec_lo
	v_cmpx_ne_u16_e32 0xff80, v116
	s_cbranch_execz .LBB4_3806
; %bb.3799:                             ;   in Loop: Header=BB4_3084 Depth=2
	v_and_b32_e32 v21, 0x7c, v116
	v_and_b32_e32 v17, 3, v116
	s_delay_alu instid0(VALU_DEP_2) | instskip(SKIP_1) | instid1(SALU_CYCLE_1)
	v_cmp_ne_u32_e32 vcc_lo, 0x7c, v21
                                        ; implicit-def: $vgpr21
	s_and_saveexec_b32 s42, vcc_lo
	s_xor_b32 s42, exec_lo, s42
	s_cbranch_execz .LBB4_3803
; %bb.3800:                             ;   in Loop: Header=BB4_3084 Depth=2
	v_and_b32_e32 v21, 0xff, v116
	s_mov_b32 s43, exec_lo
	s_delay_alu instid0(VALU_DEP_1) | instskip(NEXT) | instid1(VALU_DEP_1)
	v_bfe_u32 v21, v21, 2, 5
	v_cmpx_eq_u32_e32 0, v21
; %bb.3801:                             ;   in Loop: Header=BB4_3084 Depth=2
	v_clz_i32_u32_e32 v17, v17
	s_delay_alu instid0(VALU_DEP_1) | instskip(SKIP_1) | instid1(VALU_DEP_2)
	v_min_u32_e32 v17, 32, v17
	v_mov_b32_e32 v117, v55
	v_subrev_nc_u32_e32 v21, 29, v17
	s_delay_alu instid0(VALU_DEP_1) | instskip(NEXT) | instid1(VALU_DEP_1)
	v_lshlrev_b64_e32 v[82:83], v21, v[116:117]
	v_dual_sub_nc_u32 v21, 30, v17 :: v_dual_bitop2_b32 v17, 3, v82 bitop3:0x40
; %bb.3802:                             ;   in Loop: Header=BB4_3084 Depth=2
	s_or_b32 exec_lo, exec_lo, s43
	v_bfe_i32 v23, v116, 0, 16
                                        ; implicit-def: $vgpr116
	s_delay_alu instid0(VALU_DEP_1) | instskip(NEXT) | instid1(VALU_DEP_1)
	v_and_b32_e32 v23, 0x80000000, v23
	v_lshl_add_u32 v21, v21, 23, v23
	s_delay_alu instid0(VALU_DEP_1) | instskip(NEXT) | instid1(VALU_DEP_1)
	v_lshl_or_b32 v17, v17, 21, v21
	v_add_nc_u32_e32 v21, 0x38000000, v17
                                        ; implicit-def: $vgpr17
.LBB4_3803:                             ;   in Loop: Header=BB4_3084 Depth=2
	s_and_not1_saveexec_b32 s42, s42
; %bb.3804:                             ;   in Loop: Header=BB4_3084 Depth=2
	v_cmp_lt_i16_e32 vcc_lo, -1, v116
	v_cndmask_b32_e32 v21, 0xff800000, v126, vcc_lo
	v_cmp_eq_u32_e32 vcc_lo, 0, v17
	s_delay_alu instid0(VALU_DEP_2)
	v_cndmask_b32_e32 v21, 0x7f800001, v21, vcc_lo
; %bb.3805:                             ;   in Loop: Header=BB4_3084 Depth=2
	s_or_b32 exec_lo, exec_lo, s42
.LBB4_3806:                             ;   in Loop: Header=BB4_3084 Depth=2
	s_delay_alu instid0(SALU_CYCLE_1)
	s_or_b32 exec_lo, exec_lo, s15
.LBB4_3807:                             ;   in Loop: Header=BB4_3084 Depth=2
	s_delay_alu instid0(SALU_CYCLE_1) | instskip(NEXT) | instid1(VALU_DEP_1)
	s_or_b32 exec_lo, exec_lo, s10
	v_dual_max_num_f32 v17, v21, v21 :: v_dual_max_num_f32 v19, v19, v19
	s_delay_alu instid0(VALU_DEP_1)
	v_min_num_f32_e32 v19, v19, v17
.LBB4_3808:                             ;   in Loop: Header=BB4_3084 Depth=2
	s_delay_alu instid0(VALU_DEP_1) | instskip(SKIP_3) | instid1(VALU_DEP_2)
	v_and_b32_e32 v82, 0x7f800000, v19
	v_mov_b32_e32 v83, v55
	v_and_b32_e32 v54, 0x7fffff, v19
                                        ; implicit-def: $vgpr117
	s_mov_b32 s10, exec_lo
	v_cmpx_ne_u64_e32 0x7f800000, v[82:83]
	s_xor_b32 s15, exec_lo, s10
	s_cbranch_execz .LBB4_3826
; %bb.3809:                             ;   in Loop: Header=BB4_3084 Depth=2
	v_dual_mov_b32 v83, v55 :: v_dual_lshrrev_b32 v17, 24, v19
	v_and_b32_e32 v82, 0x7fffffff, v19
                                        ; implicit-def: $vgpr117
	s_mov_b32 s10, exec_lo
	s_delay_alu instid0(VALU_DEP_2) | instskip(NEXT) | instid1(VALU_DEP_2)
	v_and_b32_e32 v17, 0x80, v17
	v_cmpx_gt_u64_e32 0x47600001, v[82:83]
	s_xor_b32 s42, exec_lo, s10
	s_cbranch_execz .LBB4_3823
; %bb.3810:                             ;   in Loop: Header=BB4_3084 Depth=2
	v_mov_b32_e32 v117, 0
	s_mov_b32 s43, exec_lo
	v_cmpx_ne_u32_e32 0, v19
	s_cbranch_execz .LBB4_3822
; %bb.3811:                             ;   in Loop: Header=BB4_3084 Depth=2
	v_bfe_u32 v19, v19, 23, 8
	v_or_b32_e32 v25, 0x800000, v54
	s_delay_alu instid0(VALU_DEP_2) | instskip(SKIP_1) | instid1(VALU_DEP_2)
	v_sub_nc_u32_e32 v21, 0x71, v19
	v_cmp_gt_u32_e32 vcc_lo, 0x72, v19
	v_cndmask_b32_e32 v21, 0, v21, vcc_lo
	v_cmp_eq_u32_e32 vcc_lo, 0, v19
	s_delay_alu instid0(VALU_DEP_2) | instskip(NEXT) | instid1(VALU_DEP_1)
	v_cndmask_b32_e64 v21, v21, 0x70, vcc_lo
	v_dual_cndmask_b32 v54, v25, v54 :: v_dual_add_nc_u32 v23, 21, v21
	s_wait_loadcnt_dscnt 0x505
	s_delay_alu instid0(VALU_DEP_1) | instskip(NEXT) | instid1(VALU_DEP_2)
	v_lshrrev_b64 v[116:117], v21, v[54:55]
	v_lshlrev_b64_e64 v[82:83], v23, -1
	v_add_nc_u32_e32 v23, 20, v21
	s_delay_alu instid0(VALU_DEP_1) | instskip(NEXT) | instid1(VALU_DEP_3)
	v_lshlrev_b64_e64 v[118:119], v23, 1
	v_bfi_b32 v83, v83, 0, 0
	s_delay_alu instid0(VALU_DEP_4) | instskip(NEXT) | instid1(VALU_DEP_1)
	v_bfi_b32 v82, v82, 0, v54
	v_cmp_eq_u64_e64 s10, v[82:83], v[118:119]
	v_mov_b64_e32 v[118:119], v[116:117]
	s_and_saveexec_b32 s44, s10
; %bb.3812:                             ;   in Loop: Header=BB4_3084 Depth=2
	v_bfe_u32 v54, v116, 21, 1
	s_delay_alu instid0(VALU_DEP_1) | instskip(NEXT) | instid1(VALU_DEP_1)
	v_add_nc_u64_e32 v[82:83], v[116:117], v[54:55]
	v_add_nc_u64_e32 v[118:119], -1, v[82:83]
; %bb.3813:                             ;   in Loop: Header=BB4_3084 Depth=2
	s_or_b32 exec_lo, exec_lo, s44
	v_add_nc_u32_e32 v19, 0xffffff81, v19
	v_lshrrev_b32_e32 v23, 23, v116
	s_mov_b32 s10, exec_lo
	s_delay_alu instid0(VALU_DEP_2) | instskip(NEXT) | instid1(VALU_DEP_1)
	v_cndmask_b32_e64 v19, v19, 0xffffff82, vcc_lo
	v_add3_u32 v21, v21, v19, v23
	v_and_b32_e32 v19, 0x1fffff, v118
	s_delay_alu instid0(VALU_DEP_1) | instskip(NEXT) | instid1(VALU_DEP_1)
	v_dual_add_nc_u32 v23, 14, v21 :: v_dual_add_nc_u32 v54, v19, v116
                                        ; implicit-def: $vgpr116_vgpr117
                                        ; implicit-def: $vgpr19
	v_cmpx_ne_u32_e32 0, v23
	s_xor_b32 s10, exec_lo, s10
; %bb.3814:                             ;   in Loop: Header=BB4_3084 Depth=2
	s_delay_alu instid0(VALU_DEP_2) | instskip(SKIP_2) | instid1(VALU_DEP_2)
	v_cmp_lt_u64_e32 vcc_lo, 0xffffff, v[54:55]
	v_add_nc_u32_e32 v19, 15, v21
	v_cndmask_b32_e64 v21, 0, 1, vcc_lo
	v_cndmask_b32_e32 v19, v23, v19, vcc_lo
	s_delay_alu instid0(VALU_DEP_2)
	v_lshrrev_b64 v[116:117], v21, v[54:55]
; %bb.3815:                             ;   in Loop: Header=BB4_3084 Depth=2
	s_and_not1_saveexec_b32 s10, s10
; %bb.3816:                             ;   in Loop: Header=BB4_3084 Depth=2
	v_mov_b64_e32 v[116:117], v[54:55]
	v_bfe_u32 v19, v54, 23, 1
; %bb.3817:                             ;   in Loop: Header=BB4_3084 Depth=2
	s_or_b32 exec_lo, exec_lo, s10
	s_delay_alu instid0(VALU_DEP_2) | instskip(NEXT) | instid1(VALU_DEP_2)
	v_lshrrev_b64 v[82:83], 21, v[116:117]
	v_cmp_gt_i32_e32 vcc_lo, 32, v19
	v_cmp_ne_u32_e64 s10, 0, v19
	s_delay_alu instid0(VALU_DEP_3) | instskip(NEXT) | instid1(VALU_DEP_1)
	v_dual_cndmask_b32 v117, 0, v83 :: v_dual_cndmask_b32 v116, 3, v82
	v_cmp_ne_u64_e32 vcc_lo, 0, v[116:117]
                                        ; implicit-def: $vgpr117
	s_or_b32 s10, s10, vcc_lo
	s_delay_alu instid0(SALU_CYCLE_1) | instskip(NEXT) | instid1(SALU_CYCLE_1)
	s_and_saveexec_b32 s44, s10
	s_xor_b32 s10, exec_lo, s44
; %bb.3818:                             ;   in Loop: Header=BB4_3084 Depth=2
	v_min_i32_e32 v19, 31, v19
	s_delay_alu instid0(VALU_DEP_1) | instskip(NEXT) | instid1(VALU_DEP_1)
	v_lshl_or_b32 v17, v19, 2, v17
	v_and_or_b32 v117, v116, 3, v17
                                        ; implicit-def: $vgpr17
; %bb.3819:                             ;   in Loop: Header=BB4_3084 Depth=2
	s_and_not1_saveexec_b32 s10, s10
; %bb.3820:                             ;   in Loop: Header=BB4_3084 Depth=2
	v_mov_b32_e32 v117, v17
; %bb.3821:                             ;   in Loop: Header=BB4_3084 Depth=2
	s_or_b32 exec_lo, exec_lo, s10
.LBB4_3822:                             ;   in Loop: Header=BB4_3084 Depth=2
	s_delay_alu instid0(SALU_CYCLE_1)
	s_or_b32 exec_lo, exec_lo, s43
                                        ; implicit-def: $vgpr17
.LBB4_3823:                             ;   in Loop: Header=BB4_3084 Depth=2
	s_and_not1_saveexec_b32 s10, s42
; %bb.3824:                             ;   in Loop: Header=BB4_3084 Depth=2
	v_or_b32_e32 v117, 0x7b, v17
; %bb.3825:                             ;   in Loop: Header=BB4_3084 Depth=2
	s_or_b32 exec_lo, exec_lo, s10
                                        ; implicit-def: $vgpr19
.LBB4_3826:                             ;   in Loop: Header=BB4_3084 Depth=2
	s_and_not1_saveexec_b32 s10, s15
	s_cbranch_execz .LBB4_3832
; %bb.3827:                             ;   in Loop: Header=BB4_3084 Depth=2
	s_mov_b32 s15, exec_lo
                                        ; implicit-def: $vgpr117
	v_cmpx_ne_u64_e32 0, v[54:55]
	s_xor_b32 s15, exec_lo, s15
; %bb.3828:                             ;   in Loop: Header=BB4_3084 Depth=2
	v_lshrrev_b32_e32 v17, 24, v19
                                        ; implicit-def: $vgpr19
	s_delay_alu instid0(VALU_DEP_1)
	v_or_b32_e32 v117, 0x7f, v17
; %bb.3829:                             ;   in Loop: Header=BB4_3084 Depth=2
	s_and_not1_saveexec_b32 s15, s15
; %bb.3830:                             ;   in Loop: Header=BB4_3084 Depth=2
	v_cmp_lt_i32_e32 vcc_lo, -1, v19
	v_cndmask_b32_e64 v117, -4, 0x7c, vcc_lo
; %bb.3831:                             ;   in Loop: Header=BB4_3084 Depth=2
	s_or_b32 exec_lo, exec_lo, s15
.LBB4_3832:                             ;   in Loop: Header=BB4_3084 Depth=2
	s_delay_alu instid0(SALU_CYCLE_1)
	s_or_b32 exec_lo, exec_lo, s10
	v_and_b32_e32 v17, 0xff, v114
	v_cmp_ne_u16_e64 s10, 0, v114
	s_and_not1_b32 vcc_lo, exec_lo, s14
	s_mov_b32 s15, -1
                                        ; implicit-def: $vgpr19
	s_cbranch_vccnz .LBB4_3854
; %bb.3833:                             ;   in Loop: Header=BB4_3084 Depth=2
	v_dual_mov_b32 v21, 0 :: v_dual_mov_b32 v19, 0
	s_and_saveexec_b32 s15, s10
	s_cbranch_execz .LBB4_3843
; %bb.3834:                             ;   in Loop: Header=BB4_3084 Depth=2
	v_bfrev_b32_e32 v19, 1
	s_mov_b32 s42, exec_lo
	v_cmpx_ne_u16_e32 0xff80, v114
	s_cbranch_execz .LBB4_3842
; %bb.3835:                             ;   in Loop: Header=BB4_3084 Depth=2
	v_and_b32_e32 v19, 0x7c, v17
	v_and_b32_e32 v23, 3, v17
	s_delay_alu instid0(VALU_DEP_2) | instskip(SKIP_1) | instid1(SALU_CYCLE_1)
	v_cmp_ne_u32_e32 vcc_lo, 0x7c, v19
                                        ; implicit-def: $vgpr19
	s_and_saveexec_b32 s43, vcc_lo
	s_xor_b32 s43, exec_lo, s43
	s_cbranch_execz .LBB4_3839
; %bb.3836:                             ;   in Loop: Header=BB4_3084 Depth=2
	v_bfe_u32 v19, v17, 2, 5
	s_mov_b32 s44, exec_lo
	s_delay_alu instid0(VALU_DEP_1)
	v_cmpx_eq_u32_e32 0, v19
	s_cbranch_execz .LBB4_3838
; %bb.3837:                             ;   in Loop: Header=BB4_3084 Depth=2
	v_clz_i32_u32_e32 v19, v23
	s_delay_alu instid0(VALU_DEP_1) | instskip(SKIP_1) | instid1(VALU_DEP_2)
	v_min_u32_e32 v19, 32, v19
	v_mov_b32_e32 v115, v55
	v_subrev_nc_u32_e32 v23, 29, v19
	v_sub_nc_u32_e32 v19, 30, v19
	s_delay_alu instid0(VALU_DEP_2) | instskip(NEXT) | instid1(VALU_DEP_1)
	v_lshlrev_b64_e32 v[82:83], v23, v[114:115]
	v_and_b32_e32 v23, 3, v82
.LBB4_3838:                             ;   in Loop: Header=BB4_3084 Depth=2
	s_or_b32 exec_lo, exec_lo, s44
	v_bfe_i32 v25, v114, 0, 16
	s_delay_alu instid0(VALU_DEP_1) | instskip(NEXT) | instid1(VALU_DEP_1)
	v_and_b32_e32 v25, 0x80000000, v25
	v_lshl_add_u32 v19, v19, 23, v25
	s_delay_alu instid0(VALU_DEP_1) | instskip(NEXT) | instid1(VALU_DEP_1)
	v_lshl_or_b32 v19, v23, 21, v19
                                        ; implicit-def: $vgpr23
	v_add_nc_u32_e32 v19, 0x38000000, v19
.LBB4_3839:                             ;   in Loop: Header=BB4_3084 Depth=2
	s_and_not1_saveexec_b32 s43, s43
; %bb.3840:                             ;   in Loop: Header=BB4_3084 Depth=2
	v_cmp_lt_i16_e32 vcc_lo, -1, v114
	v_cndmask_b32_e32 v19, 0xff800000, v126, vcc_lo
	v_cmp_eq_u32_e32 vcc_lo, 0, v23
	s_delay_alu instid0(VALU_DEP_2)
	v_cndmask_b32_e32 v19, 0x7f800001, v19, vcc_lo
; %bb.3841:                             ;   in Loop: Header=BB4_3084 Depth=2
	s_or_b32 exec_lo, exec_lo, s43
.LBB4_3842:                             ;   in Loop: Header=BB4_3084 Depth=2
	s_delay_alu instid0(SALU_CYCLE_1)
	s_or_b32 exec_lo, exec_lo, s42
.LBB4_3843:                             ;   in Loop: Header=BB4_3084 Depth=2
	s_delay_alu instid0(SALU_CYCLE_1) | instskip(NEXT) | instid1(SALU_CYCLE_1)
	s_or_b32 exec_lo, exec_lo, s15
	s_mov_b32 s15, exec_lo
	s_wait_loadcnt_dscnt 0x404
	v_cmpx_ne_u16_e32 0, v112
	s_cbranch_execz .LBB4_3853
; %bb.3844:                             ;   in Loop: Header=BB4_3084 Depth=2
	v_bfrev_b32_e32 v21, 1
	s_mov_b32 s42, exec_lo
	v_cmpx_ne_u16_e32 0xff80, v112
	s_cbranch_execz .LBB4_3852
; %bb.3845:                             ;   in Loop: Header=BB4_3084 Depth=2
	v_and_b32_e32 v21, 0x7c, v112
	v_and_b32_e32 v23, 3, v112
	s_delay_alu instid0(VALU_DEP_2) | instskip(SKIP_1) | instid1(SALU_CYCLE_1)
	v_cmp_ne_u32_e32 vcc_lo, 0x7c, v21
                                        ; implicit-def: $vgpr21
	s_and_saveexec_b32 s43, vcc_lo
	s_xor_b32 s43, exec_lo, s43
	s_cbranch_execz .LBB4_3849
; %bb.3846:                             ;   in Loop: Header=BB4_3084 Depth=2
	v_and_b32_e32 v21, 0xff, v112
	s_mov_b32 s44, exec_lo
	s_delay_alu instid0(VALU_DEP_1) | instskip(NEXT) | instid1(VALU_DEP_1)
	v_bfe_u32 v21, v21, 2, 5
	v_cmpx_eq_u32_e32 0, v21
	s_cbranch_execz .LBB4_3848
; %bb.3847:                             ;   in Loop: Header=BB4_3084 Depth=2
	v_clz_i32_u32_e32 v21, v23
	s_delay_alu instid0(VALU_DEP_1) | instskip(SKIP_1) | instid1(VALU_DEP_2)
	v_min_u32_e32 v21, 32, v21
	v_mov_b32_e32 v113, v55
	v_subrev_nc_u32_e32 v23, 29, v21
	v_sub_nc_u32_e32 v21, 30, v21
	s_delay_alu instid0(VALU_DEP_2) | instskip(NEXT) | instid1(VALU_DEP_1)
	v_lshlrev_b64_e32 v[82:83], v23, v[112:113]
	v_and_b32_e32 v23, 3, v82
.LBB4_3848:                             ;   in Loop: Header=BB4_3084 Depth=2
	s_or_b32 exec_lo, exec_lo, s44
	v_bfe_i32 v25, v112, 0, 16
	s_delay_alu instid0(VALU_DEP_1) | instskip(NEXT) | instid1(VALU_DEP_1)
	v_and_b32_e32 v25, 0x80000000, v25
	v_lshl_add_u32 v21, v21, 23, v25
	s_delay_alu instid0(VALU_DEP_1) | instskip(NEXT) | instid1(VALU_DEP_1)
	v_lshl_or_b32 v21, v23, 21, v21
                                        ; implicit-def: $vgpr23
	v_add_nc_u32_e32 v21, 0x38000000, v21
.LBB4_3849:                             ;   in Loop: Header=BB4_3084 Depth=2
	s_and_not1_saveexec_b32 s43, s43
; %bb.3850:                             ;   in Loop: Header=BB4_3084 Depth=2
	v_cmp_lt_i16_e32 vcc_lo, -1, v112
	v_cndmask_b32_e32 v21, 0xff800000, v126, vcc_lo
	v_cmp_eq_u32_e32 vcc_lo, 0, v23
	s_delay_alu instid0(VALU_DEP_2)
	v_cndmask_b32_e32 v21, 0x7f800001, v21, vcc_lo
; %bb.3851:                             ;   in Loop: Header=BB4_3084 Depth=2
	s_or_b32 exec_lo, exec_lo, s43
.LBB4_3852:                             ;   in Loop: Header=BB4_3084 Depth=2
	s_delay_alu instid0(SALU_CYCLE_1)
	s_or_b32 exec_lo, exec_lo, s42
.LBB4_3853:                             ;   in Loop: Header=BB4_3084 Depth=2
	s_delay_alu instid0(SALU_CYCLE_1) | instskip(NEXT) | instid1(VALU_DEP_1)
	s_or_b32 exec_lo, exec_lo, s15
	v_dual_max_num_f32 v21, v21, v21 :: v_dual_max_num_f32 v19, v19, v19
	s_mov_b32 s15, 0
	s_delay_alu instid0(VALU_DEP_1)
	v_max_num_f32_e32 v19, v19, v21
.LBB4_3854:                             ;   in Loop: Header=BB4_3084 Depth=2
	s_and_b32 vcc_lo, exec_lo, s15
	s_cbranch_vccz .LBB4_3876
; %bb.3855:                             ;   in Loop: Header=BB4_3084 Depth=2
	v_dual_mov_b32 v21, 0 :: v_dual_mov_b32 v19, 0
	s_and_saveexec_b32 s15, s10
	s_cbranch_execz .LBB4_3865
; %bb.3856:                             ;   in Loop: Header=BB4_3084 Depth=2
	v_bfrev_b32_e32 v19, 1
	s_mov_b32 s10, exec_lo
	v_cmpx_ne_u16_e32 0xff80, v114
	s_cbranch_execz .LBB4_3864
; %bb.3857:                             ;   in Loop: Header=BB4_3084 Depth=2
	v_and_b32_e32 v19, 0x7c, v17
	v_and_b32_e32 v23, 3, v17
	s_delay_alu instid0(VALU_DEP_2) | instskip(SKIP_1) | instid1(SALU_CYCLE_1)
	v_cmp_ne_u32_e32 vcc_lo, 0x7c, v19
                                        ; implicit-def: $vgpr19
	s_and_saveexec_b32 s42, vcc_lo
	s_xor_b32 s42, exec_lo, s42
	s_cbranch_execz .LBB4_3861
; %bb.3858:                             ;   in Loop: Header=BB4_3084 Depth=2
	v_bfe_u32 v17, v17, 2, 5
	s_mov_b32 s43, exec_lo
	s_delay_alu instid0(VALU_DEP_1)
	v_cmpx_eq_u32_e32 0, v17
	s_cbranch_execz .LBB4_3860
; %bb.3859:                             ;   in Loop: Header=BB4_3084 Depth=2
	v_clz_i32_u32_e32 v17, v23
	s_delay_alu instid0(VALU_DEP_1) | instskip(SKIP_1) | instid1(VALU_DEP_2)
	v_min_u32_e32 v17, 32, v17
	v_mov_b32_e32 v115, v55
	v_subrev_nc_u32_e32 v19, 29, v17
	v_sub_nc_u32_e32 v17, 30, v17
	s_delay_alu instid0(VALU_DEP_2) | instskip(NEXT) | instid1(VALU_DEP_1)
	v_lshlrev_b64_e32 v[82:83], v19, v[114:115]
	v_and_b32_e32 v23, 3, v82
.LBB4_3860:                             ;   in Loop: Header=BB4_3084 Depth=2
	s_or_b32 exec_lo, exec_lo, s43
	v_bfe_i32 v19, v114, 0, 16
                                        ; implicit-def: $vgpr114
	s_delay_alu instid0(VALU_DEP_1) | instskip(NEXT) | instid1(VALU_DEP_1)
	v_and_b32_e32 v19, 0x80000000, v19
	v_lshl_add_u32 v17, v17, 23, v19
	s_delay_alu instid0(VALU_DEP_1) | instskip(NEXT) | instid1(VALU_DEP_1)
	v_lshl_or_b32 v17, v23, 21, v17
                                        ; implicit-def: $vgpr23
	v_add_nc_u32_e32 v19, 0x38000000, v17
.LBB4_3861:                             ;   in Loop: Header=BB4_3084 Depth=2
	s_and_not1_saveexec_b32 s42, s42
; %bb.3862:                             ;   in Loop: Header=BB4_3084 Depth=2
	v_cmp_lt_i16_e32 vcc_lo, -1, v114
	v_cndmask_b32_e32 v17, 0xff800000, v126, vcc_lo
	v_cmp_eq_u32_e32 vcc_lo, 0, v23
	s_delay_alu instid0(VALU_DEP_2)
	v_cndmask_b32_e32 v19, 0x7f800001, v17, vcc_lo
; %bb.3863:                             ;   in Loop: Header=BB4_3084 Depth=2
	s_or_b32 exec_lo, exec_lo, s42
.LBB4_3864:                             ;   in Loop: Header=BB4_3084 Depth=2
	s_delay_alu instid0(SALU_CYCLE_1)
	s_or_b32 exec_lo, exec_lo, s10
.LBB4_3865:                             ;   in Loop: Header=BB4_3084 Depth=2
	s_delay_alu instid0(SALU_CYCLE_1) | instskip(NEXT) | instid1(SALU_CYCLE_1)
	s_or_b32 exec_lo, exec_lo, s15
	s_mov_b32 s10, exec_lo
	s_wait_loadcnt_dscnt 0x404
	v_cmpx_ne_u16_e32 0, v112
	s_cbranch_execz .LBB4_3875
; %bb.3866:                             ;   in Loop: Header=BB4_3084 Depth=2
	v_bfrev_b32_e32 v21, 1
	s_mov_b32 s15, exec_lo
	v_cmpx_ne_u16_e32 0xff80, v112
	s_cbranch_execz .LBB4_3874
; %bb.3867:                             ;   in Loop: Header=BB4_3084 Depth=2
	v_and_b32_e32 v21, 0x7c, v112
	v_and_b32_e32 v17, 3, v112
	s_delay_alu instid0(VALU_DEP_2) | instskip(SKIP_1) | instid1(SALU_CYCLE_1)
	v_cmp_ne_u32_e32 vcc_lo, 0x7c, v21
                                        ; implicit-def: $vgpr21
	s_and_saveexec_b32 s42, vcc_lo
	s_xor_b32 s42, exec_lo, s42
	s_cbranch_execz .LBB4_3871
; %bb.3868:                             ;   in Loop: Header=BB4_3084 Depth=2
	v_and_b32_e32 v21, 0xff, v112
	s_mov_b32 s43, exec_lo
	s_delay_alu instid0(VALU_DEP_1) | instskip(NEXT) | instid1(VALU_DEP_1)
	v_bfe_u32 v21, v21, 2, 5
	v_cmpx_eq_u32_e32 0, v21
; %bb.3869:                             ;   in Loop: Header=BB4_3084 Depth=2
	v_clz_i32_u32_e32 v17, v17
	s_delay_alu instid0(VALU_DEP_1) | instskip(SKIP_1) | instid1(VALU_DEP_2)
	v_min_u32_e32 v17, 32, v17
	v_mov_b32_e32 v113, v55
	v_subrev_nc_u32_e32 v21, 29, v17
	s_delay_alu instid0(VALU_DEP_1) | instskip(NEXT) | instid1(VALU_DEP_1)
	v_lshlrev_b64_e32 v[82:83], v21, v[112:113]
	v_dual_sub_nc_u32 v21, 30, v17 :: v_dual_bitop2_b32 v17, 3, v82 bitop3:0x40
; %bb.3870:                             ;   in Loop: Header=BB4_3084 Depth=2
	s_or_b32 exec_lo, exec_lo, s43
	v_bfe_i32 v23, v112, 0, 16
                                        ; implicit-def: $vgpr112
	s_delay_alu instid0(VALU_DEP_1) | instskip(NEXT) | instid1(VALU_DEP_1)
	v_and_b32_e32 v23, 0x80000000, v23
	v_lshl_add_u32 v21, v21, 23, v23
	s_delay_alu instid0(VALU_DEP_1) | instskip(NEXT) | instid1(VALU_DEP_1)
	v_lshl_or_b32 v17, v17, 21, v21
	v_add_nc_u32_e32 v21, 0x38000000, v17
                                        ; implicit-def: $vgpr17
.LBB4_3871:                             ;   in Loop: Header=BB4_3084 Depth=2
	s_and_not1_saveexec_b32 s42, s42
; %bb.3872:                             ;   in Loop: Header=BB4_3084 Depth=2
	v_cmp_lt_i16_e32 vcc_lo, -1, v112
	v_cndmask_b32_e32 v21, 0xff800000, v126, vcc_lo
	v_cmp_eq_u32_e32 vcc_lo, 0, v17
	s_delay_alu instid0(VALU_DEP_2)
	v_cndmask_b32_e32 v21, 0x7f800001, v21, vcc_lo
; %bb.3873:                             ;   in Loop: Header=BB4_3084 Depth=2
	s_or_b32 exec_lo, exec_lo, s42
.LBB4_3874:                             ;   in Loop: Header=BB4_3084 Depth=2
	s_delay_alu instid0(SALU_CYCLE_1)
	s_or_b32 exec_lo, exec_lo, s15
.LBB4_3875:                             ;   in Loop: Header=BB4_3084 Depth=2
	s_delay_alu instid0(SALU_CYCLE_1) | instskip(NEXT) | instid1(VALU_DEP_1)
	s_or_b32 exec_lo, exec_lo, s10
	v_dual_max_num_f32 v17, v21, v21 :: v_dual_max_num_f32 v19, v19, v19
	s_delay_alu instid0(VALU_DEP_1)
	v_min_num_f32_e32 v19, v19, v17
.LBB4_3876:                             ;   in Loop: Header=BB4_3084 Depth=2
	s_delay_alu instid0(VALU_DEP_1) | instskip(SKIP_3) | instid1(VALU_DEP_2)
	v_and_b32_e32 v82, 0x7f800000, v19
	v_mov_b32_e32 v83, v55
	v_and_b32_e32 v54, 0x7fffff, v19
                                        ; implicit-def: $vgpr113
	s_mov_b32 s10, exec_lo
	v_cmpx_ne_u64_e32 0x7f800000, v[82:83]
	s_xor_b32 s15, exec_lo, s10
	s_cbranch_execz .LBB4_3894
; %bb.3877:                             ;   in Loop: Header=BB4_3084 Depth=2
	v_dual_mov_b32 v83, v55 :: v_dual_lshrrev_b32 v17, 24, v19
	v_and_b32_e32 v82, 0x7fffffff, v19
                                        ; implicit-def: $vgpr113
	s_mov_b32 s10, exec_lo
	s_delay_alu instid0(VALU_DEP_2) | instskip(NEXT) | instid1(VALU_DEP_2)
	v_and_b32_e32 v17, 0x80, v17
	v_cmpx_gt_u64_e32 0x47600001, v[82:83]
	s_xor_b32 s42, exec_lo, s10
	s_cbranch_execz .LBB4_3891
; %bb.3878:                             ;   in Loop: Header=BB4_3084 Depth=2
	v_mov_b32_e32 v113, 0
	s_mov_b32 s43, exec_lo
	v_cmpx_ne_u32_e32 0, v19
	s_cbranch_execz .LBB4_3890
; %bb.3879:                             ;   in Loop: Header=BB4_3084 Depth=2
	v_bfe_u32 v19, v19, 23, 8
	v_or_b32_e32 v25, 0x800000, v54
	s_delay_alu instid0(VALU_DEP_2) | instskip(SKIP_1) | instid1(VALU_DEP_2)
	v_sub_nc_u32_e32 v21, 0x71, v19
	v_cmp_gt_u32_e32 vcc_lo, 0x72, v19
	v_cndmask_b32_e32 v21, 0, v21, vcc_lo
	v_cmp_eq_u32_e32 vcc_lo, 0, v19
	s_delay_alu instid0(VALU_DEP_2) | instskip(NEXT) | instid1(VALU_DEP_1)
	v_cndmask_b32_e64 v21, v21, 0x70, vcc_lo
	v_dual_cndmask_b32 v54, v25, v54 :: v_dual_add_nc_u32 v23, 21, v21
	s_wait_loadcnt_dscnt 0x404
	s_delay_alu instid0(VALU_DEP_1) | instskip(NEXT) | instid1(VALU_DEP_2)
	v_lshrrev_b64 v[112:113], v21, v[54:55]
	v_lshlrev_b64_e64 v[82:83], v23, -1
	v_add_nc_u32_e32 v23, 20, v21
	s_delay_alu instid0(VALU_DEP_1) | instskip(NEXT) | instid1(VALU_DEP_3)
	v_lshlrev_b64_e64 v[114:115], v23, 1
	v_bfi_b32 v83, v83, 0, 0
	s_delay_alu instid0(VALU_DEP_4) | instskip(NEXT) | instid1(VALU_DEP_1)
	v_bfi_b32 v82, v82, 0, v54
	v_cmp_eq_u64_e64 s10, v[82:83], v[114:115]
	v_mov_b64_e32 v[114:115], v[112:113]
	s_and_saveexec_b32 s44, s10
; %bb.3880:                             ;   in Loop: Header=BB4_3084 Depth=2
	v_bfe_u32 v54, v112, 21, 1
	s_delay_alu instid0(VALU_DEP_1) | instskip(NEXT) | instid1(VALU_DEP_1)
	v_add_nc_u64_e32 v[82:83], v[112:113], v[54:55]
	v_add_nc_u64_e32 v[114:115], -1, v[82:83]
; %bb.3881:                             ;   in Loop: Header=BB4_3084 Depth=2
	s_or_b32 exec_lo, exec_lo, s44
	v_add_nc_u32_e32 v19, 0xffffff81, v19
	v_lshrrev_b32_e32 v23, 23, v112
	s_mov_b32 s10, exec_lo
	s_delay_alu instid0(VALU_DEP_2) | instskip(NEXT) | instid1(VALU_DEP_1)
	v_cndmask_b32_e64 v19, v19, 0xffffff82, vcc_lo
	v_add3_u32 v21, v21, v19, v23
	v_and_b32_e32 v19, 0x1fffff, v114
	s_delay_alu instid0(VALU_DEP_1) | instskip(NEXT) | instid1(VALU_DEP_1)
	v_dual_add_nc_u32 v23, 14, v21 :: v_dual_add_nc_u32 v54, v19, v112
                                        ; implicit-def: $vgpr112_vgpr113
                                        ; implicit-def: $vgpr19
	v_cmpx_ne_u32_e32 0, v23
	s_xor_b32 s10, exec_lo, s10
; %bb.3882:                             ;   in Loop: Header=BB4_3084 Depth=2
	s_delay_alu instid0(VALU_DEP_2) | instskip(SKIP_2) | instid1(VALU_DEP_2)
	v_cmp_lt_u64_e32 vcc_lo, 0xffffff, v[54:55]
	v_add_nc_u32_e32 v19, 15, v21
	v_cndmask_b32_e64 v21, 0, 1, vcc_lo
	v_cndmask_b32_e32 v19, v23, v19, vcc_lo
	s_delay_alu instid0(VALU_DEP_2)
	v_lshrrev_b64 v[112:113], v21, v[54:55]
; %bb.3883:                             ;   in Loop: Header=BB4_3084 Depth=2
	s_and_not1_saveexec_b32 s10, s10
; %bb.3884:                             ;   in Loop: Header=BB4_3084 Depth=2
	v_mov_b64_e32 v[112:113], v[54:55]
	v_bfe_u32 v19, v54, 23, 1
; %bb.3885:                             ;   in Loop: Header=BB4_3084 Depth=2
	s_or_b32 exec_lo, exec_lo, s10
	s_delay_alu instid0(VALU_DEP_2) | instskip(NEXT) | instid1(VALU_DEP_2)
	v_lshrrev_b64 v[82:83], 21, v[112:113]
	v_cmp_gt_i32_e32 vcc_lo, 32, v19
	v_cmp_ne_u32_e64 s10, 0, v19
	s_delay_alu instid0(VALU_DEP_3) | instskip(NEXT) | instid1(VALU_DEP_1)
	v_dual_cndmask_b32 v113, 0, v83 :: v_dual_cndmask_b32 v112, 3, v82
	v_cmp_ne_u64_e32 vcc_lo, 0, v[112:113]
                                        ; implicit-def: $vgpr113
	s_or_b32 s10, s10, vcc_lo
	s_delay_alu instid0(SALU_CYCLE_1) | instskip(NEXT) | instid1(SALU_CYCLE_1)
	s_and_saveexec_b32 s44, s10
	s_xor_b32 s10, exec_lo, s44
; %bb.3886:                             ;   in Loop: Header=BB4_3084 Depth=2
	v_min_i32_e32 v19, 31, v19
	s_delay_alu instid0(VALU_DEP_1) | instskip(NEXT) | instid1(VALU_DEP_1)
	v_lshl_or_b32 v17, v19, 2, v17
	v_and_or_b32 v113, v112, 3, v17
                                        ; implicit-def: $vgpr17
; %bb.3887:                             ;   in Loop: Header=BB4_3084 Depth=2
	s_and_not1_saveexec_b32 s10, s10
; %bb.3888:                             ;   in Loop: Header=BB4_3084 Depth=2
	v_mov_b32_e32 v113, v17
; %bb.3889:                             ;   in Loop: Header=BB4_3084 Depth=2
	s_or_b32 exec_lo, exec_lo, s10
.LBB4_3890:                             ;   in Loop: Header=BB4_3084 Depth=2
	s_delay_alu instid0(SALU_CYCLE_1)
	s_or_b32 exec_lo, exec_lo, s43
                                        ; implicit-def: $vgpr17
.LBB4_3891:                             ;   in Loop: Header=BB4_3084 Depth=2
	s_and_not1_saveexec_b32 s10, s42
; %bb.3892:                             ;   in Loop: Header=BB4_3084 Depth=2
	v_or_b32_e32 v113, 0x7b, v17
; %bb.3893:                             ;   in Loop: Header=BB4_3084 Depth=2
	s_or_b32 exec_lo, exec_lo, s10
                                        ; implicit-def: $vgpr19
.LBB4_3894:                             ;   in Loop: Header=BB4_3084 Depth=2
	s_and_not1_saveexec_b32 s10, s15
	s_cbranch_execz .LBB4_3900
; %bb.3895:                             ;   in Loop: Header=BB4_3084 Depth=2
	s_mov_b32 s15, exec_lo
                                        ; implicit-def: $vgpr113
	v_cmpx_ne_u64_e32 0, v[54:55]
	s_xor_b32 s15, exec_lo, s15
; %bb.3896:                             ;   in Loop: Header=BB4_3084 Depth=2
	v_lshrrev_b32_e32 v17, 24, v19
                                        ; implicit-def: $vgpr19
	s_delay_alu instid0(VALU_DEP_1)
	v_or_b32_e32 v113, 0x7f, v17
; %bb.3897:                             ;   in Loop: Header=BB4_3084 Depth=2
	s_and_not1_saveexec_b32 s15, s15
; %bb.3898:                             ;   in Loop: Header=BB4_3084 Depth=2
	v_cmp_lt_i32_e32 vcc_lo, -1, v19
	v_cndmask_b32_e64 v113, -4, 0x7c, vcc_lo
; %bb.3899:                             ;   in Loop: Header=BB4_3084 Depth=2
	s_or_b32 exec_lo, exec_lo, s15
.LBB4_3900:                             ;   in Loop: Header=BB4_3084 Depth=2
	s_delay_alu instid0(SALU_CYCLE_1)
	s_or_b32 exec_lo, exec_lo, s10
	v_and_b32_e32 v17, 0xff, v102
	v_cmp_ne_u16_e64 s10, 0, v102
	s_and_not1_b32 vcc_lo, exec_lo, s14
	s_mov_b32 s15, -1
                                        ; implicit-def: $vgpr19
	s_cbranch_vccnz .LBB4_3922
; %bb.3901:                             ;   in Loop: Header=BB4_3084 Depth=2
	v_dual_mov_b32 v21, 0 :: v_dual_mov_b32 v19, 0
	s_and_saveexec_b32 s15, s10
	s_cbranch_execz .LBB4_3911
; %bb.3902:                             ;   in Loop: Header=BB4_3084 Depth=2
	v_bfrev_b32_e32 v19, 1
	s_mov_b32 s42, exec_lo
	v_cmpx_ne_u16_e32 0xff80, v102
	s_cbranch_execz .LBB4_3910
; %bb.3903:                             ;   in Loop: Header=BB4_3084 Depth=2
	v_and_b32_e32 v19, 0x7c, v17
	v_and_b32_e32 v23, 3, v17
	s_delay_alu instid0(VALU_DEP_2) | instskip(SKIP_1) | instid1(SALU_CYCLE_1)
	v_cmp_ne_u32_e32 vcc_lo, 0x7c, v19
                                        ; implicit-def: $vgpr19
	s_and_saveexec_b32 s43, vcc_lo
	s_xor_b32 s43, exec_lo, s43
	s_cbranch_execz .LBB4_3907
; %bb.3904:                             ;   in Loop: Header=BB4_3084 Depth=2
	v_bfe_u32 v19, v17, 2, 5
	s_mov_b32 s44, exec_lo
	s_delay_alu instid0(VALU_DEP_1)
	v_cmpx_eq_u32_e32 0, v19
	s_cbranch_execz .LBB4_3906
; %bb.3905:                             ;   in Loop: Header=BB4_3084 Depth=2
	v_clz_i32_u32_e32 v19, v23
	s_delay_alu instid0(VALU_DEP_1) | instskip(SKIP_1) | instid1(VALU_DEP_2)
	v_min_u32_e32 v19, 32, v19
	v_mov_b32_e32 v103, v55
	v_subrev_nc_u32_e32 v23, 29, v19
	v_sub_nc_u32_e32 v19, 30, v19
	s_delay_alu instid0(VALU_DEP_2) | instskip(NEXT) | instid1(VALU_DEP_1)
	v_lshlrev_b64_e32 v[82:83], v23, v[102:103]
	v_and_b32_e32 v23, 3, v82
.LBB4_3906:                             ;   in Loop: Header=BB4_3084 Depth=2
	s_or_b32 exec_lo, exec_lo, s44
	v_bfe_i32 v25, v102, 0, 16
	s_delay_alu instid0(VALU_DEP_1) | instskip(NEXT) | instid1(VALU_DEP_1)
	v_and_b32_e32 v25, 0x80000000, v25
	v_lshl_add_u32 v19, v19, 23, v25
	s_delay_alu instid0(VALU_DEP_1) | instskip(NEXT) | instid1(VALU_DEP_1)
	v_lshl_or_b32 v19, v23, 21, v19
                                        ; implicit-def: $vgpr23
	v_add_nc_u32_e32 v19, 0x38000000, v19
.LBB4_3907:                             ;   in Loop: Header=BB4_3084 Depth=2
	s_and_not1_saveexec_b32 s43, s43
; %bb.3908:                             ;   in Loop: Header=BB4_3084 Depth=2
	v_cmp_lt_i16_e32 vcc_lo, -1, v102
	v_cndmask_b32_e32 v19, 0xff800000, v126, vcc_lo
	v_cmp_eq_u32_e32 vcc_lo, 0, v23
	s_delay_alu instid0(VALU_DEP_2)
	v_cndmask_b32_e32 v19, 0x7f800001, v19, vcc_lo
; %bb.3909:                             ;   in Loop: Header=BB4_3084 Depth=2
	s_or_b32 exec_lo, exec_lo, s43
.LBB4_3910:                             ;   in Loop: Header=BB4_3084 Depth=2
	s_delay_alu instid0(SALU_CYCLE_1)
	s_or_b32 exec_lo, exec_lo, s42
.LBB4_3911:                             ;   in Loop: Header=BB4_3084 Depth=2
	s_delay_alu instid0(SALU_CYCLE_1) | instskip(NEXT) | instid1(SALU_CYCLE_1)
	s_or_b32 exec_lo, exec_lo, s15
	s_mov_b32 s15, exec_lo
	s_wait_loadcnt_dscnt 0x303
	v_cmpx_ne_u16_e32 0, v100
	s_cbranch_execz .LBB4_3921
; %bb.3912:                             ;   in Loop: Header=BB4_3084 Depth=2
	v_bfrev_b32_e32 v21, 1
	s_mov_b32 s42, exec_lo
	v_cmpx_ne_u16_e32 0xff80, v100
	s_cbranch_execz .LBB4_3920
; %bb.3913:                             ;   in Loop: Header=BB4_3084 Depth=2
	v_and_b32_e32 v21, 0x7c, v100
	v_and_b32_e32 v23, 3, v100
	s_delay_alu instid0(VALU_DEP_2) | instskip(SKIP_1) | instid1(SALU_CYCLE_1)
	v_cmp_ne_u32_e32 vcc_lo, 0x7c, v21
                                        ; implicit-def: $vgpr21
	s_and_saveexec_b32 s43, vcc_lo
	s_xor_b32 s43, exec_lo, s43
	s_cbranch_execz .LBB4_3917
; %bb.3914:                             ;   in Loop: Header=BB4_3084 Depth=2
	v_and_b32_e32 v21, 0xff, v100
	s_mov_b32 s44, exec_lo
	s_delay_alu instid0(VALU_DEP_1) | instskip(NEXT) | instid1(VALU_DEP_1)
	v_bfe_u32 v21, v21, 2, 5
	v_cmpx_eq_u32_e32 0, v21
	s_cbranch_execz .LBB4_3916
; %bb.3915:                             ;   in Loop: Header=BB4_3084 Depth=2
	v_clz_i32_u32_e32 v21, v23
	s_delay_alu instid0(VALU_DEP_1) | instskip(SKIP_1) | instid1(VALU_DEP_2)
	v_min_u32_e32 v21, 32, v21
	v_mov_b32_e32 v101, v55
	v_subrev_nc_u32_e32 v23, 29, v21
	v_sub_nc_u32_e32 v21, 30, v21
	s_delay_alu instid0(VALU_DEP_2) | instskip(NEXT) | instid1(VALU_DEP_1)
	v_lshlrev_b64_e32 v[82:83], v23, v[100:101]
	v_and_b32_e32 v23, 3, v82
.LBB4_3916:                             ;   in Loop: Header=BB4_3084 Depth=2
	s_or_b32 exec_lo, exec_lo, s44
	v_bfe_i32 v25, v100, 0, 16
	s_delay_alu instid0(VALU_DEP_1) | instskip(NEXT) | instid1(VALU_DEP_1)
	v_and_b32_e32 v25, 0x80000000, v25
	v_lshl_add_u32 v21, v21, 23, v25
	s_delay_alu instid0(VALU_DEP_1) | instskip(NEXT) | instid1(VALU_DEP_1)
	v_lshl_or_b32 v21, v23, 21, v21
                                        ; implicit-def: $vgpr23
	v_add_nc_u32_e32 v21, 0x38000000, v21
.LBB4_3917:                             ;   in Loop: Header=BB4_3084 Depth=2
	s_and_not1_saveexec_b32 s43, s43
; %bb.3918:                             ;   in Loop: Header=BB4_3084 Depth=2
	v_cmp_lt_i16_e32 vcc_lo, -1, v100
	v_cndmask_b32_e32 v21, 0xff800000, v126, vcc_lo
	v_cmp_eq_u32_e32 vcc_lo, 0, v23
	s_delay_alu instid0(VALU_DEP_2)
	v_cndmask_b32_e32 v21, 0x7f800001, v21, vcc_lo
; %bb.3919:                             ;   in Loop: Header=BB4_3084 Depth=2
	s_or_b32 exec_lo, exec_lo, s43
.LBB4_3920:                             ;   in Loop: Header=BB4_3084 Depth=2
	s_delay_alu instid0(SALU_CYCLE_1)
	s_or_b32 exec_lo, exec_lo, s42
.LBB4_3921:                             ;   in Loop: Header=BB4_3084 Depth=2
	s_delay_alu instid0(SALU_CYCLE_1) | instskip(NEXT) | instid1(VALU_DEP_1)
	s_or_b32 exec_lo, exec_lo, s15
	v_dual_max_num_f32 v21, v21, v21 :: v_dual_max_num_f32 v19, v19, v19
	s_mov_b32 s15, 0
	s_delay_alu instid0(VALU_DEP_1)
	v_max_num_f32_e32 v19, v19, v21
.LBB4_3922:                             ;   in Loop: Header=BB4_3084 Depth=2
	s_and_b32 vcc_lo, exec_lo, s15
	s_cbranch_vccz .LBB4_3944
; %bb.3923:                             ;   in Loop: Header=BB4_3084 Depth=2
	v_dual_mov_b32 v21, 0 :: v_dual_mov_b32 v19, 0
	s_and_saveexec_b32 s15, s10
	s_cbranch_execz .LBB4_3933
; %bb.3924:                             ;   in Loop: Header=BB4_3084 Depth=2
	v_bfrev_b32_e32 v19, 1
	s_mov_b32 s10, exec_lo
	v_cmpx_ne_u16_e32 0xff80, v102
	s_cbranch_execz .LBB4_3932
; %bb.3925:                             ;   in Loop: Header=BB4_3084 Depth=2
	v_and_b32_e32 v19, 0x7c, v17
	v_and_b32_e32 v23, 3, v17
	s_delay_alu instid0(VALU_DEP_2) | instskip(SKIP_1) | instid1(SALU_CYCLE_1)
	v_cmp_ne_u32_e32 vcc_lo, 0x7c, v19
                                        ; implicit-def: $vgpr19
	s_and_saveexec_b32 s42, vcc_lo
	s_xor_b32 s42, exec_lo, s42
	s_cbranch_execz .LBB4_3929
; %bb.3926:                             ;   in Loop: Header=BB4_3084 Depth=2
	v_bfe_u32 v17, v17, 2, 5
	s_mov_b32 s43, exec_lo
	s_delay_alu instid0(VALU_DEP_1)
	v_cmpx_eq_u32_e32 0, v17
	s_cbranch_execz .LBB4_3928
; %bb.3927:                             ;   in Loop: Header=BB4_3084 Depth=2
	v_clz_i32_u32_e32 v17, v23
	s_delay_alu instid0(VALU_DEP_1) | instskip(SKIP_1) | instid1(VALU_DEP_2)
	v_min_u32_e32 v17, 32, v17
	v_mov_b32_e32 v103, v55
	v_subrev_nc_u32_e32 v19, 29, v17
	v_sub_nc_u32_e32 v17, 30, v17
	s_delay_alu instid0(VALU_DEP_2) | instskip(NEXT) | instid1(VALU_DEP_1)
	v_lshlrev_b64_e32 v[82:83], v19, v[102:103]
	v_and_b32_e32 v23, 3, v82
.LBB4_3928:                             ;   in Loop: Header=BB4_3084 Depth=2
	s_or_b32 exec_lo, exec_lo, s43
	v_bfe_i32 v19, v102, 0, 16
                                        ; implicit-def: $vgpr102
	s_delay_alu instid0(VALU_DEP_1) | instskip(NEXT) | instid1(VALU_DEP_1)
	v_and_b32_e32 v19, 0x80000000, v19
	v_lshl_add_u32 v17, v17, 23, v19
	s_delay_alu instid0(VALU_DEP_1) | instskip(NEXT) | instid1(VALU_DEP_1)
	v_lshl_or_b32 v17, v23, 21, v17
                                        ; implicit-def: $vgpr23
	v_add_nc_u32_e32 v19, 0x38000000, v17
.LBB4_3929:                             ;   in Loop: Header=BB4_3084 Depth=2
	s_and_not1_saveexec_b32 s42, s42
; %bb.3930:                             ;   in Loop: Header=BB4_3084 Depth=2
	v_cmp_lt_i16_e32 vcc_lo, -1, v102
	v_cndmask_b32_e32 v17, 0xff800000, v126, vcc_lo
	v_cmp_eq_u32_e32 vcc_lo, 0, v23
	s_delay_alu instid0(VALU_DEP_2)
	v_cndmask_b32_e32 v19, 0x7f800001, v17, vcc_lo
; %bb.3931:                             ;   in Loop: Header=BB4_3084 Depth=2
	s_or_b32 exec_lo, exec_lo, s42
.LBB4_3932:                             ;   in Loop: Header=BB4_3084 Depth=2
	s_delay_alu instid0(SALU_CYCLE_1)
	s_or_b32 exec_lo, exec_lo, s10
.LBB4_3933:                             ;   in Loop: Header=BB4_3084 Depth=2
	s_delay_alu instid0(SALU_CYCLE_1) | instskip(NEXT) | instid1(SALU_CYCLE_1)
	s_or_b32 exec_lo, exec_lo, s15
	s_mov_b32 s10, exec_lo
	s_wait_loadcnt_dscnt 0x303
	v_cmpx_ne_u16_e32 0, v100
	s_cbranch_execz .LBB4_3943
; %bb.3934:                             ;   in Loop: Header=BB4_3084 Depth=2
	v_bfrev_b32_e32 v21, 1
	s_mov_b32 s15, exec_lo
	v_cmpx_ne_u16_e32 0xff80, v100
	s_cbranch_execz .LBB4_3942
; %bb.3935:                             ;   in Loop: Header=BB4_3084 Depth=2
	v_and_b32_e32 v21, 0x7c, v100
	v_and_b32_e32 v17, 3, v100
	s_delay_alu instid0(VALU_DEP_2) | instskip(SKIP_1) | instid1(SALU_CYCLE_1)
	v_cmp_ne_u32_e32 vcc_lo, 0x7c, v21
                                        ; implicit-def: $vgpr21
	s_and_saveexec_b32 s42, vcc_lo
	s_xor_b32 s42, exec_lo, s42
	s_cbranch_execz .LBB4_3939
; %bb.3936:                             ;   in Loop: Header=BB4_3084 Depth=2
	v_and_b32_e32 v21, 0xff, v100
	s_mov_b32 s43, exec_lo
	s_delay_alu instid0(VALU_DEP_1) | instskip(NEXT) | instid1(VALU_DEP_1)
	v_bfe_u32 v21, v21, 2, 5
	v_cmpx_eq_u32_e32 0, v21
; %bb.3937:                             ;   in Loop: Header=BB4_3084 Depth=2
	v_clz_i32_u32_e32 v17, v17
	s_delay_alu instid0(VALU_DEP_1) | instskip(SKIP_1) | instid1(VALU_DEP_2)
	v_min_u32_e32 v17, 32, v17
	v_mov_b32_e32 v101, v55
	v_subrev_nc_u32_e32 v21, 29, v17
	s_delay_alu instid0(VALU_DEP_1) | instskip(NEXT) | instid1(VALU_DEP_1)
	v_lshlrev_b64_e32 v[82:83], v21, v[100:101]
	v_dual_sub_nc_u32 v21, 30, v17 :: v_dual_bitop2_b32 v17, 3, v82 bitop3:0x40
; %bb.3938:                             ;   in Loop: Header=BB4_3084 Depth=2
	s_or_b32 exec_lo, exec_lo, s43
	v_bfe_i32 v23, v100, 0, 16
                                        ; implicit-def: $vgpr100
	s_delay_alu instid0(VALU_DEP_1) | instskip(NEXT) | instid1(VALU_DEP_1)
	v_and_b32_e32 v23, 0x80000000, v23
	v_lshl_add_u32 v21, v21, 23, v23
	s_delay_alu instid0(VALU_DEP_1) | instskip(NEXT) | instid1(VALU_DEP_1)
	v_lshl_or_b32 v17, v17, 21, v21
	v_add_nc_u32_e32 v21, 0x38000000, v17
                                        ; implicit-def: $vgpr17
.LBB4_3939:                             ;   in Loop: Header=BB4_3084 Depth=2
	s_and_not1_saveexec_b32 s42, s42
; %bb.3940:                             ;   in Loop: Header=BB4_3084 Depth=2
	v_cmp_lt_i16_e32 vcc_lo, -1, v100
	v_cndmask_b32_e32 v21, 0xff800000, v126, vcc_lo
	v_cmp_eq_u32_e32 vcc_lo, 0, v17
	s_delay_alu instid0(VALU_DEP_2)
	v_cndmask_b32_e32 v21, 0x7f800001, v21, vcc_lo
; %bb.3941:                             ;   in Loop: Header=BB4_3084 Depth=2
	s_or_b32 exec_lo, exec_lo, s42
.LBB4_3942:                             ;   in Loop: Header=BB4_3084 Depth=2
	s_delay_alu instid0(SALU_CYCLE_1)
	s_or_b32 exec_lo, exec_lo, s15
.LBB4_3943:                             ;   in Loop: Header=BB4_3084 Depth=2
	s_delay_alu instid0(SALU_CYCLE_1) | instskip(NEXT) | instid1(VALU_DEP_1)
	s_or_b32 exec_lo, exec_lo, s10
	v_dual_max_num_f32 v17, v21, v21 :: v_dual_max_num_f32 v19, v19, v19
	s_delay_alu instid0(VALU_DEP_1)
	v_min_num_f32_e32 v19, v19, v17
.LBB4_3944:                             ;   in Loop: Header=BB4_3084 Depth=2
	s_delay_alu instid0(VALU_DEP_1) | instskip(SKIP_3) | instid1(VALU_DEP_2)
	v_and_b32_e32 v82, 0x7f800000, v19
	v_mov_b32_e32 v83, v55
	v_and_b32_e32 v54, 0x7fffff, v19
                                        ; implicit-def: $vgpr101
	s_mov_b32 s10, exec_lo
	v_cmpx_ne_u64_e32 0x7f800000, v[82:83]
	s_xor_b32 s15, exec_lo, s10
	s_cbranch_execz .LBB4_3962
; %bb.3945:                             ;   in Loop: Header=BB4_3084 Depth=2
	v_dual_mov_b32 v83, v55 :: v_dual_lshrrev_b32 v17, 24, v19
	v_and_b32_e32 v82, 0x7fffffff, v19
                                        ; implicit-def: $vgpr101
	s_mov_b32 s10, exec_lo
	s_delay_alu instid0(VALU_DEP_2) | instskip(NEXT) | instid1(VALU_DEP_2)
	v_and_b32_e32 v17, 0x80, v17
	v_cmpx_gt_u64_e32 0x47600001, v[82:83]
	s_xor_b32 s42, exec_lo, s10
	s_cbranch_execz .LBB4_3959
; %bb.3946:                             ;   in Loop: Header=BB4_3084 Depth=2
	v_mov_b32_e32 v101, 0
	s_mov_b32 s43, exec_lo
	v_cmpx_ne_u32_e32 0, v19
	s_cbranch_execz .LBB4_3958
; %bb.3947:                             ;   in Loop: Header=BB4_3084 Depth=2
	v_bfe_u32 v19, v19, 23, 8
	v_or_b32_e32 v25, 0x800000, v54
	s_delay_alu instid0(VALU_DEP_2) | instskip(SKIP_1) | instid1(VALU_DEP_2)
	v_sub_nc_u32_e32 v21, 0x71, v19
	v_cmp_gt_u32_e32 vcc_lo, 0x72, v19
	v_cndmask_b32_e32 v21, 0, v21, vcc_lo
	v_cmp_eq_u32_e32 vcc_lo, 0, v19
	s_delay_alu instid0(VALU_DEP_2) | instskip(NEXT) | instid1(VALU_DEP_1)
	v_cndmask_b32_e64 v21, v21, 0x70, vcc_lo
	v_dual_cndmask_b32 v54, v25, v54 :: v_dual_add_nc_u32 v23, 21, v21
	s_wait_loadcnt_dscnt 0x303
	s_delay_alu instid0(VALU_DEP_1) | instskip(NEXT) | instid1(VALU_DEP_2)
	v_lshrrev_b64 v[100:101], v21, v[54:55]
	v_lshlrev_b64_e64 v[82:83], v23, -1
	v_add_nc_u32_e32 v23, 20, v21
	s_delay_alu instid0(VALU_DEP_1) | instskip(NEXT) | instid1(VALU_DEP_3)
	v_lshlrev_b64_e64 v[102:103], v23, 1
	v_bfi_b32 v83, v83, 0, 0
	s_delay_alu instid0(VALU_DEP_4) | instskip(NEXT) | instid1(VALU_DEP_1)
	v_bfi_b32 v82, v82, 0, v54
	v_cmp_eq_u64_e64 s10, v[82:83], v[102:103]
	v_mov_b64_e32 v[102:103], v[100:101]
	s_and_saveexec_b32 s44, s10
; %bb.3948:                             ;   in Loop: Header=BB4_3084 Depth=2
	v_bfe_u32 v54, v100, 21, 1
	s_delay_alu instid0(VALU_DEP_1) | instskip(NEXT) | instid1(VALU_DEP_1)
	v_add_nc_u64_e32 v[82:83], v[100:101], v[54:55]
	v_add_nc_u64_e32 v[102:103], -1, v[82:83]
; %bb.3949:                             ;   in Loop: Header=BB4_3084 Depth=2
	s_or_b32 exec_lo, exec_lo, s44
	v_add_nc_u32_e32 v19, 0xffffff81, v19
	v_lshrrev_b32_e32 v23, 23, v100
	s_mov_b32 s10, exec_lo
	s_delay_alu instid0(VALU_DEP_2) | instskip(NEXT) | instid1(VALU_DEP_1)
	v_cndmask_b32_e64 v19, v19, 0xffffff82, vcc_lo
	v_add3_u32 v21, v21, v19, v23
	v_and_b32_e32 v19, 0x1fffff, v102
	s_delay_alu instid0(VALU_DEP_1) | instskip(NEXT) | instid1(VALU_DEP_1)
	v_dual_add_nc_u32 v23, 14, v21 :: v_dual_add_nc_u32 v54, v19, v100
                                        ; implicit-def: $vgpr100_vgpr101
                                        ; implicit-def: $vgpr19
	v_cmpx_ne_u32_e32 0, v23
	s_xor_b32 s10, exec_lo, s10
; %bb.3950:                             ;   in Loop: Header=BB4_3084 Depth=2
	s_delay_alu instid0(VALU_DEP_2) | instskip(SKIP_2) | instid1(VALU_DEP_2)
	v_cmp_lt_u64_e32 vcc_lo, 0xffffff, v[54:55]
	v_add_nc_u32_e32 v19, 15, v21
	v_cndmask_b32_e64 v21, 0, 1, vcc_lo
	v_cndmask_b32_e32 v19, v23, v19, vcc_lo
	s_delay_alu instid0(VALU_DEP_2)
	v_lshrrev_b64 v[100:101], v21, v[54:55]
; %bb.3951:                             ;   in Loop: Header=BB4_3084 Depth=2
	s_and_not1_saveexec_b32 s10, s10
; %bb.3952:                             ;   in Loop: Header=BB4_3084 Depth=2
	v_mov_b64_e32 v[100:101], v[54:55]
	v_bfe_u32 v19, v54, 23, 1
; %bb.3953:                             ;   in Loop: Header=BB4_3084 Depth=2
	s_or_b32 exec_lo, exec_lo, s10
	s_delay_alu instid0(VALU_DEP_2) | instskip(NEXT) | instid1(VALU_DEP_2)
	v_lshrrev_b64 v[82:83], 21, v[100:101]
	v_cmp_gt_i32_e32 vcc_lo, 32, v19
	v_cmp_ne_u32_e64 s10, 0, v19
	s_delay_alu instid0(VALU_DEP_3) | instskip(NEXT) | instid1(VALU_DEP_1)
	v_dual_cndmask_b32 v101, 0, v83 :: v_dual_cndmask_b32 v100, 3, v82
	v_cmp_ne_u64_e32 vcc_lo, 0, v[100:101]
                                        ; implicit-def: $vgpr101
	s_or_b32 s10, s10, vcc_lo
	s_delay_alu instid0(SALU_CYCLE_1) | instskip(NEXT) | instid1(SALU_CYCLE_1)
	s_and_saveexec_b32 s44, s10
	s_xor_b32 s10, exec_lo, s44
; %bb.3954:                             ;   in Loop: Header=BB4_3084 Depth=2
	v_min_i32_e32 v19, 31, v19
	s_delay_alu instid0(VALU_DEP_1) | instskip(NEXT) | instid1(VALU_DEP_1)
	v_lshl_or_b32 v17, v19, 2, v17
	v_and_or_b32 v101, v100, 3, v17
                                        ; implicit-def: $vgpr17
; %bb.3955:                             ;   in Loop: Header=BB4_3084 Depth=2
	s_and_not1_saveexec_b32 s10, s10
; %bb.3956:                             ;   in Loop: Header=BB4_3084 Depth=2
	v_mov_b32_e32 v101, v17
; %bb.3957:                             ;   in Loop: Header=BB4_3084 Depth=2
	s_or_b32 exec_lo, exec_lo, s10
.LBB4_3958:                             ;   in Loop: Header=BB4_3084 Depth=2
	s_delay_alu instid0(SALU_CYCLE_1)
	s_or_b32 exec_lo, exec_lo, s43
                                        ; implicit-def: $vgpr17
.LBB4_3959:                             ;   in Loop: Header=BB4_3084 Depth=2
	s_and_not1_saveexec_b32 s10, s42
; %bb.3960:                             ;   in Loop: Header=BB4_3084 Depth=2
	v_or_b32_e32 v101, 0x7b, v17
; %bb.3961:                             ;   in Loop: Header=BB4_3084 Depth=2
	s_or_b32 exec_lo, exec_lo, s10
                                        ; implicit-def: $vgpr19
.LBB4_3962:                             ;   in Loop: Header=BB4_3084 Depth=2
	s_and_not1_saveexec_b32 s10, s15
	s_cbranch_execz .LBB4_3968
; %bb.3963:                             ;   in Loop: Header=BB4_3084 Depth=2
	s_mov_b32 s15, exec_lo
                                        ; implicit-def: $vgpr101
	v_cmpx_ne_u64_e32 0, v[54:55]
	s_xor_b32 s15, exec_lo, s15
; %bb.3964:                             ;   in Loop: Header=BB4_3084 Depth=2
	v_lshrrev_b32_e32 v17, 24, v19
                                        ; implicit-def: $vgpr19
	s_delay_alu instid0(VALU_DEP_1)
	v_or_b32_e32 v101, 0x7f, v17
; %bb.3965:                             ;   in Loop: Header=BB4_3084 Depth=2
	s_and_not1_saveexec_b32 s15, s15
; %bb.3966:                             ;   in Loop: Header=BB4_3084 Depth=2
	v_cmp_lt_i32_e32 vcc_lo, -1, v19
	v_cndmask_b32_e64 v101, -4, 0x7c, vcc_lo
; %bb.3967:                             ;   in Loop: Header=BB4_3084 Depth=2
	s_or_b32 exec_lo, exec_lo, s15
.LBB4_3968:                             ;   in Loop: Header=BB4_3084 Depth=2
	s_delay_alu instid0(SALU_CYCLE_1)
	s_or_b32 exec_lo, exec_lo, s10
	v_and_b32_e32 v17, 0xff, v98
	v_cmp_ne_u16_e64 s10, 0, v98
	s_and_not1_b32 vcc_lo, exec_lo, s14
	s_mov_b32 s15, -1
                                        ; implicit-def: $vgpr19
	s_cbranch_vccnz .LBB4_3990
; %bb.3969:                             ;   in Loop: Header=BB4_3084 Depth=2
	v_dual_mov_b32 v21, 0 :: v_dual_mov_b32 v19, 0
	s_and_saveexec_b32 s15, s10
	s_cbranch_execz .LBB4_3979
; %bb.3970:                             ;   in Loop: Header=BB4_3084 Depth=2
	v_bfrev_b32_e32 v19, 1
	s_mov_b32 s42, exec_lo
	v_cmpx_ne_u16_e32 0xff80, v98
	s_cbranch_execz .LBB4_3978
; %bb.3971:                             ;   in Loop: Header=BB4_3084 Depth=2
	v_and_b32_e32 v19, 0x7c, v17
	v_and_b32_e32 v23, 3, v17
	s_delay_alu instid0(VALU_DEP_2) | instskip(SKIP_1) | instid1(SALU_CYCLE_1)
	v_cmp_ne_u32_e32 vcc_lo, 0x7c, v19
                                        ; implicit-def: $vgpr19
	s_and_saveexec_b32 s43, vcc_lo
	s_xor_b32 s43, exec_lo, s43
	s_cbranch_execz .LBB4_3975
; %bb.3972:                             ;   in Loop: Header=BB4_3084 Depth=2
	v_bfe_u32 v19, v17, 2, 5
	s_mov_b32 s44, exec_lo
	s_delay_alu instid0(VALU_DEP_1)
	v_cmpx_eq_u32_e32 0, v19
	s_cbranch_execz .LBB4_3974
; %bb.3973:                             ;   in Loop: Header=BB4_3084 Depth=2
	v_clz_i32_u32_e32 v19, v23
	s_delay_alu instid0(VALU_DEP_1) | instskip(SKIP_1) | instid1(VALU_DEP_2)
	v_min_u32_e32 v19, 32, v19
	v_mov_b32_e32 v99, v55
	v_subrev_nc_u32_e32 v23, 29, v19
	v_sub_nc_u32_e32 v19, 30, v19
	s_delay_alu instid0(VALU_DEP_2) | instskip(NEXT) | instid1(VALU_DEP_1)
	v_lshlrev_b64_e32 v[82:83], v23, v[98:99]
	v_and_b32_e32 v23, 3, v82
.LBB4_3974:                             ;   in Loop: Header=BB4_3084 Depth=2
	s_or_b32 exec_lo, exec_lo, s44
	v_bfe_i32 v25, v98, 0, 16
	s_delay_alu instid0(VALU_DEP_1) | instskip(NEXT) | instid1(VALU_DEP_1)
	v_and_b32_e32 v25, 0x80000000, v25
	v_lshl_add_u32 v19, v19, 23, v25
	s_delay_alu instid0(VALU_DEP_1) | instskip(NEXT) | instid1(VALU_DEP_1)
	v_lshl_or_b32 v19, v23, 21, v19
                                        ; implicit-def: $vgpr23
	v_add_nc_u32_e32 v19, 0x38000000, v19
.LBB4_3975:                             ;   in Loop: Header=BB4_3084 Depth=2
	s_and_not1_saveexec_b32 s43, s43
; %bb.3976:                             ;   in Loop: Header=BB4_3084 Depth=2
	v_cmp_lt_i16_e32 vcc_lo, -1, v98
	v_cndmask_b32_e32 v19, 0xff800000, v126, vcc_lo
	v_cmp_eq_u32_e32 vcc_lo, 0, v23
	s_delay_alu instid0(VALU_DEP_2)
	v_cndmask_b32_e32 v19, 0x7f800001, v19, vcc_lo
; %bb.3977:                             ;   in Loop: Header=BB4_3084 Depth=2
	s_or_b32 exec_lo, exec_lo, s43
.LBB4_3978:                             ;   in Loop: Header=BB4_3084 Depth=2
	s_delay_alu instid0(SALU_CYCLE_1)
	s_or_b32 exec_lo, exec_lo, s42
.LBB4_3979:                             ;   in Loop: Header=BB4_3084 Depth=2
	s_delay_alu instid0(SALU_CYCLE_1) | instskip(NEXT) | instid1(SALU_CYCLE_1)
	s_or_b32 exec_lo, exec_lo, s15
	s_mov_b32 s15, exec_lo
	s_wait_loadcnt_dscnt 0x202
	v_cmpx_ne_u16_e32 0, v24
	s_cbranch_execz .LBB4_3989
; %bb.3980:                             ;   in Loop: Header=BB4_3084 Depth=2
	v_bfrev_b32_e32 v21, 1
	s_mov_b32 s42, exec_lo
	v_cmpx_ne_u16_e32 0xff80, v24
	s_cbranch_execz .LBB4_3988
; %bb.3981:                             ;   in Loop: Header=BB4_3084 Depth=2
	v_and_b32_e32 v21, 0x7c, v24
	v_and_b32_e32 v23, 3, v24
	s_delay_alu instid0(VALU_DEP_2) | instskip(SKIP_1) | instid1(SALU_CYCLE_1)
	v_cmp_ne_u32_e32 vcc_lo, 0x7c, v21
                                        ; implicit-def: $vgpr21
	s_and_saveexec_b32 s43, vcc_lo
	s_xor_b32 s43, exec_lo, s43
	s_cbranch_execz .LBB4_3985
; %bb.3982:                             ;   in Loop: Header=BB4_3084 Depth=2
	v_and_b32_e32 v21, 0xff, v24
	s_mov_b32 s44, exec_lo
	s_delay_alu instid0(VALU_DEP_1) | instskip(NEXT) | instid1(VALU_DEP_1)
	v_bfe_u32 v21, v21, 2, 5
	v_cmpx_eq_u32_e32 0, v21
	s_cbranch_execz .LBB4_3984
; %bb.3983:                             ;   in Loop: Header=BB4_3084 Depth=2
	v_clz_i32_u32_e32 v21, v23
	s_delay_alu instid0(VALU_DEP_1) | instskip(SKIP_1) | instid1(VALU_DEP_2)
	v_min_u32_e32 v21, 32, v21
	v_mov_b32_e32 v25, v55
	v_subrev_nc_u32_e32 v23, 29, v21
	v_sub_nc_u32_e32 v21, 30, v21
	s_delay_alu instid0(VALU_DEP_2) | instskip(NEXT) | instid1(VALU_DEP_1)
	v_lshlrev_b64_e32 v[82:83], v23, v[24:25]
	v_and_b32_e32 v23, 3, v82
.LBB4_3984:                             ;   in Loop: Header=BB4_3084 Depth=2
	s_or_b32 exec_lo, exec_lo, s44
	v_bfe_i32 v25, v24, 0, 16
	s_delay_alu instid0(VALU_DEP_1) | instskip(NEXT) | instid1(VALU_DEP_1)
	v_and_b32_e32 v25, 0x80000000, v25
	v_lshl_add_u32 v21, v21, 23, v25
	s_delay_alu instid0(VALU_DEP_1) | instskip(NEXT) | instid1(VALU_DEP_1)
	v_lshl_or_b32 v21, v23, 21, v21
                                        ; implicit-def: $vgpr23
	v_add_nc_u32_e32 v21, 0x38000000, v21
.LBB4_3985:                             ;   in Loop: Header=BB4_3084 Depth=2
	s_and_not1_saveexec_b32 s43, s43
; %bb.3986:                             ;   in Loop: Header=BB4_3084 Depth=2
	v_cmp_lt_i16_e32 vcc_lo, -1, v24
	v_cndmask_b32_e32 v21, 0xff800000, v126, vcc_lo
	v_cmp_eq_u32_e32 vcc_lo, 0, v23
	s_delay_alu instid0(VALU_DEP_2)
	v_cndmask_b32_e32 v21, 0x7f800001, v21, vcc_lo
; %bb.3987:                             ;   in Loop: Header=BB4_3084 Depth=2
	s_or_b32 exec_lo, exec_lo, s43
.LBB4_3988:                             ;   in Loop: Header=BB4_3084 Depth=2
	s_delay_alu instid0(SALU_CYCLE_1)
	s_or_b32 exec_lo, exec_lo, s42
.LBB4_3989:                             ;   in Loop: Header=BB4_3084 Depth=2
	s_delay_alu instid0(SALU_CYCLE_1) | instskip(NEXT) | instid1(VALU_DEP_1)
	s_or_b32 exec_lo, exec_lo, s15
	v_dual_max_num_f32 v21, v21, v21 :: v_dual_max_num_f32 v19, v19, v19
	s_mov_b32 s15, 0
	s_delay_alu instid0(VALU_DEP_1)
	v_max_num_f32_e32 v19, v19, v21
.LBB4_3990:                             ;   in Loop: Header=BB4_3084 Depth=2
	s_and_b32 vcc_lo, exec_lo, s15
	s_cbranch_vccz .LBB4_4012
; %bb.3991:                             ;   in Loop: Header=BB4_3084 Depth=2
	v_dual_mov_b32 v21, 0 :: v_dual_mov_b32 v19, 0
	s_and_saveexec_b32 s15, s10
	s_cbranch_execz .LBB4_4001
; %bb.3992:                             ;   in Loop: Header=BB4_3084 Depth=2
	v_bfrev_b32_e32 v19, 1
	s_mov_b32 s10, exec_lo
	v_cmpx_ne_u16_e32 0xff80, v98
	s_cbranch_execz .LBB4_4000
; %bb.3993:                             ;   in Loop: Header=BB4_3084 Depth=2
	v_and_b32_e32 v19, 0x7c, v17
	v_and_b32_e32 v23, 3, v17
	s_delay_alu instid0(VALU_DEP_2) | instskip(SKIP_1) | instid1(SALU_CYCLE_1)
	v_cmp_ne_u32_e32 vcc_lo, 0x7c, v19
                                        ; implicit-def: $vgpr19
	s_and_saveexec_b32 s42, vcc_lo
	s_xor_b32 s42, exec_lo, s42
	s_cbranch_execz .LBB4_3997
; %bb.3994:                             ;   in Loop: Header=BB4_3084 Depth=2
	v_bfe_u32 v17, v17, 2, 5
	s_mov_b32 s43, exec_lo
	s_delay_alu instid0(VALU_DEP_1)
	v_cmpx_eq_u32_e32 0, v17
	s_cbranch_execz .LBB4_3996
; %bb.3995:                             ;   in Loop: Header=BB4_3084 Depth=2
	v_clz_i32_u32_e32 v17, v23
	s_delay_alu instid0(VALU_DEP_1) | instskip(SKIP_1) | instid1(VALU_DEP_2)
	v_min_u32_e32 v17, 32, v17
	v_mov_b32_e32 v99, v55
	v_subrev_nc_u32_e32 v19, 29, v17
	v_sub_nc_u32_e32 v17, 30, v17
	s_delay_alu instid0(VALU_DEP_2) | instskip(NEXT) | instid1(VALU_DEP_1)
	v_lshlrev_b64_e32 v[82:83], v19, v[98:99]
	v_and_b32_e32 v23, 3, v82
.LBB4_3996:                             ;   in Loop: Header=BB4_3084 Depth=2
	s_or_b32 exec_lo, exec_lo, s43
	v_bfe_i32 v19, v98, 0, 16
                                        ; implicit-def: $vgpr98
	s_delay_alu instid0(VALU_DEP_1) | instskip(NEXT) | instid1(VALU_DEP_1)
	v_and_b32_e32 v19, 0x80000000, v19
	v_lshl_add_u32 v17, v17, 23, v19
	s_delay_alu instid0(VALU_DEP_1) | instskip(NEXT) | instid1(VALU_DEP_1)
	v_lshl_or_b32 v17, v23, 21, v17
                                        ; implicit-def: $vgpr23
	v_add_nc_u32_e32 v19, 0x38000000, v17
.LBB4_3997:                             ;   in Loop: Header=BB4_3084 Depth=2
	s_and_not1_saveexec_b32 s42, s42
; %bb.3998:                             ;   in Loop: Header=BB4_3084 Depth=2
	v_cmp_lt_i16_e32 vcc_lo, -1, v98
	v_cndmask_b32_e32 v17, 0xff800000, v126, vcc_lo
	v_cmp_eq_u32_e32 vcc_lo, 0, v23
	s_delay_alu instid0(VALU_DEP_2)
	v_cndmask_b32_e32 v19, 0x7f800001, v17, vcc_lo
; %bb.3999:                             ;   in Loop: Header=BB4_3084 Depth=2
	s_or_b32 exec_lo, exec_lo, s42
.LBB4_4000:                             ;   in Loop: Header=BB4_3084 Depth=2
	s_delay_alu instid0(SALU_CYCLE_1)
	s_or_b32 exec_lo, exec_lo, s10
.LBB4_4001:                             ;   in Loop: Header=BB4_3084 Depth=2
	s_delay_alu instid0(SALU_CYCLE_1) | instskip(NEXT) | instid1(SALU_CYCLE_1)
	s_or_b32 exec_lo, exec_lo, s15
	s_mov_b32 s10, exec_lo
	s_wait_loadcnt_dscnt 0x202
	v_cmpx_ne_u16_e32 0, v24
	s_cbranch_execz .LBB4_4011
; %bb.4002:                             ;   in Loop: Header=BB4_3084 Depth=2
	v_bfrev_b32_e32 v21, 1
	s_mov_b32 s15, exec_lo
	v_cmpx_ne_u16_e32 0xff80, v24
	s_cbranch_execz .LBB4_4010
; %bb.4003:                             ;   in Loop: Header=BB4_3084 Depth=2
	v_and_b32_e32 v21, 0x7c, v24
	v_and_b32_e32 v17, 3, v24
	s_delay_alu instid0(VALU_DEP_2) | instskip(SKIP_1) | instid1(SALU_CYCLE_1)
	v_cmp_ne_u32_e32 vcc_lo, 0x7c, v21
                                        ; implicit-def: $vgpr21
	s_and_saveexec_b32 s42, vcc_lo
	s_xor_b32 s42, exec_lo, s42
	s_cbranch_execz .LBB4_4007
; %bb.4004:                             ;   in Loop: Header=BB4_3084 Depth=2
	v_and_b32_e32 v21, 0xff, v24
	s_mov_b32 s43, exec_lo
	s_delay_alu instid0(VALU_DEP_1) | instskip(NEXT) | instid1(VALU_DEP_1)
	v_bfe_u32 v21, v21, 2, 5
	v_cmpx_eq_u32_e32 0, v21
; %bb.4005:                             ;   in Loop: Header=BB4_3084 Depth=2
	v_clz_i32_u32_e32 v17, v17
	s_delay_alu instid0(VALU_DEP_1) | instskip(SKIP_1) | instid1(VALU_DEP_2)
	v_min_u32_e32 v17, 32, v17
	v_mov_b32_e32 v25, v55
	v_subrev_nc_u32_e32 v21, 29, v17
	s_delay_alu instid0(VALU_DEP_1) | instskip(NEXT) | instid1(VALU_DEP_1)
	v_lshlrev_b64_e32 v[82:83], v21, v[24:25]
	v_dual_sub_nc_u32 v21, 30, v17 :: v_dual_bitop2_b32 v17, 3, v82 bitop3:0x40
; %bb.4006:                             ;   in Loop: Header=BB4_3084 Depth=2
	s_or_b32 exec_lo, exec_lo, s43
	v_bfe_i32 v23, v24, 0, 16
                                        ; implicit-def: $vgpr24
	s_delay_alu instid0(VALU_DEP_1) | instskip(NEXT) | instid1(VALU_DEP_1)
	v_and_b32_e32 v23, 0x80000000, v23
	v_lshl_add_u32 v21, v21, 23, v23
	s_delay_alu instid0(VALU_DEP_1) | instskip(NEXT) | instid1(VALU_DEP_1)
	v_lshl_or_b32 v17, v17, 21, v21
	v_add_nc_u32_e32 v21, 0x38000000, v17
                                        ; implicit-def: $vgpr17
.LBB4_4007:                             ;   in Loop: Header=BB4_3084 Depth=2
	s_and_not1_saveexec_b32 s42, s42
; %bb.4008:                             ;   in Loop: Header=BB4_3084 Depth=2
	v_cmp_lt_i16_e32 vcc_lo, -1, v24
	v_cndmask_b32_e32 v21, 0xff800000, v126, vcc_lo
	v_cmp_eq_u32_e32 vcc_lo, 0, v17
	s_delay_alu instid0(VALU_DEP_2)
	v_cndmask_b32_e32 v21, 0x7f800001, v21, vcc_lo
; %bb.4009:                             ;   in Loop: Header=BB4_3084 Depth=2
	s_or_b32 exec_lo, exec_lo, s42
.LBB4_4010:                             ;   in Loop: Header=BB4_3084 Depth=2
	s_delay_alu instid0(SALU_CYCLE_1)
	s_or_b32 exec_lo, exec_lo, s15
.LBB4_4011:                             ;   in Loop: Header=BB4_3084 Depth=2
	s_delay_alu instid0(SALU_CYCLE_1) | instskip(NEXT) | instid1(VALU_DEP_1)
	s_or_b32 exec_lo, exec_lo, s10
	v_dual_max_num_f32 v17, v21, v21 :: v_dual_max_num_f32 v19, v19, v19
	s_delay_alu instid0(VALU_DEP_1)
	v_min_num_f32_e32 v19, v19, v17
.LBB4_4012:                             ;   in Loop: Header=BB4_3084 Depth=2
	s_wait_loadcnt_dscnt 0x202
	s_delay_alu instid0(VALU_DEP_1) | instskip(SKIP_2) | instid1(VALU_DEP_2)
	v_and_b32_e32 v24, 0x7f800000, v19
	v_mov_b32_e32 v25, v55
	v_and_b32_e32 v54, 0x7fffff, v19
	v_cmp_ne_u64_e32 vcc_lo, 0x7f800000, v[24:25]
                                        ; implicit-def: $vgpr25
	s_and_saveexec_b32 s10, vcc_lo
	s_delay_alu instid0(SALU_CYCLE_1)
	s_xor_b32 s15, exec_lo, s10
	s_cbranch_execz .LBB4_4030
; %bb.4013:                             ;   in Loop: Header=BB4_3084 Depth=2
	v_and_b32_e32 v24, 0x7fffffff, v19
	v_dual_mov_b32 v25, v55 :: v_dual_lshrrev_b32 v17, 24, v19
	s_delay_alu instid0(VALU_DEP_1) | instskip(NEXT) | instid1(VALU_DEP_2)
	v_cmp_gt_u64_e32 vcc_lo, 0x47600001, v[24:25]
	v_and_b32_e32 v17, 0x80, v17
                                        ; implicit-def: $vgpr25
	s_and_saveexec_b32 s10, vcc_lo
	s_delay_alu instid0(SALU_CYCLE_1)
	s_xor_b32 s42, exec_lo, s10
	s_cbranch_execz .LBB4_4027
; %bb.4014:                             ;   in Loop: Header=BB4_3084 Depth=2
	v_mov_b32_e32 v25, 0
	s_mov_b32 s43, exec_lo
	v_cmpx_ne_u32_e32 0, v19
	s_cbranch_execz .LBB4_4026
; %bb.4015:                             ;   in Loop: Header=BB4_3084 Depth=2
	v_bfe_u32 v19, v19, 23, 8
	v_or_b32_e32 v82, 0x800000, v54
	s_delay_alu instid0(VALU_DEP_2) | instskip(SKIP_1) | instid1(VALU_DEP_2)
	v_sub_nc_u32_e32 v21, 0x71, v19
	v_cmp_gt_u32_e32 vcc_lo, 0x72, v19
	v_cndmask_b32_e32 v21, 0, v21, vcc_lo
	v_cmp_eq_u32_e32 vcc_lo, 0, v19
	s_delay_alu instid0(VALU_DEP_2) | instskip(NEXT) | instid1(VALU_DEP_1)
	v_cndmask_b32_e64 v21, v21, 0x70, vcc_lo
	v_dual_cndmask_b32 v54, v82, v54 :: v_dual_add_nc_u32 v23, 21, v21
	s_delay_alu instid0(VALU_DEP_1) | instskip(SKIP_1) | instid1(VALU_DEP_1)
	v_lshlrev_b64_e64 v[24:25], v23, -1
	v_add_nc_u32_e32 v23, 20, v21
	v_lshlrev_b64_e64 v[82:83], v23, 1
	s_delay_alu instid0(VALU_DEP_3) | instskip(NEXT) | instid1(VALU_DEP_4)
	v_bfi_b32 v99, v25, 0, 0
	v_bfi_b32 v98, v24, 0, v54
	v_lshrrev_b64 v[24:25], v21, v[54:55]
	s_delay_alu instid0(VALU_DEP_2) | instskip(NEXT) | instid1(VALU_DEP_2)
	v_cmp_eq_u64_e64 s10, v[98:99], v[82:83]
	v_mov_b64_e32 v[98:99], v[24:25]
	s_and_saveexec_b32 s44, s10
; %bb.4016:                             ;   in Loop: Header=BB4_3084 Depth=2
	v_bfe_u32 v54, v24, 21, 1
	s_delay_alu instid0(VALU_DEP_1) | instskip(NEXT) | instid1(VALU_DEP_1)
	v_add_nc_u64_e32 v[82:83], v[24:25], v[54:55]
	v_add_nc_u64_e32 v[98:99], -1, v[82:83]
; %bb.4017:                             ;   in Loop: Header=BB4_3084 Depth=2
	s_or_b32 exec_lo, exec_lo, s44
	v_add_nc_u32_e32 v19, 0xffffff81, v19
	v_lshrrev_b32_e32 v23, 23, v24
	s_mov_b32 s10, exec_lo
	s_delay_alu instid0(VALU_DEP_2) | instskip(NEXT) | instid1(VALU_DEP_1)
	v_cndmask_b32_e64 v19, v19, 0xffffff82, vcc_lo
	v_add3_u32 v21, v21, v19, v23
	v_and_b32_e32 v19, 0x1fffff, v98
	s_delay_alu instid0(VALU_DEP_1) | instskip(NEXT) | instid1(VALU_DEP_1)
	v_dual_add_nc_u32 v23, 14, v21 :: v_dual_add_nc_u32 v54, v19, v24
                                        ; implicit-def: $vgpr24_vgpr25
                                        ; implicit-def: $vgpr19
	v_cmpx_ne_u32_e32 0, v23
	s_xor_b32 s10, exec_lo, s10
; %bb.4018:                             ;   in Loop: Header=BB4_3084 Depth=2
	s_delay_alu instid0(VALU_DEP_2) | instskip(SKIP_2) | instid1(VALU_DEP_2)
	v_cmp_lt_u64_e32 vcc_lo, 0xffffff, v[54:55]
	v_add_nc_u32_e32 v19, 15, v21
	v_cndmask_b32_e64 v21, 0, 1, vcc_lo
	v_cndmask_b32_e32 v19, v23, v19, vcc_lo
	s_delay_alu instid0(VALU_DEP_2)
	v_lshrrev_b64 v[24:25], v21, v[54:55]
; %bb.4019:                             ;   in Loop: Header=BB4_3084 Depth=2
	s_and_not1_saveexec_b32 s10, s10
; %bb.4020:                             ;   in Loop: Header=BB4_3084 Depth=2
	v_mov_b64_e32 v[24:25], v[54:55]
	v_bfe_u32 v19, v54, 23, 1
; %bb.4021:                             ;   in Loop: Header=BB4_3084 Depth=2
	s_or_b32 exec_lo, exec_lo, s10
	s_delay_alu instid0(VALU_DEP_2) | instskip(NEXT) | instid1(VALU_DEP_2)
	v_lshrrev_b64 v[24:25], 21, v[24:25]
	v_cmp_gt_i32_e32 vcc_lo, 32, v19
	v_cmp_ne_u32_e64 s10, 0, v19
	s_delay_alu instid0(VALU_DEP_3) | instskip(NEXT) | instid1(VALU_DEP_1)
	v_dual_cndmask_b32 v25, 0, v25 :: v_dual_cndmask_b32 v24, 3, v24
	v_cmp_ne_u64_e32 vcc_lo, 0, v[24:25]
                                        ; implicit-def: $vgpr25
	s_or_b32 s10, s10, vcc_lo
	s_delay_alu instid0(SALU_CYCLE_1) | instskip(NEXT) | instid1(SALU_CYCLE_1)
	s_and_saveexec_b32 s44, s10
	s_xor_b32 s10, exec_lo, s44
; %bb.4022:                             ;   in Loop: Header=BB4_3084 Depth=2
	v_min_i32_e32 v19, 31, v19
	s_delay_alu instid0(VALU_DEP_1) | instskip(NEXT) | instid1(VALU_DEP_1)
	v_lshl_or_b32 v17, v19, 2, v17
	v_and_or_b32 v25, v24, 3, v17
                                        ; implicit-def: $vgpr17
; %bb.4023:                             ;   in Loop: Header=BB4_3084 Depth=2
	s_and_not1_saveexec_b32 s10, s10
; %bb.4024:                             ;   in Loop: Header=BB4_3084 Depth=2
	v_mov_b32_e32 v25, v17
; %bb.4025:                             ;   in Loop: Header=BB4_3084 Depth=2
	s_or_b32 exec_lo, exec_lo, s10
.LBB4_4026:                             ;   in Loop: Header=BB4_3084 Depth=2
	s_delay_alu instid0(SALU_CYCLE_1)
	s_or_b32 exec_lo, exec_lo, s43
                                        ; implicit-def: $vgpr17
.LBB4_4027:                             ;   in Loop: Header=BB4_3084 Depth=2
	s_and_not1_saveexec_b32 s10, s42
; %bb.4028:                             ;   in Loop: Header=BB4_3084 Depth=2
	v_or_b32_e32 v25, 0x7b, v17
; %bb.4029:                             ;   in Loop: Header=BB4_3084 Depth=2
	s_or_b32 exec_lo, exec_lo, s10
                                        ; implicit-def: $vgpr19
.LBB4_4030:                             ;   in Loop: Header=BB4_3084 Depth=2
	s_and_not1_saveexec_b32 s10, s15
	s_cbranch_execz .LBB4_4036
; %bb.4031:                             ;   in Loop: Header=BB4_3084 Depth=2
	s_mov_b32 s15, exec_lo
                                        ; implicit-def: $vgpr25
	v_cmpx_ne_u64_e32 0, v[54:55]
	s_xor_b32 s15, exec_lo, s15
; %bb.4032:                             ;   in Loop: Header=BB4_3084 Depth=2
	v_lshrrev_b32_e32 v17, 24, v19
                                        ; implicit-def: $vgpr19
	s_delay_alu instid0(VALU_DEP_1)
	v_or_b32_e32 v25, 0x7f, v17
; %bb.4033:                             ;   in Loop: Header=BB4_3084 Depth=2
	s_and_not1_saveexec_b32 s15, s15
; %bb.4034:                             ;   in Loop: Header=BB4_3084 Depth=2
	v_cmp_lt_i32_e32 vcc_lo, -1, v19
	v_cndmask_b32_e64 v25, -4, 0x7c, vcc_lo
; %bb.4035:                             ;   in Loop: Header=BB4_3084 Depth=2
	s_or_b32 exec_lo, exec_lo, s15
.LBB4_4036:                             ;   in Loop: Header=BB4_3084 Depth=2
	s_delay_alu instid0(SALU_CYCLE_1)
	s_or_b32 exec_lo, exec_lo, s10
	v_and_b32_e32 v17, 0xff, v22
	v_cmp_ne_u16_e64 s10, 0, v22
	s_and_not1_b32 vcc_lo, exec_lo, s14
	s_mov_b32 s15, -1
                                        ; implicit-def: $vgpr19
	s_cbranch_vccnz .LBB4_4058
; %bb.4037:                             ;   in Loop: Header=BB4_3084 Depth=2
	v_dual_mov_b32 v21, 0 :: v_dual_mov_b32 v19, 0
	s_and_saveexec_b32 s15, s10
	s_cbranch_execz .LBB4_4047
; %bb.4038:                             ;   in Loop: Header=BB4_3084 Depth=2
	v_bfrev_b32_e32 v19, 1
	s_mov_b32 s42, exec_lo
	v_cmpx_ne_u16_e32 0xff80, v22
	s_cbranch_execz .LBB4_4046
; %bb.4039:                             ;   in Loop: Header=BB4_3084 Depth=2
	v_and_b32_e32 v19, 0x7c, v17
	v_and_b32_e32 v23, 3, v17
	s_delay_alu instid0(VALU_DEP_2) | instskip(SKIP_1) | instid1(SALU_CYCLE_1)
	v_cmp_ne_u32_e32 vcc_lo, 0x7c, v19
                                        ; implicit-def: $vgpr19
	s_and_saveexec_b32 s43, vcc_lo
	s_xor_b32 s43, exec_lo, s43
	s_cbranch_execz .LBB4_4043
; %bb.4040:                             ;   in Loop: Header=BB4_3084 Depth=2
	v_bfe_u32 v19, v17, 2, 5
	s_mov_b32 s44, exec_lo
	s_delay_alu instid0(VALU_DEP_1)
	v_cmpx_eq_u32_e32 0, v19
	s_cbranch_execz .LBB4_4042
; %bb.4041:                             ;   in Loop: Header=BB4_3084 Depth=2
	v_clz_i32_u32_e32 v19, v23
	s_delay_alu instid0(VALU_DEP_1) | instskip(SKIP_1) | instid1(VALU_DEP_2)
	v_min_u32_e32 v19, 32, v19
	v_mov_b32_e32 v23, v55
	v_subrev_nc_u32_e32 v24, 29, v19
	v_sub_nc_u32_e32 v19, 30, v19
	s_delay_alu instid0(VALU_DEP_2) | instskip(NEXT) | instid1(VALU_DEP_1)
	v_lshlrev_b64_e32 v[82:83], v24, v[22:23]
	v_and_b32_e32 v23, 3, v82
.LBB4_4042:                             ;   in Loop: Header=BB4_3084 Depth=2
	s_or_b32 exec_lo, exec_lo, s44
	v_bfe_i32 v24, v22, 0, 16
	s_delay_alu instid0(VALU_DEP_1) | instskip(NEXT) | instid1(VALU_DEP_1)
	v_and_b32_e32 v24, 0x80000000, v24
	v_lshl_add_u32 v19, v19, 23, v24
	s_delay_alu instid0(VALU_DEP_1) | instskip(NEXT) | instid1(VALU_DEP_1)
	v_lshl_or_b32 v19, v23, 21, v19
                                        ; implicit-def: $vgpr23
	v_add_nc_u32_e32 v19, 0x38000000, v19
.LBB4_4043:                             ;   in Loop: Header=BB4_3084 Depth=2
	s_and_not1_saveexec_b32 s43, s43
; %bb.4044:                             ;   in Loop: Header=BB4_3084 Depth=2
	v_cmp_lt_i16_e32 vcc_lo, -1, v22
	v_cndmask_b32_e32 v19, 0xff800000, v126, vcc_lo
	v_cmp_eq_u32_e32 vcc_lo, 0, v23
	s_delay_alu instid0(VALU_DEP_2)
	v_cndmask_b32_e32 v19, 0x7f800001, v19, vcc_lo
; %bb.4045:                             ;   in Loop: Header=BB4_3084 Depth=2
	s_or_b32 exec_lo, exec_lo, s43
.LBB4_4046:                             ;   in Loop: Header=BB4_3084 Depth=2
	s_delay_alu instid0(SALU_CYCLE_1)
	s_or_b32 exec_lo, exec_lo, s42
.LBB4_4047:                             ;   in Loop: Header=BB4_3084 Depth=2
	s_delay_alu instid0(SALU_CYCLE_1) | instskip(NEXT) | instid1(SALU_CYCLE_1)
	s_or_b32 exec_lo, exec_lo, s15
	s_mov_b32 s15, exec_lo
	s_wait_loadcnt_dscnt 0x101
	v_cmpx_ne_u16_e32 0, v20
	s_cbranch_execz .LBB4_4057
; %bb.4048:                             ;   in Loop: Header=BB4_3084 Depth=2
	v_bfrev_b32_e32 v21, 1
	s_mov_b32 s42, exec_lo
	v_cmpx_ne_u16_e32 0xff80, v20
	s_cbranch_execz .LBB4_4056
; %bb.4049:                             ;   in Loop: Header=BB4_3084 Depth=2
	v_and_b32_e32 v21, 0x7c, v20
	v_and_b32_e32 v23, 3, v20
	s_delay_alu instid0(VALU_DEP_2) | instskip(SKIP_1) | instid1(SALU_CYCLE_1)
	v_cmp_ne_u32_e32 vcc_lo, 0x7c, v21
                                        ; implicit-def: $vgpr21
	s_and_saveexec_b32 s43, vcc_lo
	s_xor_b32 s43, exec_lo, s43
	s_cbranch_execz .LBB4_4053
; %bb.4050:                             ;   in Loop: Header=BB4_3084 Depth=2
	v_and_b32_e32 v21, 0xff, v20
	s_mov_b32 s44, exec_lo
	s_delay_alu instid0(VALU_DEP_1) | instskip(NEXT) | instid1(VALU_DEP_1)
	v_bfe_u32 v21, v21, 2, 5
	v_cmpx_eq_u32_e32 0, v21
; %bb.4051:                             ;   in Loop: Header=BB4_3084 Depth=2
	v_clz_i32_u32_e32 v21, v23
	s_delay_alu instid0(VALU_DEP_1) | instskip(SKIP_1) | instid1(VALU_DEP_2)
	v_min_u32_e32 v23, 32, v21
	v_mov_b32_e32 v21, v55
	v_subrev_nc_u32_e32 v24, 29, v23
	s_delay_alu instid0(VALU_DEP_1) | instskip(NEXT) | instid1(VALU_DEP_1)
	v_lshlrev_b64_e32 v[82:83], v24, v[20:21]
	v_dual_sub_nc_u32 v21, 30, v23 :: v_dual_bitop2_b32 v23, 3, v82 bitop3:0x40
; %bb.4052:                             ;   in Loop: Header=BB4_3084 Depth=2
	s_or_b32 exec_lo, exec_lo, s44
	v_bfe_i32 v24, v20, 0, 16
	s_delay_alu instid0(VALU_DEP_1) | instskip(NEXT) | instid1(VALU_DEP_1)
	v_and_b32_e32 v24, 0x80000000, v24
	v_lshl_add_u32 v21, v21, 23, v24
	s_delay_alu instid0(VALU_DEP_1) | instskip(NEXT) | instid1(VALU_DEP_1)
	v_lshl_or_b32 v21, v23, 21, v21
                                        ; implicit-def: $vgpr23
	v_add_nc_u32_e32 v21, 0x38000000, v21
.LBB4_4053:                             ;   in Loop: Header=BB4_3084 Depth=2
	s_and_not1_saveexec_b32 s43, s43
; %bb.4054:                             ;   in Loop: Header=BB4_3084 Depth=2
	v_cmp_lt_i16_e32 vcc_lo, -1, v20
	v_cndmask_b32_e32 v21, 0xff800000, v126, vcc_lo
	v_cmp_eq_u32_e32 vcc_lo, 0, v23
	s_delay_alu instid0(VALU_DEP_2)
	v_cndmask_b32_e32 v21, 0x7f800001, v21, vcc_lo
; %bb.4055:                             ;   in Loop: Header=BB4_3084 Depth=2
	s_or_b32 exec_lo, exec_lo, s43
.LBB4_4056:                             ;   in Loop: Header=BB4_3084 Depth=2
	s_delay_alu instid0(SALU_CYCLE_1)
	s_or_b32 exec_lo, exec_lo, s42
.LBB4_4057:                             ;   in Loop: Header=BB4_3084 Depth=2
	s_delay_alu instid0(SALU_CYCLE_1) | instskip(NEXT) | instid1(VALU_DEP_1)
	s_or_b32 exec_lo, exec_lo, s15
	v_dual_max_num_f32 v21, v21, v21 :: v_dual_max_num_f32 v19, v19, v19
	s_mov_b32 s15, 0
	s_delay_alu instid0(VALU_DEP_1)
	v_max_num_f32_e32 v19, v19, v21
.LBB4_4058:                             ;   in Loop: Header=BB4_3084 Depth=2
	s_and_b32 vcc_lo, exec_lo, s15
	s_cbranch_vccz .LBB4_4080
; %bb.4059:                             ;   in Loop: Header=BB4_3084 Depth=2
	v_dual_mov_b32 v21, 0 :: v_dual_mov_b32 v19, 0
	s_and_saveexec_b32 s15, s10
	s_cbranch_execz .LBB4_4069
; %bb.4060:                             ;   in Loop: Header=BB4_3084 Depth=2
	v_bfrev_b32_e32 v19, 1
	s_mov_b32 s10, exec_lo
	v_cmpx_ne_u16_e32 0xff80, v22
	s_cbranch_execz .LBB4_4068
; %bb.4061:                             ;   in Loop: Header=BB4_3084 Depth=2
	v_and_b32_e32 v19, 0x7c, v17
	v_and_b32_e32 v23, 3, v17
	s_delay_alu instid0(VALU_DEP_2) | instskip(SKIP_1) | instid1(SALU_CYCLE_1)
	v_cmp_ne_u32_e32 vcc_lo, 0x7c, v19
                                        ; implicit-def: $vgpr19
	s_and_saveexec_b32 s42, vcc_lo
	s_xor_b32 s42, exec_lo, s42
	s_cbranch_execz .LBB4_4065
; %bb.4062:                             ;   in Loop: Header=BB4_3084 Depth=2
	v_bfe_u32 v17, v17, 2, 5
	s_mov_b32 s43, exec_lo
	s_delay_alu instid0(VALU_DEP_1)
	v_cmpx_eq_u32_e32 0, v17
	s_cbranch_execz .LBB4_4064
; %bb.4063:                             ;   in Loop: Header=BB4_3084 Depth=2
	v_clz_i32_u32_e32 v17, v23
	s_delay_alu instid0(VALU_DEP_1) | instskip(SKIP_1) | instid1(VALU_DEP_2)
	v_min_u32_e32 v17, 32, v17
	v_mov_b32_e32 v23, v55
	v_subrev_nc_u32_e32 v19, 29, v17
	v_sub_nc_u32_e32 v17, 30, v17
	s_delay_alu instid0(VALU_DEP_2) | instskip(NEXT) | instid1(VALU_DEP_1)
	v_lshlrev_b64_e32 v[82:83], v19, v[22:23]
	v_and_b32_e32 v23, 3, v82
.LBB4_4064:                             ;   in Loop: Header=BB4_3084 Depth=2
	s_or_b32 exec_lo, exec_lo, s43
	v_bfe_i32 v19, v22, 0, 16
                                        ; implicit-def: $vgpr22
	s_delay_alu instid0(VALU_DEP_1) | instskip(NEXT) | instid1(VALU_DEP_1)
	v_and_b32_e32 v19, 0x80000000, v19
	v_lshl_add_u32 v17, v17, 23, v19
	s_delay_alu instid0(VALU_DEP_1) | instskip(NEXT) | instid1(VALU_DEP_1)
	v_lshl_or_b32 v17, v23, 21, v17
                                        ; implicit-def: $vgpr23
	v_add_nc_u32_e32 v19, 0x38000000, v17
.LBB4_4065:                             ;   in Loop: Header=BB4_3084 Depth=2
	s_and_not1_saveexec_b32 s42, s42
; %bb.4066:                             ;   in Loop: Header=BB4_3084 Depth=2
	v_cmp_lt_i16_e32 vcc_lo, -1, v22
	v_cndmask_b32_e32 v17, 0xff800000, v126, vcc_lo
	v_cmp_eq_u32_e32 vcc_lo, 0, v23
	s_delay_alu instid0(VALU_DEP_2)
	v_cndmask_b32_e32 v19, 0x7f800001, v17, vcc_lo
; %bb.4067:                             ;   in Loop: Header=BB4_3084 Depth=2
	s_or_b32 exec_lo, exec_lo, s42
.LBB4_4068:                             ;   in Loop: Header=BB4_3084 Depth=2
	s_delay_alu instid0(SALU_CYCLE_1)
	s_or_b32 exec_lo, exec_lo, s10
.LBB4_4069:                             ;   in Loop: Header=BB4_3084 Depth=2
	s_delay_alu instid0(SALU_CYCLE_1) | instskip(NEXT) | instid1(SALU_CYCLE_1)
	s_or_b32 exec_lo, exec_lo, s15
	s_mov_b32 s10, exec_lo
	s_wait_loadcnt_dscnt 0x101
	v_cmpx_ne_u16_e32 0, v20
	s_cbranch_execz .LBB4_4079
; %bb.4070:                             ;   in Loop: Header=BB4_3084 Depth=2
	v_bfrev_b32_e32 v21, 1
	s_mov_b32 s15, exec_lo
	v_cmpx_ne_u16_e32 0xff80, v20
	s_cbranch_execz .LBB4_4078
; %bb.4071:                             ;   in Loop: Header=BB4_3084 Depth=2
	v_and_b32_e32 v21, 0x7c, v20
	v_and_b32_e32 v17, 3, v20
	s_delay_alu instid0(VALU_DEP_2) | instskip(SKIP_1) | instid1(SALU_CYCLE_1)
	v_cmp_ne_u32_e32 vcc_lo, 0x7c, v21
                                        ; implicit-def: $vgpr21
	s_and_saveexec_b32 s42, vcc_lo
	s_xor_b32 s42, exec_lo, s42
	s_cbranch_execz .LBB4_4075
; %bb.4072:                             ;   in Loop: Header=BB4_3084 Depth=2
	v_and_b32_e32 v21, 0xff, v20
	s_mov_b32 s43, exec_lo
	s_delay_alu instid0(VALU_DEP_1) | instskip(NEXT) | instid1(VALU_DEP_1)
	v_bfe_u32 v21, v21, 2, 5
	v_cmpx_eq_u32_e32 0, v21
; %bb.4073:                             ;   in Loop: Header=BB4_3084 Depth=2
	v_clz_i32_u32_e32 v17, v17
	v_mov_b32_e32 v21, v55
	s_delay_alu instid0(VALU_DEP_2) | instskip(NEXT) | instid1(VALU_DEP_1)
	v_min_u32_e32 v17, 32, v17
	v_subrev_nc_u32_e32 v22, 29, v17
	s_delay_alu instid0(VALU_DEP_1) | instskip(NEXT) | instid1(VALU_DEP_1)
	v_lshlrev_b64_e32 v[22:23], v22, v[20:21]
	v_dual_sub_nc_u32 v21, 30, v17 :: v_dual_bitop2_b32 v17, 3, v22 bitop3:0x40
; %bb.4074:                             ;   in Loop: Header=BB4_3084 Depth=2
	s_or_b32 exec_lo, exec_lo, s43
	v_bfe_i32 v20, v20, 0, 16
	s_delay_alu instid0(VALU_DEP_1) | instskip(NEXT) | instid1(VALU_DEP_1)
	v_and_b32_e32 v20, 0x80000000, v20
	v_lshl_add_u32 v20, v21, 23, v20
	s_delay_alu instid0(VALU_DEP_1) | instskip(NEXT) | instid1(VALU_DEP_1)
	v_lshl_or_b32 v17, v17, 21, v20
                                        ; implicit-def: $vgpr20
	v_add_nc_u32_e32 v21, 0x38000000, v17
                                        ; implicit-def: $vgpr17
.LBB4_4075:                             ;   in Loop: Header=BB4_3084 Depth=2
	s_and_not1_saveexec_b32 s42, s42
; %bb.4076:                             ;   in Loop: Header=BB4_3084 Depth=2
	v_cmp_lt_i16_e32 vcc_lo, -1, v20
	v_cndmask_b32_e32 v20, 0xff800000, v126, vcc_lo
	v_cmp_eq_u32_e32 vcc_lo, 0, v17
	s_delay_alu instid0(VALU_DEP_2)
	v_cndmask_b32_e32 v21, 0x7f800001, v20, vcc_lo
; %bb.4077:                             ;   in Loop: Header=BB4_3084 Depth=2
	s_or_b32 exec_lo, exec_lo, s42
.LBB4_4078:                             ;   in Loop: Header=BB4_3084 Depth=2
	s_delay_alu instid0(SALU_CYCLE_1)
	s_or_b32 exec_lo, exec_lo, s15
.LBB4_4079:                             ;   in Loop: Header=BB4_3084 Depth=2
	s_delay_alu instid0(SALU_CYCLE_1) | instskip(NEXT) | instid1(VALU_DEP_1)
	s_or_b32 exec_lo, exec_lo, s10
	v_dual_max_num_f32 v17, v21, v21 :: v_dual_max_num_f32 v19, v19, v19
	s_delay_alu instid0(VALU_DEP_1)
	v_min_num_f32_e32 v19, v19, v17
.LBB4_4080:                             ;   in Loop: Header=BB4_3084 Depth=2
	s_wait_loadcnt_dscnt 0x101
	s_delay_alu instid0(VALU_DEP_1) | instskip(SKIP_2) | instid1(VALU_DEP_2)
	v_and_b32_e32 v20, 0x7f800000, v19
	v_mov_b32_e32 v21, v55
	v_and_b32_e32 v54, 0x7fffff, v19
	v_cmp_ne_u64_e32 vcc_lo, 0x7f800000, v[20:21]
                                        ; implicit-def: $vgpr21
	s_and_saveexec_b32 s10, vcc_lo
	s_delay_alu instid0(SALU_CYCLE_1)
	s_xor_b32 s15, exec_lo, s10
	s_cbranch_execz .LBB4_4098
; %bb.4081:                             ;   in Loop: Header=BB4_3084 Depth=2
	v_and_b32_e32 v20, 0x7fffffff, v19
	v_dual_mov_b32 v21, v55 :: v_dual_lshrrev_b32 v17, 24, v19
	s_delay_alu instid0(VALU_DEP_1) | instskip(NEXT) | instid1(VALU_DEP_2)
	v_cmp_gt_u64_e32 vcc_lo, 0x47600001, v[20:21]
	v_and_b32_e32 v17, 0x80, v17
                                        ; implicit-def: $vgpr21
	s_and_saveexec_b32 s10, vcc_lo
	s_delay_alu instid0(SALU_CYCLE_1)
	s_xor_b32 s42, exec_lo, s10
	s_cbranch_execz .LBB4_4095
; %bb.4082:                             ;   in Loop: Header=BB4_3084 Depth=2
	v_mov_b32_e32 v21, 0
	s_mov_b32 s43, exec_lo
	v_cmpx_ne_u32_e32 0, v19
	s_cbranch_execz .LBB4_4094
; %bb.4083:                             ;   in Loop: Header=BB4_3084 Depth=2
	v_bfe_u32 v19, v19, 23, 8
	v_or_b32_e32 v22, 0x800000, v54
	s_delay_alu instid0(VALU_DEP_2) | instskip(SKIP_1) | instid1(VALU_DEP_2)
	v_sub_nc_u32_e32 v20, 0x71, v19
	v_cmp_gt_u32_e32 vcc_lo, 0x72, v19
	v_cndmask_b32_e32 v20, 0, v20, vcc_lo
	v_cmp_eq_u32_e32 vcc_lo, 0, v19
	v_cndmask_b32_e32 v54, v22, v54, vcc_lo
	s_delay_alu instid0(VALU_DEP_3) | instskip(NEXT) | instid1(VALU_DEP_1)
	v_cndmask_b32_e64 v24, v20, 0x70, vcc_lo
	v_dual_add_nc_u32 v20, 21, v24 :: v_dual_add_nc_u32 v23, 20, v24
	s_delay_alu instid0(VALU_DEP_1) | instskip(NEXT) | instid1(VALU_DEP_2)
	v_lshlrev_b64_e64 v[20:21], v20, -1
	v_lshlrev_b64_e64 v[22:23], v23, 1
	s_delay_alu instid0(VALU_DEP_2) | instskip(NEXT) | instid1(VALU_DEP_3)
	v_bfi_b32 v83, v21, 0, 0
	v_bfi_b32 v82, v20, 0, v54
	v_lshrrev_b64 v[20:21], v24, v[54:55]
	s_delay_alu instid0(VALU_DEP_2) | instskip(NEXT) | instid1(VALU_DEP_2)
	v_cmp_eq_u64_e64 s10, v[82:83], v[22:23]
	v_mov_b64_e32 v[22:23], v[20:21]
	s_and_saveexec_b32 s44, s10
; %bb.4084:                             ;   in Loop: Header=BB4_3084 Depth=2
	v_bfe_u32 v54, v20, 21, 1
	s_delay_alu instid0(VALU_DEP_1) | instskip(NEXT) | instid1(VALU_DEP_1)
	v_add_nc_u64_e32 v[22:23], v[20:21], v[54:55]
	v_add_nc_u64_e32 v[22:23], -1, v[22:23]
; %bb.4085:                             ;   in Loop: Header=BB4_3084 Depth=2
	s_or_b32 exec_lo, exec_lo, s44
	v_add_nc_u32_e32 v19, 0xffffff81, v19
	v_lshrrev_b32_e32 v21, 23, v20
	s_mov_b32 s10, exec_lo
	s_delay_alu instid0(VALU_DEP_2) | instskip(NEXT) | instid1(VALU_DEP_1)
	v_cndmask_b32_e64 v19, v19, 0xffffff82, vcc_lo
	v_add3_u32 v23, v24, v19, v21
	v_and_b32_e32 v19, 0x1fffff, v22
	s_delay_alu instid0(VALU_DEP_1) | instskip(NEXT) | instid1(VALU_DEP_1)
	v_dual_add_nc_u32 v22, 14, v23 :: v_dual_add_nc_u32 v54, v19, v20
                                        ; implicit-def: $vgpr20_vgpr21
                                        ; implicit-def: $vgpr19
	v_cmpx_ne_u32_e32 0, v22
	s_xor_b32 s10, exec_lo, s10
; %bb.4086:                             ;   in Loop: Header=BB4_3084 Depth=2
	s_delay_alu instid0(VALU_DEP_2) | instskip(SKIP_2) | instid1(VALU_DEP_2)
	v_cmp_lt_u64_e32 vcc_lo, 0xffffff, v[54:55]
	v_add_nc_u32_e32 v19, 15, v23
	v_cndmask_b32_e64 v20, 0, 1, vcc_lo
	v_cndmask_b32_e32 v19, v22, v19, vcc_lo
	s_delay_alu instid0(VALU_DEP_2)
	v_lshrrev_b64 v[20:21], v20, v[54:55]
; %bb.4087:                             ;   in Loop: Header=BB4_3084 Depth=2
	s_and_not1_saveexec_b32 s10, s10
; %bb.4088:                             ;   in Loop: Header=BB4_3084 Depth=2
	v_mov_b64_e32 v[20:21], v[54:55]
	v_bfe_u32 v19, v54, 23, 1
; %bb.4089:                             ;   in Loop: Header=BB4_3084 Depth=2
	s_or_b32 exec_lo, exec_lo, s10
	s_delay_alu instid0(VALU_DEP_2) | instskip(NEXT) | instid1(VALU_DEP_2)
	v_lshrrev_b64 v[20:21], 21, v[20:21]
	v_cmp_gt_i32_e32 vcc_lo, 32, v19
	v_cmp_ne_u32_e64 s10, 0, v19
	s_delay_alu instid0(VALU_DEP_3) | instskip(NEXT) | instid1(VALU_DEP_1)
	v_dual_cndmask_b32 v21, 0, v21 :: v_dual_cndmask_b32 v20, 3, v20
	v_cmp_ne_u64_e32 vcc_lo, 0, v[20:21]
                                        ; implicit-def: $vgpr21
	s_or_b32 s10, s10, vcc_lo
	s_delay_alu instid0(SALU_CYCLE_1) | instskip(NEXT) | instid1(SALU_CYCLE_1)
	s_and_saveexec_b32 s44, s10
	s_xor_b32 s10, exec_lo, s44
; %bb.4090:                             ;   in Loop: Header=BB4_3084 Depth=2
	v_min_i32_e32 v19, 31, v19
	s_delay_alu instid0(VALU_DEP_1) | instskip(NEXT) | instid1(VALU_DEP_1)
	v_lshl_or_b32 v17, v19, 2, v17
	v_and_or_b32 v21, v20, 3, v17
                                        ; implicit-def: $vgpr17
; %bb.4091:                             ;   in Loop: Header=BB4_3084 Depth=2
	s_and_not1_saveexec_b32 s10, s10
; %bb.4092:                             ;   in Loop: Header=BB4_3084 Depth=2
	v_mov_b32_e32 v21, v17
; %bb.4093:                             ;   in Loop: Header=BB4_3084 Depth=2
	s_or_b32 exec_lo, exec_lo, s10
.LBB4_4094:                             ;   in Loop: Header=BB4_3084 Depth=2
	s_delay_alu instid0(SALU_CYCLE_1)
	s_or_b32 exec_lo, exec_lo, s43
                                        ; implicit-def: $vgpr17
.LBB4_4095:                             ;   in Loop: Header=BB4_3084 Depth=2
	s_and_not1_saveexec_b32 s10, s42
; %bb.4096:                             ;   in Loop: Header=BB4_3084 Depth=2
	v_or_b32_e32 v21, 0x7b, v17
; %bb.4097:                             ;   in Loop: Header=BB4_3084 Depth=2
	s_or_b32 exec_lo, exec_lo, s10
                                        ; implicit-def: $vgpr19
.LBB4_4098:                             ;   in Loop: Header=BB4_3084 Depth=2
	s_and_not1_saveexec_b32 s10, s15
	s_cbranch_execz .LBB4_4104
; %bb.4099:                             ;   in Loop: Header=BB4_3084 Depth=2
	s_mov_b32 s15, exec_lo
                                        ; implicit-def: $vgpr21
	v_cmpx_ne_u64_e32 0, v[54:55]
	s_xor_b32 s15, exec_lo, s15
; %bb.4100:                             ;   in Loop: Header=BB4_3084 Depth=2
	v_lshrrev_b32_e32 v17, 24, v19
                                        ; implicit-def: $vgpr19
	s_delay_alu instid0(VALU_DEP_1)
	v_or_b32_e32 v21, 0x7f, v17
; %bb.4101:                             ;   in Loop: Header=BB4_3084 Depth=2
	s_and_not1_saveexec_b32 s15, s15
; %bb.4102:                             ;   in Loop: Header=BB4_3084 Depth=2
	v_cmp_lt_i32_e32 vcc_lo, -1, v19
	v_cndmask_b32_e64 v21, -4, 0x7c, vcc_lo
; %bb.4103:                             ;   in Loop: Header=BB4_3084 Depth=2
	s_or_b32 exec_lo, exec_lo, s15
.LBB4_4104:                             ;   in Loop: Header=BB4_3084 Depth=2
	s_delay_alu instid0(SALU_CYCLE_1)
	s_or_b32 exec_lo, exec_lo, s10
	v_and_b32_e32 v20, 0xff, v18
	v_cmp_ne_u16_e64 s10, 0, v18
	s_and_not1_b32 vcc_lo, exec_lo, s14
	s_mov_b32 s15, -1
                                        ; implicit-def: $vgpr19
	s_cbranch_vccnz .LBB4_4126
; %bb.4105:                             ;   in Loop: Header=BB4_3084 Depth=2
	v_dual_mov_b32 v17, 0 :: v_dual_mov_b32 v19, 0
	s_and_saveexec_b32 s15, s10
	s_cbranch_execz .LBB4_4115
; %bb.4106:                             ;   in Loop: Header=BB4_3084 Depth=2
	v_bfrev_b32_e32 v19, 1
	s_mov_b32 s42, exec_lo
	v_cmpx_ne_u16_e32 0xff80, v18
	s_cbranch_execz .LBB4_4114
; %bb.4107:                             ;   in Loop: Header=BB4_3084 Depth=2
	v_and_b32_e32 v19, 0x7c, v20
	v_and_b32_e32 v22, 3, v20
	s_delay_alu instid0(VALU_DEP_2) | instskip(SKIP_1) | instid1(SALU_CYCLE_1)
	v_cmp_ne_u32_e32 vcc_lo, 0x7c, v19
                                        ; implicit-def: $vgpr19
	s_and_saveexec_b32 s43, vcc_lo
	s_xor_b32 s43, exec_lo, s43
	s_cbranch_execz .LBB4_4111
; %bb.4108:                             ;   in Loop: Header=BB4_3084 Depth=2
	v_bfe_u32 v19, v20, 2, 5
	s_mov_b32 s44, exec_lo
	s_delay_alu instid0(VALU_DEP_1)
	v_cmpx_eq_u32_e32 0, v19
; %bb.4109:                             ;   in Loop: Header=BB4_3084 Depth=2
	v_clz_i32_u32_e32 v19, v22
	s_delay_alu instid0(VALU_DEP_1) | instskip(SKIP_1) | instid1(VALU_DEP_2)
	v_min_u32_e32 v24, 32, v19
	v_mov_b32_e32 v19, v55
	v_subrev_nc_u32_e32 v22, 29, v24
	s_delay_alu instid0(VALU_DEP_1) | instskip(NEXT) | instid1(VALU_DEP_1)
	v_lshlrev_b64_e32 v[22:23], v22, v[18:19]
	v_dual_sub_nc_u32 v19, 30, v24 :: v_dual_bitop2_b32 v22, 3, v22 bitop3:0x40
; %bb.4110:                             ;   in Loop: Header=BB4_3084 Depth=2
	s_or_b32 exec_lo, exec_lo, s44
	v_bfe_i32 v23, v18, 0, 16
	s_delay_alu instid0(VALU_DEP_1) | instskip(NEXT) | instid1(VALU_DEP_1)
	v_and_b32_e32 v23, 0x80000000, v23
	v_lshl_add_u32 v19, v19, 23, v23
	s_delay_alu instid0(VALU_DEP_1) | instskip(NEXT) | instid1(VALU_DEP_1)
	v_lshl_or_b32 v19, v22, 21, v19
                                        ; implicit-def: $vgpr22
	v_add_nc_u32_e32 v19, 0x38000000, v19
.LBB4_4111:                             ;   in Loop: Header=BB4_3084 Depth=2
	s_and_not1_saveexec_b32 s43, s43
; %bb.4112:                             ;   in Loop: Header=BB4_3084 Depth=2
	v_cmp_lt_i16_e32 vcc_lo, -1, v18
	v_cndmask_b32_e32 v19, 0xff800000, v126, vcc_lo
	v_cmp_eq_u32_e32 vcc_lo, 0, v22
	s_delay_alu instid0(VALU_DEP_2)
	v_cndmask_b32_e32 v19, 0x7f800001, v19, vcc_lo
; %bb.4113:                             ;   in Loop: Header=BB4_3084 Depth=2
	s_or_b32 exec_lo, exec_lo, s43
.LBB4_4114:                             ;   in Loop: Header=BB4_3084 Depth=2
	s_delay_alu instid0(SALU_CYCLE_1)
	s_or_b32 exec_lo, exec_lo, s42
.LBB4_4115:                             ;   in Loop: Header=BB4_3084 Depth=2
	s_delay_alu instid0(SALU_CYCLE_1) | instskip(NEXT) | instid1(SALU_CYCLE_1)
	s_or_b32 exec_lo, exec_lo, s15
	s_mov_b32 s15, exec_lo
	s_wait_loadcnt_dscnt 0x0
	v_cmpx_ne_u16_e32 0, v16
	s_cbranch_execz .LBB4_4125
; %bb.4116:                             ;   in Loop: Header=BB4_3084 Depth=2
	v_bfrev_b32_e32 v17, 1
	s_mov_b32 s42, exec_lo
	v_cmpx_ne_u16_e32 0xff80, v16
	s_cbranch_execz .LBB4_4124
; %bb.4117:                             ;   in Loop: Header=BB4_3084 Depth=2
	v_and_b32_e32 v17, 0x7c, v16
	v_and_b32_e32 v22, 3, v16
	s_delay_alu instid0(VALU_DEP_2) | instskip(SKIP_1) | instid1(SALU_CYCLE_1)
	v_cmp_ne_u32_e32 vcc_lo, 0x7c, v17
                                        ; implicit-def: $vgpr17
	s_and_saveexec_b32 s43, vcc_lo
	s_xor_b32 s43, exec_lo, s43
	s_cbranch_execz .LBB4_4121
; %bb.4118:                             ;   in Loop: Header=BB4_3084 Depth=2
	v_and_b32_e32 v17, 0xff, v16
	s_mov_b32 s44, exec_lo
	s_delay_alu instid0(VALU_DEP_1) | instskip(NEXT) | instid1(VALU_DEP_1)
	v_bfe_u32 v17, v17, 2, 5
	v_cmpx_eq_u32_e32 0, v17
; %bb.4119:                             ;   in Loop: Header=BB4_3084 Depth=2
	v_clz_i32_u32_e32 v17, v22
	s_delay_alu instid0(VALU_DEP_1) | instskip(SKIP_1) | instid1(VALU_DEP_2)
	v_min_u32_e32 v24, 32, v17
	v_mov_b32_e32 v17, v55
	v_subrev_nc_u32_e32 v22, 29, v24
	s_delay_alu instid0(VALU_DEP_1) | instskip(NEXT) | instid1(VALU_DEP_1)
	v_lshlrev_b64_e32 v[22:23], v22, v[16:17]
	v_dual_sub_nc_u32 v17, 30, v24 :: v_dual_bitop2_b32 v22, 3, v22 bitop3:0x40
; %bb.4120:                             ;   in Loop: Header=BB4_3084 Depth=2
	s_or_b32 exec_lo, exec_lo, s44
	v_bfe_i32 v23, v16, 0, 16
	s_delay_alu instid0(VALU_DEP_1) | instskip(NEXT) | instid1(VALU_DEP_1)
	v_and_b32_e32 v23, 0x80000000, v23
	v_lshl_add_u32 v17, v17, 23, v23
	s_delay_alu instid0(VALU_DEP_1) | instskip(NEXT) | instid1(VALU_DEP_1)
	v_lshl_or_b32 v17, v22, 21, v17
                                        ; implicit-def: $vgpr22
	v_add_nc_u32_e32 v17, 0x38000000, v17
.LBB4_4121:                             ;   in Loop: Header=BB4_3084 Depth=2
	s_and_not1_saveexec_b32 s43, s43
; %bb.4122:                             ;   in Loop: Header=BB4_3084 Depth=2
	v_cmp_lt_i16_e32 vcc_lo, -1, v16
	v_cndmask_b32_e32 v17, 0xff800000, v126, vcc_lo
	v_cmp_eq_u32_e32 vcc_lo, 0, v22
	s_delay_alu instid0(VALU_DEP_2)
	v_cndmask_b32_e32 v17, 0x7f800001, v17, vcc_lo
; %bb.4123:                             ;   in Loop: Header=BB4_3084 Depth=2
	s_or_b32 exec_lo, exec_lo, s43
.LBB4_4124:                             ;   in Loop: Header=BB4_3084 Depth=2
	s_delay_alu instid0(SALU_CYCLE_1)
	s_or_b32 exec_lo, exec_lo, s42
.LBB4_4125:                             ;   in Loop: Header=BB4_3084 Depth=2
	s_delay_alu instid0(SALU_CYCLE_1) | instskip(NEXT) | instid1(VALU_DEP_1)
	s_or_b32 exec_lo, exec_lo, s15
	v_dual_max_num_f32 v17, v17, v17 :: v_dual_max_num_f32 v19, v19, v19
	s_mov_b32 s15, 0
	s_delay_alu instid0(VALU_DEP_1)
	v_max_num_f32_e32 v19, v19, v17
.LBB4_4126:                             ;   in Loop: Header=BB4_3084 Depth=2
	s_and_b32 vcc_lo, exec_lo, s15
	s_cbranch_vccz .LBB4_4148
; %bb.4127:                             ;   in Loop: Header=BB4_3084 Depth=2
	v_dual_mov_b32 v17, 0 :: v_dual_mov_b32 v19, 0
	s_and_saveexec_b32 s15, s10
	s_cbranch_execz .LBB4_4137
; %bb.4128:                             ;   in Loop: Header=BB4_3084 Depth=2
	v_bfrev_b32_e32 v19, 1
	s_mov_b32 s10, exec_lo
	v_cmpx_ne_u16_e32 0xff80, v18
	s_cbranch_execz .LBB4_4136
; %bb.4129:                             ;   in Loop: Header=BB4_3084 Depth=2
	v_and_b32_e32 v19, 0x7c, v20
	v_and_b32_e32 v22, 3, v20
	s_delay_alu instid0(VALU_DEP_2) | instskip(SKIP_1) | instid1(SALU_CYCLE_1)
	v_cmp_ne_u32_e32 vcc_lo, 0x7c, v19
                                        ; implicit-def: $vgpr19
	s_and_saveexec_b32 s42, vcc_lo
	s_xor_b32 s42, exec_lo, s42
	s_cbranch_execz .LBB4_4133
; %bb.4130:                             ;   in Loop: Header=BB4_3084 Depth=2
	v_bfe_u32 v19, v20, 2, 5
	s_mov_b32 s43, exec_lo
	s_delay_alu instid0(VALU_DEP_1)
	v_cmpx_eq_u32_e32 0, v19
; %bb.4131:                             ;   in Loop: Header=BB4_3084 Depth=2
	v_clz_i32_u32_e32 v19, v22
	s_delay_alu instid0(VALU_DEP_1) | instskip(SKIP_1) | instid1(VALU_DEP_2)
	v_min_u32_e32 v20, 32, v19
	v_mov_b32_e32 v19, v55
	v_subrev_nc_u32_e32 v22, 29, v20
	s_delay_alu instid0(VALU_DEP_1) | instskip(NEXT) | instid1(VALU_DEP_1)
	v_lshlrev_b64_e32 v[22:23], v22, v[18:19]
	v_dual_sub_nc_u32 v19, 30, v20 :: v_dual_bitop2_b32 v22, 3, v22 bitop3:0x40
; %bb.4132:                             ;   in Loop: Header=BB4_3084 Depth=2
	s_or_b32 exec_lo, exec_lo, s43
	v_bfe_i32 v18, v18, 0, 16
	s_delay_alu instid0(VALU_DEP_1) | instskip(NEXT) | instid1(VALU_DEP_1)
	v_and_b32_e32 v18, 0x80000000, v18
	v_lshl_add_u32 v18, v19, 23, v18
	s_delay_alu instid0(VALU_DEP_1) | instskip(NEXT) | instid1(VALU_DEP_1)
	v_lshl_or_b32 v18, v22, 21, v18
                                        ; implicit-def: $vgpr22
	v_add_nc_u32_e32 v19, 0x38000000, v18
                                        ; implicit-def: $vgpr18
.LBB4_4133:                             ;   in Loop: Header=BB4_3084 Depth=2
	s_and_not1_saveexec_b32 s42, s42
; %bb.4134:                             ;   in Loop: Header=BB4_3084 Depth=2
	v_cmp_lt_i16_e32 vcc_lo, -1, v18
	v_cndmask_b32_e32 v18, 0xff800000, v126, vcc_lo
	v_cmp_eq_u32_e32 vcc_lo, 0, v22
	s_delay_alu instid0(VALU_DEP_2)
	v_cndmask_b32_e32 v19, 0x7f800001, v18, vcc_lo
; %bb.4135:                             ;   in Loop: Header=BB4_3084 Depth=2
	s_or_b32 exec_lo, exec_lo, s42
.LBB4_4136:                             ;   in Loop: Header=BB4_3084 Depth=2
	s_delay_alu instid0(SALU_CYCLE_1)
	s_or_b32 exec_lo, exec_lo, s10
.LBB4_4137:                             ;   in Loop: Header=BB4_3084 Depth=2
	s_delay_alu instid0(SALU_CYCLE_1) | instskip(NEXT) | instid1(SALU_CYCLE_1)
	s_or_b32 exec_lo, exec_lo, s15
	s_mov_b32 s10, exec_lo
	s_wait_loadcnt_dscnt 0x0
	v_cmpx_ne_u16_e32 0, v16
	s_cbranch_execz .LBB4_4147
; %bb.4138:                             ;   in Loop: Header=BB4_3084 Depth=2
	v_bfrev_b32_e32 v17, 1
	s_mov_b32 s15, exec_lo
	v_cmpx_ne_u16_e32 0xff80, v16
	s_cbranch_execz .LBB4_4146
; %bb.4139:                             ;   in Loop: Header=BB4_3084 Depth=2
	v_and_b32_e32 v17, 0x7c, v16
	v_and_b32_e32 v18, 3, v16
	s_delay_alu instid0(VALU_DEP_2) | instskip(SKIP_1) | instid1(SALU_CYCLE_1)
	v_cmp_ne_u32_e32 vcc_lo, 0x7c, v17
                                        ; implicit-def: $vgpr17
	s_and_saveexec_b32 s42, vcc_lo
	s_xor_b32 s42, exec_lo, s42
	s_cbranch_execz .LBB4_4143
; %bb.4140:                             ;   in Loop: Header=BB4_3084 Depth=2
	v_and_b32_e32 v17, 0xff, v16
	s_mov_b32 s43, exec_lo
	s_delay_alu instid0(VALU_DEP_1) | instskip(NEXT) | instid1(VALU_DEP_1)
	v_bfe_u32 v17, v17, 2, 5
	v_cmpx_eq_u32_e32 0, v17
	s_cbranch_execz .LBB4_4142
; %bb.4141:                             ;   in Loop: Header=BB4_3084 Depth=2
	v_clz_i32_u32_e32 v17, v18
	s_delay_alu instid0(VALU_DEP_1) | instskip(SKIP_1) | instid1(VALU_DEP_2)
	v_min_u32_e32 v18, 32, v17
	v_mov_b32_e32 v17, v55
	v_subrev_nc_u32_e32 v20, 29, v18
	s_delay_alu instid0(VALU_DEP_1) | instskip(SKIP_1) | instid1(VALU_DEP_2)
	v_lshlrev_b64_e32 v[22:23], v20, v[16:17]
	v_sub_nc_u32_e32 v17, 30, v18
	v_and_b32_e32 v18, 3, v22
.LBB4_4142:                             ;   in Loop: Header=BB4_3084 Depth=2
	s_or_b32 exec_lo, exec_lo, s43
	v_bfe_i32 v16, v16, 0, 16
	s_delay_alu instid0(VALU_DEP_1) | instskip(NEXT) | instid1(VALU_DEP_1)
	v_and_b32_e32 v16, 0x80000000, v16
	v_lshl_add_u32 v16, v17, 23, v16
	s_delay_alu instid0(VALU_DEP_1) | instskip(NEXT) | instid1(VALU_DEP_1)
	v_lshl_or_b32 v16, v18, 21, v16
                                        ; implicit-def: $vgpr18
	v_add_nc_u32_e32 v17, 0x38000000, v16
                                        ; implicit-def: $vgpr16
.LBB4_4143:                             ;   in Loop: Header=BB4_3084 Depth=2
	s_and_not1_saveexec_b32 s42, s42
; %bb.4144:                             ;   in Loop: Header=BB4_3084 Depth=2
	v_cmp_lt_i16_e32 vcc_lo, -1, v16
	v_cndmask_b32_e32 v16, 0xff800000, v126, vcc_lo
	v_cmp_eq_u32_e32 vcc_lo, 0, v18
	s_delay_alu instid0(VALU_DEP_2)
	v_cndmask_b32_e32 v17, 0x7f800001, v16, vcc_lo
; %bb.4145:                             ;   in Loop: Header=BB4_3084 Depth=2
	s_or_b32 exec_lo, exec_lo, s42
.LBB4_4146:                             ;   in Loop: Header=BB4_3084 Depth=2
	s_delay_alu instid0(SALU_CYCLE_1)
	s_or_b32 exec_lo, exec_lo, s15
.LBB4_4147:                             ;   in Loop: Header=BB4_3084 Depth=2
	s_delay_alu instid0(SALU_CYCLE_1) | instskip(NEXT) | instid1(VALU_DEP_1)
	s_or_b32 exec_lo, exec_lo, s10
	v_dual_max_num_f32 v16, v17, v17 :: v_dual_max_num_f32 v17, v19, v19
	s_delay_alu instid0(VALU_DEP_1)
	v_min_num_f32_e32 v19, v17, v16
.LBB4_4148:                             ;   in Loop: Header=BB4_3084 Depth=2
	s_wait_loadcnt_dscnt 0x0
	s_delay_alu instid0(VALU_DEP_1) | instskip(SKIP_2) | instid1(VALU_DEP_2)
	v_and_b32_e32 v16, 0x7f800000, v19
	v_mov_b32_e32 v17, v55
	v_and_b32_e32 v54, 0x7fffff, v19
	v_cmp_ne_u64_e32 vcc_lo, 0x7f800000, v[16:17]
                                        ; implicit-def: $vgpr17
	s_and_saveexec_b32 s10, vcc_lo
	s_delay_alu instid0(SALU_CYCLE_1)
	s_xor_b32 s15, exec_lo, s10
	s_cbranch_execz .LBB4_4166
; %bb.4149:                             ;   in Loop: Header=BB4_3084 Depth=2
	v_and_b32_e32 v16, 0x7fffffff, v19
	v_dual_mov_b32 v17, v55 :: v_dual_lshrrev_b32 v18, 24, v19
	s_delay_alu instid0(VALU_DEP_1) | instskip(NEXT) | instid1(VALU_DEP_2)
	v_cmp_gt_u64_e32 vcc_lo, 0x47600001, v[16:17]
	v_and_b32_e32 v20, 0x80, v18
                                        ; implicit-def: $vgpr17
	s_and_saveexec_b32 s10, vcc_lo
	s_delay_alu instid0(SALU_CYCLE_1)
	s_xor_b32 s42, exec_lo, s10
	s_cbranch_execz .LBB4_4163
; %bb.4150:                             ;   in Loop: Header=BB4_3084 Depth=2
	v_mov_b32_e32 v17, 0
	s_mov_b32 s43, exec_lo
	v_cmpx_ne_u32_e32 0, v19
	s_cbranch_execz .LBB4_4162
; %bb.4151:                             ;   in Loop: Header=BB4_3084 Depth=2
	v_bfe_u32 v22, v19, 23, 8
	v_or_b32_e32 v18, 0x800000, v54
	s_delay_alu instid0(VALU_DEP_2) | instskip(SKIP_1) | instid1(VALU_DEP_2)
	v_sub_nc_u32_e32 v16, 0x71, v22
	v_cmp_gt_u32_e32 vcc_lo, 0x72, v22
	v_cndmask_b32_e32 v16, 0, v16, vcc_lo
	v_cmp_eq_u32_e32 vcc_lo, 0, v22
	s_delay_alu instid0(VALU_DEP_2) | instskip(NEXT) | instid1(VALU_DEP_1)
	v_cndmask_b32_e64 v23, v16, 0x70, vcc_lo
	v_dual_cndmask_b32 v54, v18, v54, vcc_lo :: v_dual_add_nc_u32 v16, 21, v23
	v_add_nc_u32_e32 v19, 20, v23
	s_delay_alu instid0(VALU_DEP_2) | instskip(NEXT) | instid1(VALU_DEP_2)
	v_lshlrev_b64_e64 v[16:17], v16, -1
	v_lshlrev_b64_e64 v[18:19], v19, 1
	s_delay_alu instid0(VALU_DEP_2) | instskip(NEXT) | instid1(VALU_DEP_3)
	v_bfi_b32 v83, v17, 0, 0
	v_bfi_b32 v82, v16, 0, v54
	v_lshrrev_b64 v[16:17], v23, v[54:55]
	s_delay_alu instid0(VALU_DEP_2) | instskip(NEXT) | instid1(VALU_DEP_2)
	v_cmp_eq_u64_e64 s10, v[82:83], v[18:19]
	v_mov_b64_e32 v[18:19], v[16:17]
	s_and_saveexec_b32 s44, s10
; %bb.4152:                             ;   in Loop: Header=BB4_3084 Depth=2
	v_bfe_u32 v54, v16, 21, 1
	s_delay_alu instid0(VALU_DEP_1) | instskip(NEXT) | instid1(VALU_DEP_1)
	v_add_nc_u64_e32 v[18:19], v[16:17], v[54:55]
	v_add_nc_u64_e32 v[18:19], -1, v[18:19]
; %bb.4153:                             ;   in Loop: Header=BB4_3084 Depth=2
	s_or_b32 exec_lo, exec_lo, s44
	v_add_nc_u32_e32 v17, 0xffffff81, v22
	v_lshrrev_b32_e32 v19, 23, v16
	s_mov_b32 s10, exec_lo
	s_delay_alu instid0(VALU_DEP_2) | instskip(NEXT) | instid1(VALU_DEP_1)
	v_cndmask_b32_e64 v17, v17, 0xffffff82, vcc_lo
	v_add3_u32 v19, v23, v17, v19
	v_and_b32_e32 v17, 0x1fffff, v18
                                        ; implicit-def: $vgpr18
	s_delay_alu instid0(VALU_DEP_1) | instskip(NEXT) | instid1(VALU_DEP_1)
	v_dual_add_nc_u32 v22, 14, v19 :: v_dual_add_nc_u32 v54, v17, v16
                                        ; implicit-def: $vgpr16_vgpr17
	v_cmpx_ne_u32_e32 0, v22
	s_xor_b32 s10, exec_lo, s10
; %bb.4154:                             ;   in Loop: Header=BB4_3084 Depth=2
	s_delay_alu instid0(VALU_DEP_2) | instskip(SKIP_1) | instid1(VALU_DEP_1)
	v_cmp_lt_u64_e32 vcc_lo, 0xffffff, v[54:55]
	v_add_nc_u32_e32 v16, 15, v19
	v_cndmask_b32_e32 v18, v22, v16, vcc_lo
	v_cndmask_b32_e64 v16, 0, 1, vcc_lo
	s_delay_alu instid0(VALU_DEP_1)
	v_lshrrev_b64 v[16:17], v16, v[54:55]
; %bb.4155:                             ;   in Loop: Header=BB4_3084 Depth=2
	s_and_not1_saveexec_b32 s10, s10
; %bb.4156:                             ;   in Loop: Header=BB4_3084 Depth=2
	v_mov_b64_e32 v[16:17], v[54:55]
	v_bfe_u32 v18, v54, 23, 1
; %bb.4157:                             ;   in Loop: Header=BB4_3084 Depth=2
	s_or_b32 exec_lo, exec_lo, s10
	s_delay_alu instid0(VALU_DEP_2) | instskip(NEXT) | instid1(VALU_DEP_2)
	v_lshrrev_b64 v[16:17], 21, v[16:17]
	v_cmp_gt_i32_e32 vcc_lo, 32, v18
	v_cmp_ne_u32_e64 s10, 0, v18
	s_delay_alu instid0(VALU_DEP_3) | instskip(NEXT) | instid1(VALU_DEP_1)
	v_dual_cndmask_b32 v17, 0, v17 :: v_dual_cndmask_b32 v16, 3, v16
	v_cmp_ne_u64_e32 vcc_lo, 0, v[16:17]
                                        ; implicit-def: $vgpr17
	s_or_b32 s10, s10, vcc_lo
	s_delay_alu instid0(SALU_CYCLE_1) | instskip(NEXT) | instid1(SALU_CYCLE_1)
	s_and_saveexec_b32 s44, s10
	s_xor_b32 s10, exec_lo, s44
; %bb.4158:                             ;   in Loop: Header=BB4_3084 Depth=2
	v_min_i32_e32 v17, 31, v18
	s_delay_alu instid0(VALU_DEP_1) | instskip(NEXT) | instid1(VALU_DEP_1)
	v_lshl_or_b32 v17, v17, 2, v20
                                        ; implicit-def: $vgpr20
	v_and_or_b32 v17, v16, 3, v17
; %bb.4159:                             ;   in Loop: Header=BB4_3084 Depth=2
	s_and_not1_saveexec_b32 s10, s10
; %bb.4160:                             ;   in Loop: Header=BB4_3084 Depth=2
	v_mov_b32_e32 v17, v20
; %bb.4161:                             ;   in Loop: Header=BB4_3084 Depth=2
	s_or_b32 exec_lo, exec_lo, s10
.LBB4_4162:                             ;   in Loop: Header=BB4_3084 Depth=2
	s_delay_alu instid0(SALU_CYCLE_1)
	s_or_b32 exec_lo, exec_lo, s43
                                        ; implicit-def: $vgpr20
.LBB4_4163:                             ;   in Loop: Header=BB4_3084 Depth=2
	s_and_not1_saveexec_b32 s10, s42
; %bb.4164:                             ;   in Loop: Header=BB4_3084 Depth=2
	v_or_b32_e32 v17, 0x7b, v20
; %bb.4165:                             ;   in Loop: Header=BB4_3084 Depth=2
	s_or_b32 exec_lo, exec_lo, s10
                                        ; implicit-def: $vgpr19
.LBB4_4166:                             ;   in Loop: Header=BB4_3084 Depth=2
	s_and_not1_saveexec_b32 s10, s15
	s_cbranch_execz .LBB4_3083
; %bb.4167:                             ;   in Loop: Header=BB4_3084 Depth=2
	s_mov_b32 s15, exec_lo
                                        ; implicit-def: $vgpr17
	v_cmpx_ne_u64_e32 0, v[54:55]
	s_xor_b32 s15, exec_lo, s15
; %bb.4168:                             ;   in Loop: Header=BB4_3084 Depth=2
	v_lshrrev_b32_e32 v16, 24, v19
                                        ; implicit-def: $vgpr19
	s_delay_alu instid0(VALU_DEP_1)
	v_or_b32_e32 v17, 0x7f, v16
; %bb.4169:                             ;   in Loop: Header=BB4_3084 Depth=2
	s_and_not1_saveexec_b32 s15, s15
	s_cbranch_execz .LBB4_3082
; %bb.4170:                             ;   in Loop: Header=BB4_3084 Depth=2
	v_cmp_lt_i32_e32 vcc_lo, -1, v19
	v_cndmask_b32_e64 v17, -4, 0x7c, vcc_lo
	s_branch .LBB4_3082
.LBB4_4171:                             ;   in Loop: Header=BB4_49 Depth=1
	s_or_b32 exec_lo, exec_lo, s12
	v_mov_b64_e32 v[78:79], 0
.LBB4_4172:                             ;   in Loop: Header=BB4_49 Depth=1
	s_or_b32 exec_lo, exec_lo, s11
	v_and_b32_e32 v10, 0xfffffe00, v87
	s_delay_alu instid0(VALU_DEP_1)
	v_cmp_ne_u32_e32 vcc_lo, v87, v10
	s_and_b32 exec_lo, exec_lo, vcc_lo
	s_cbranch_execz .LBB4_4244
; %bb.4173:                             ;   in Loop: Header=BB4_49 Depth=1
	v_dual_lshlrev_b32 v3, 5, v3 :: v_dual_lshlrev_b32 v11, 5, v97
	s_delay_alu instid0(VALU_DEP_1) | instskip(NEXT) | instid1(VALU_DEP_1)
	v_sub_nc_u32_e32 v0, v0, v3
	v_sub_nc_u32_e32 v3, v0, v11
	v_and_b32_e32 v0, 0x1ff, v87
	s_delay_alu instid0(VALU_DEP_1) | instskip(NEXT) | instid1(VALU_DEP_1)
	v_sub_nc_u32_e32 v0, v0, v3
	v_cmp_lt_i32_e32 vcc_lo, 0, v0
	s_and_b32 exec_lo, exec_lo, vcc_lo
	s_cbranch_execz .LBB4_4244
; %bb.4174:                             ;   in Loop: Header=BB4_49 Depth=1
	s_trap 2
	ds_load_b128 v[12:15], v0
	ds_load_b64 v[16:17], v0
	v_add3_u32 v18, v10, v30, v3
	s_bitcmp1_b32 s41, 0
	s_mov_b32 s14, 0
	s_cselect_b32 s15, -1, 0
	s_delay_alu instid0(VALU_DEP_1) | instskip(SKIP_1) | instid1(VALU_DEP_1)
	v_ashrrev_i32_e32 v19, 31, v18
	s_wait_dscnt 0x1
	v_add_nc_u64_e32 v[10:11], v[12:13], v[18:19]
	v_add_nc_u64_e32 v[12:13], v[14:15], v[18:19]
	s_wait_dscnt 0x0
	v_add_nc_u64_e32 v[14:15], v[16:17], v[18:19]
	s_branch .LBB4_4177
.LBB4_4175:                             ;   in Loop: Header=BB4_4177 Depth=2
	s_or_b32 exec_lo, exec_lo, s11
.LBB4_4176:                             ;   in Loop: Header=BB4_4177 Depth=2
	s_delay_alu instid0(SALU_CYCLE_1)
	s_or_b32 exec_lo, exec_lo, s10
	v_sub_nc_u32_e32 v0, v0, v80
	flat_store_b8 v[14:15], v17 th:TH_STORE_NT
	v_add_nc_u64_e32 v[10:11], v[10:11], v[80:81]
	v_add_nc_u64_e32 v[12:13], v[12:13], v[80:81]
	s_wait_xcnt 0x0
	v_add_nc_u64_e32 v[14:15], v[14:15], v[80:81]
	v_cmp_gt_i32_e32 vcc_lo, 1, v0
	s_or_b32 s14, vcc_lo, s14
	s_delay_alu instid0(SALU_CYCLE_1)
	s_and_not1_b32 exec_lo, exec_lo, s14
	s_cbranch_execz .LBB4_4244
.LBB4_4177:                             ;   Parent Loop BB4_49 Depth=1
                                        ; =>  This Inner Loop Header: Depth=2
	flat_load_u8 v3, v[10:11] th:TH_LOAD_NT
	flat_load_u8 v17, v[12:13] th:TH_LOAD_NT
	s_mov_b32 s41, -1
                                        ; implicit-def: $vgpr21
	s_wait_loadcnt_dscnt 0x101
	v_bfe_i32 v16, v3, 0, 8
	s_wait_loadcnt_dscnt 0x0
	v_bfe_i32 v18, v17, 0, 8
	v_lshlrev_b32_e32 v19, 24, v17
	v_cmp_ne_u16_e64 s11, 0, v17
	v_and_b32_e32 v54, 0xffff, v17
	v_cmp_ne_u16_e64 s10, 0x80, v17
	v_cmp_lt_i16_e32 vcc_lo, -1, v18
	v_and_b32_e32 v20, 0xffff, v3
	v_cmp_ne_u16_e64 s12, 0, v3
	v_and_or_b32 v3, 0x80000000, v19, s28
	v_cndmask_b32_e32 v19, 0xff800000, v126, vcc_lo
	s_and_b32 vcc_lo, exec_lo, s15
	s_cbranch_vccz .LBB4_4199
; %bb.4178:                             ;   in Loop: Header=BB4_4177 Depth=2
	v_dual_mov_b32 v21, 0 :: v_dual_mov_b32 v17, 0
	s_wait_xcnt 0x0
	s_and_saveexec_b32 s41, s12
	s_cbranch_execz .LBB4_4188
; %bb.4179:                             ;   in Loop: Header=BB4_4177 Depth=2
	v_bfrev_b32_e32 v17, 1
	s_mov_b32 s42, exec_lo
	v_cmpx_ne_u16_e32 0xff80, v16
	s_cbranch_execz .LBB4_4187
; %bb.4180:                             ;   in Loop: Header=BB4_4177 Depth=2
	v_and_b32_e32 v17, 0x7c, v20
	v_and_b32_e32 v22, 3, v20
	s_delay_alu instid0(VALU_DEP_2) | instskip(SKIP_1) | instid1(SALU_CYCLE_1)
	v_cmp_ne_u32_e32 vcc_lo, 0x7c, v17
                                        ; implicit-def: $vgpr17
	s_and_saveexec_b32 s43, vcc_lo
	s_xor_b32 s43, exec_lo, s43
	s_cbranch_execz .LBB4_4184
; %bb.4181:                             ;   in Loop: Header=BB4_4177 Depth=2
	v_bfe_u32 v17, v20, 2, 5
	s_mov_b32 s44, exec_lo
	s_delay_alu instid0(VALU_DEP_1)
	v_cmpx_eq_u32_e32 0, v17
; %bb.4182:                             ;   in Loop: Header=BB4_4177 Depth=2
	v_clz_i32_u32_e32 v17, v22
	s_delay_alu instid0(VALU_DEP_1) | instskip(SKIP_1) | instid1(VALU_DEP_2)
	v_min_u32_e32 v24, 32, v17
	v_mov_b32_e32 v17, v55
	v_subrev_nc_u32_e32 v22, 29, v24
	s_delay_alu instid0(VALU_DEP_1) | instskip(NEXT) | instid1(VALU_DEP_1)
	v_lshlrev_b64_e32 v[22:23], v22, v[16:17]
	v_dual_sub_nc_u32 v17, 30, v24 :: v_dual_bitop2_b32 v22, 3, v22 bitop3:0x40
; %bb.4183:                             ;   in Loop: Header=BB4_4177 Depth=2
	s_or_b32 exec_lo, exec_lo, s44
	v_bfe_i32 v23, v16, 0, 16
	s_delay_alu instid0(VALU_DEP_1) | instskip(NEXT) | instid1(VALU_DEP_1)
	v_and_b32_e32 v23, 0x80000000, v23
	v_lshl_add_u32 v17, v17, 23, v23
	s_delay_alu instid0(VALU_DEP_1) | instskip(NEXT) | instid1(VALU_DEP_1)
	v_lshl_or_b32 v17, v22, 21, v17
                                        ; implicit-def: $vgpr22
	v_add_nc_u32_e32 v17, 0x38000000, v17
.LBB4_4184:                             ;   in Loop: Header=BB4_4177 Depth=2
	s_and_not1_saveexec_b32 s43, s43
; %bb.4185:                             ;   in Loop: Header=BB4_4177 Depth=2
	v_cmp_lt_i16_e32 vcc_lo, -1, v16
	v_cndmask_b32_e32 v17, 0xff800000, v126, vcc_lo
	v_cmp_eq_u32_e32 vcc_lo, 0, v22
	s_delay_alu instid0(VALU_DEP_2)
	v_cndmask_b32_e32 v17, 0x7f800001, v17, vcc_lo
; %bb.4186:                             ;   in Loop: Header=BB4_4177 Depth=2
	s_or_b32 exec_lo, exec_lo, s43
.LBB4_4187:                             ;   in Loop: Header=BB4_4177 Depth=2
	s_delay_alu instid0(SALU_CYCLE_1)
	s_or_b32 exec_lo, exec_lo, s42
.LBB4_4188:                             ;   in Loop: Header=BB4_4177 Depth=2
	s_delay_alu instid0(SALU_CYCLE_1)
	s_or_b32 exec_lo, exec_lo, s41
	s_and_saveexec_b32 s41, s11
	s_cbranch_execz .LBB4_4198
; %bb.4189:                             ;   in Loop: Header=BB4_4177 Depth=2
	v_bfrev_b32_e32 v21, 1
	s_and_saveexec_b32 s42, s10
	s_cbranch_execz .LBB4_4197
; %bb.4190:                             ;   in Loop: Header=BB4_4177 Depth=2
	v_and_b32_e32 v21, 0x7c, v18
	v_and_b32_e32 v22, 3, v18
	s_delay_alu instid0(VALU_DEP_2) | instskip(SKIP_1) | instid1(SALU_CYCLE_1)
	v_cmp_ne_u32_e32 vcc_lo, 0x7c, v21
                                        ; implicit-def: $vgpr21
	s_and_saveexec_b32 s43, vcc_lo
	s_xor_b32 s43, exec_lo, s43
	s_cbranch_execz .LBB4_4194
; %bb.4191:                             ;   in Loop: Header=BB4_4177 Depth=2
	v_and_b32_e32 v21, 0xff, v18
	s_mov_b32 s44, exec_lo
	s_delay_alu instid0(VALU_DEP_1) | instskip(NEXT) | instid1(VALU_DEP_1)
	v_bfe_u32 v21, v21, 2, 5
	v_cmpx_eq_u32_e32 0, v21
; %bb.4192:                             ;   in Loop: Header=BB4_4177 Depth=2
	v_clz_i32_u32_e32 v21, v22
	s_delay_alu instid0(VALU_DEP_1) | instskip(NEXT) | instid1(VALU_DEP_1)
	v_min_u32_e32 v21, 32, v21
	v_subrev_nc_u32_e32 v22, 29, v21
	s_delay_alu instid0(VALU_DEP_1) | instskip(NEXT) | instid1(VALU_DEP_1)
	v_lshlrev_b64_e32 v[22:23], v22, v[54:55]
	v_dual_sub_nc_u32 v21, 30, v21 :: v_dual_bitop2_b32 v22, 3, v22 bitop3:0x40
; %bb.4193:                             ;   in Loop: Header=BB4_4177 Depth=2
	s_or_b32 exec_lo, exec_lo, s44
	s_delay_alu instid0(VALU_DEP_1) | instskip(NEXT) | instid1(VALU_DEP_1)
	v_lshl_add_u32 v21, v21, 23, v3
	v_lshl_or_b32 v21, v22, 21, v21
                                        ; implicit-def: $vgpr22
.LBB4_4194:                             ;   in Loop: Header=BB4_4177 Depth=2
	s_and_not1_saveexec_b32 s43, s43
; %bb.4195:                             ;   in Loop: Header=BB4_4177 Depth=2
	v_cmp_eq_u32_e32 vcc_lo, 0, v22
	v_cndmask_b32_e32 v21, 0x7f800001, v19, vcc_lo
; %bb.4196:                             ;   in Loop: Header=BB4_4177 Depth=2
	s_or_b32 exec_lo, exec_lo, s43
.LBB4_4197:                             ;   in Loop: Header=BB4_4177 Depth=2
	s_delay_alu instid0(SALU_CYCLE_1)
	s_or_b32 exec_lo, exec_lo, s42
.LBB4_4198:                             ;   in Loop: Header=BB4_4177 Depth=2
	s_delay_alu instid0(SALU_CYCLE_1) | instskip(NEXT) | instid1(VALU_DEP_1)
	s_or_b32 exec_lo, exec_lo, s41
	v_max_num_f32_e32 v21, v21, v21
	v_max_num_f32_e32 v17, v17, v17
	s_mov_b32 s41, 0
	s_delay_alu instid0(VALU_DEP_1)
	v_max_num_f32_e32 v21, v17, v21
.LBB4_4199:                             ;   in Loop: Header=BB4_4177 Depth=2
	s_and_b32 vcc_lo, exec_lo, s41
	s_cbranch_vccz .LBB4_4221
; %bb.4200:                             ;   in Loop: Header=BB4_4177 Depth=2
	v_dual_mov_b32 v21, 0 :: v_dual_mov_b32 v17, 0
	s_wait_xcnt 0x0
	s_and_saveexec_b32 s41, s12
	s_cbranch_execz .LBB4_4210
; %bb.4201:                             ;   in Loop: Header=BB4_4177 Depth=2
	v_bfrev_b32_e32 v17, 1
	s_mov_b32 s12, exec_lo
	v_cmpx_ne_u16_e32 0xff80, v16
	s_cbranch_execz .LBB4_4209
; %bb.4202:                             ;   in Loop: Header=BB4_4177 Depth=2
	v_and_b32_e32 v17, 0x7c, v20
	v_and_b32_e32 v22, 3, v20
	s_delay_alu instid0(VALU_DEP_2) | instskip(SKIP_1) | instid1(SALU_CYCLE_1)
	v_cmp_ne_u32_e32 vcc_lo, 0x7c, v17
                                        ; implicit-def: $vgpr17
	s_and_saveexec_b32 s42, vcc_lo
	s_xor_b32 s42, exec_lo, s42
	s_cbranch_execz .LBB4_4206
; %bb.4203:                             ;   in Loop: Header=BB4_4177 Depth=2
	v_bfe_u32 v17, v20, 2, 5
	s_mov_b32 s43, exec_lo
	s_delay_alu instid0(VALU_DEP_1)
	v_cmpx_eq_u32_e32 0, v17
; %bb.4204:                             ;   in Loop: Header=BB4_4177 Depth=2
	v_clz_i32_u32_e32 v17, v22
	s_delay_alu instid0(VALU_DEP_1) | instskip(SKIP_1) | instid1(VALU_DEP_2)
	v_min_u32_e32 v20, 32, v17
	v_mov_b32_e32 v17, v55
	v_subrev_nc_u32_e32 v22, 29, v20
	s_delay_alu instid0(VALU_DEP_1) | instskip(NEXT) | instid1(VALU_DEP_1)
	v_lshlrev_b64_e32 v[22:23], v22, v[16:17]
	v_dual_sub_nc_u32 v17, 30, v20 :: v_dual_bitop2_b32 v22, 3, v22 bitop3:0x40
; %bb.4205:                             ;   in Loop: Header=BB4_4177 Depth=2
	s_or_b32 exec_lo, exec_lo, s43
	v_bfe_i32 v16, v16, 0, 16
	s_delay_alu instid0(VALU_DEP_1) | instskip(NEXT) | instid1(VALU_DEP_1)
	v_and_b32_e32 v16, 0x80000000, v16
	v_lshl_add_u32 v16, v17, 23, v16
	s_delay_alu instid0(VALU_DEP_1) | instskip(NEXT) | instid1(VALU_DEP_1)
	v_lshl_or_b32 v16, v22, 21, v16
                                        ; implicit-def: $vgpr22
	v_add_nc_u32_e32 v17, 0x38000000, v16
                                        ; implicit-def: $vgpr16
.LBB4_4206:                             ;   in Loop: Header=BB4_4177 Depth=2
	s_and_not1_saveexec_b32 s42, s42
; %bb.4207:                             ;   in Loop: Header=BB4_4177 Depth=2
	v_cmp_lt_i16_e32 vcc_lo, -1, v16
	v_cndmask_b32_e32 v16, 0xff800000, v126, vcc_lo
	v_cmp_eq_u32_e32 vcc_lo, 0, v22
	s_delay_alu instid0(VALU_DEP_2)
	v_cndmask_b32_e32 v17, 0x7f800001, v16, vcc_lo
; %bb.4208:                             ;   in Loop: Header=BB4_4177 Depth=2
	s_or_b32 exec_lo, exec_lo, s42
.LBB4_4209:                             ;   in Loop: Header=BB4_4177 Depth=2
	s_delay_alu instid0(SALU_CYCLE_1)
	s_or_b32 exec_lo, exec_lo, s12
.LBB4_4210:                             ;   in Loop: Header=BB4_4177 Depth=2
	s_delay_alu instid0(SALU_CYCLE_1)
	s_or_b32 exec_lo, exec_lo, s41
	s_and_saveexec_b32 s12, s11
	s_cbranch_execz .LBB4_4220
; %bb.4211:                             ;   in Loop: Header=BB4_4177 Depth=2
	v_bfrev_b32_e32 v21, 1
	s_and_saveexec_b32 s11, s10
	s_cbranch_execz .LBB4_4219
; %bb.4212:                             ;   in Loop: Header=BB4_4177 Depth=2
	v_and_b32_e32 v20, 0x7c, v18
	v_and_b32_e32 v16, 3, v18
	s_mov_b32 s10, exec_lo
                                        ; implicit-def: $vgpr21
	s_delay_alu instid0(VALU_DEP_2)
	v_cmpx_ne_u32_e32 0x7c, v20
	s_xor_b32 s10, exec_lo, s10
	s_cbranch_execz .LBB4_4216
; %bb.4213:                             ;   in Loop: Header=BB4_4177 Depth=2
	v_and_b32_e32 v18, 0xff, v18
	s_mov_b32 s41, exec_lo
	s_delay_alu instid0(VALU_DEP_1) | instskip(NEXT) | instid1(VALU_DEP_1)
	v_bfe_u32 v18, v18, 2, 5
	v_cmpx_eq_u32_e32 0, v18
; %bb.4214:                             ;   in Loop: Header=BB4_4177 Depth=2
	v_clz_i32_u32_e32 v16, v16
	s_delay_alu instid0(VALU_DEP_1) | instskip(NEXT) | instid1(VALU_DEP_1)
	v_min_u32_e32 v16, 32, v16
	v_subrev_nc_u32_e32 v18, 29, v16
	s_delay_alu instid0(VALU_DEP_1) | instskip(SKIP_1) | instid1(VALU_DEP_2)
	v_lshlrev_b64_e32 v[20:21], v18, v[54:55]
	v_sub_nc_u32_e32 v18, 30, v16
	v_and_b32_e32 v16, 3, v20
; %bb.4215:                             ;   in Loop: Header=BB4_4177 Depth=2
	s_or_b32 exec_lo, exec_lo, s41
	s_delay_alu instid0(VALU_DEP_2) | instskip(NEXT) | instid1(VALU_DEP_1)
	v_lshl_add_u32 v3, v18, 23, v3
                                        ; implicit-def: $vgpr19
	v_lshl_or_b32 v21, v16, 21, v3
                                        ; implicit-def: $vgpr16
.LBB4_4216:                             ;   in Loop: Header=BB4_4177 Depth=2
	s_and_not1_saveexec_b32 s10, s10
; %bb.4217:                             ;   in Loop: Header=BB4_4177 Depth=2
	v_cmp_eq_u32_e32 vcc_lo, 0, v16
	v_cndmask_b32_e32 v21, 0x7f800001, v19, vcc_lo
; %bb.4218:                             ;   in Loop: Header=BB4_4177 Depth=2
	s_or_b32 exec_lo, exec_lo, s10
.LBB4_4219:                             ;   in Loop: Header=BB4_4177 Depth=2
	s_delay_alu instid0(SALU_CYCLE_1)
	s_or_b32 exec_lo, exec_lo, s11
.LBB4_4220:                             ;   in Loop: Header=BB4_4177 Depth=2
	s_delay_alu instid0(SALU_CYCLE_1) | instskip(NEXT) | instid1(VALU_DEP_1)
	s_or_b32 exec_lo, exec_lo, s12
	v_max_num_f32_e32 v3, v21, v21
	v_max_num_f32_e32 v16, v17, v17
	s_delay_alu instid0(VALU_DEP_1)
	v_min_num_f32_e32 v21, v16, v3
.LBB4_4221:                             ;   in Loop: Header=BB4_4177 Depth=2
	s_delay_alu instid0(VALU_DEP_1) | instskip(SKIP_2) | instid1(VALU_DEP_2)
	v_and_b32_e32 v16, 0x7f800000, v21
	v_mov_b32_e32 v17, v55
	v_and_b32_e32 v54, 0x7fffff, v21
	v_cmp_ne_u64_e32 vcc_lo, 0x7f800000, v[16:17]
                                        ; implicit-def: $vgpr17
	s_wait_xcnt 0x0
	s_and_saveexec_b32 s10, vcc_lo
	s_delay_alu instid0(SALU_CYCLE_1)
	s_xor_b32 s11, exec_lo, s10
	s_cbranch_execz .LBB4_4239
; %bb.4222:                             ;   in Loop: Header=BB4_4177 Depth=2
	v_and_b32_e32 v16, 0x7fffffff, v21
	v_dual_mov_b32 v17, v55 :: v_dual_lshrrev_b32 v3, 24, v21
	s_delay_alu instid0(VALU_DEP_1) | instskip(NEXT) | instid1(VALU_DEP_2)
	v_cmp_gt_u64_e32 vcc_lo, 0x47600001, v[16:17]
	v_and_b32_e32 v3, 0x80, v3
                                        ; implicit-def: $vgpr17
	s_and_saveexec_b32 s10, vcc_lo
	s_delay_alu instid0(SALU_CYCLE_1)
	s_xor_b32 s12, exec_lo, s10
	s_cbranch_execz .LBB4_4236
; %bb.4223:                             ;   in Loop: Header=BB4_4177 Depth=2
	v_mov_b32_e32 v17, 0
	s_mov_b32 s41, exec_lo
	v_cmpx_ne_u32_e32 0, v21
	s_cbranch_execz .LBB4_4235
; %bb.4224:                             ;   in Loop: Header=BB4_4177 Depth=2
	v_bfe_u32 v20, v21, 23, 8
	v_or_b32_e32 v18, 0x800000, v54
	s_delay_alu instid0(VALU_DEP_2) | instskip(SKIP_1) | instid1(VALU_DEP_2)
	v_sub_nc_u32_e32 v16, 0x71, v20
	v_cmp_gt_u32_e32 vcc_lo, 0x72, v20
	v_cndmask_b32_e32 v16, 0, v16, vcc_lo
	v_cmp_eq_u32_e32 vcc_lo, 0, v20
	s_delay_alu instid0(VALU_DEP_2) | instskip(NEXT) | instid1(VALU_DEP_1)
	v_cndmask_b32_e64 v21, v16, 0x70, vcc_lo
	v_dual_cndmask_b32 v54, v18, v54, vcc_lo :: v_dual_add_nc_u32 v16, 21, v21
	v_add_nc_u32_e32 v19, 20, v21
	s_delay_alu instid0(VALU_DEP_2) | instskip(NEXT) | instid1(VALU_DEP_2)
	v_lshlrev_b64_e64 v[16:17], v16, -1
	v_lshlrev_b64_e64 v[18:19], v19, 1
	s_delay_alu instid0(VALU_DEP_2) | instskip(NEXT) | instid1(VALU_DEP_3)
	v_bfi_b32 v23, v17, 0, 0
	v_bfi_b32 v22, v16, 0, v54
	v_lshrrev_b64 v[16:17], v21, v[54:55]
	s_delay_alu instid0(VALU_DEP_2) | instskip(NEXT) | instid1(VALU_DEP_2)
	v_cmp_eq_u64_e64 s10, v[22:23], v[18:19]
	v_mov_b64_e32 v[18:19], v[16:17]
	s_and_saveexec_b32 s42, s10
; %bb.4225:                             ;   in Loop: Header=BB4_4177 Depth=2
	v_bfe_u32 v54, v16, 21, 1
	s_delay_alu instid0(VALU_DEP_1) | instskip(NEXT) | instid1(VALU_DEP_1)
	v_add_nc_u64_e32 v[18:19], v[16:17], v[54:55]
	v_add_nc_u64_e32 v[18:19], -1, v[18:19]
; %bb.4226:                             ;   in Loop: Header=BB4_4177 Depth=2
	s_or_b32 exec_lo, exec_lo, s42
	v_add_nc_u32_e32 v17, 0xffffff81, v20
	v_lshrrev_b32_e32 v19, 23, v16
	s_mov_b32 s10, exec_lo
	s_delay_alu instid0(VALU_DEP_2) | instskip(NEXT) | instid1(VALU_DEP_1)
	v_cndmask_b32_e64 v17, v17, 0xffffff82, vcc_lo
	v_add3_u32 v19, v21, v17, v19
	v_and_b32_e32 v17, 0x1fffff, v18
                                        ; implicit-def: $vgpr18
	s_delay_alu instid0(VALU_DEP_1) | instskip(NEXT) | instid1(VALU_DEP_1)
	v_dual_add_nc_u32 v20, 14, v19 :: v_dual_add_nc_u32 v54, v17, v16
                                        ; implicit-def: $vgpr16_vgpr17
	v_cmpx_ne_u32_e32 0, v20
	s_xor_b32 s10, exec_lo, s10
; %bb.4227:                             ;   in Loop: Header=BB4_4177 Depth=2
	s_delay_alu instid0(VALU_DEP_2) | instskip(SKIP_1) | instid1(VALU_DEP_1)
	v_cmp_lt_u64_e32 vcc_lo, 0xffffff, v[54:55]
	v_add_nc_u32_e32 v16, 15, v19
	v_cndmask_b32_e32 v18, v20, v16, vcc_lo
	v_cndmask_b32_e64 v16, 0, 1, vcc_lo
	s_delay_alu instid0(VALU_DEP_1)
	v_lshrrev_b64 v[16:17], v16, v[54:55]
; %bb.4228:                             ;   in Loop: Header=BB4_4177 Depth=2
	s_and_not1_saveexec_b32 s10, s10
; %bb.4229:                             ;   in Loop: Header=BB4_4177 Depth=2
	v_mov_b64_e32 v[16:17], v[54:55]
	v_bfe_u32 v18, v54, 23, 1
; %bb.4230:                             ;   in Loop: Header=BB4_4177 Depth=2
	s_or_b32 exec_lo, exec_lo, s10
	s_delay_alu instid0(VALU_DEP_2) | instskip(NEXT) | instid1(VALU_DEP_2)
	v_lshrrev_b64 v[16:17], 21, v[16:17]
	v_cmp_gt_i32_e32 vcc_lo, 32, v18
	v_cmp_ne_u32_e64 s10, 0, v18
	s_delay_alu instid0(VALU_DEP_3) | instskip(NEXT) | instid1(VALU_DEP_1)
	v_dual_cndmask_b32 v17, 0, v17 :: v_dual_cndmask_b32 v16, 3, v16
	v_cmp_ne_u64_e32 vcc_lo, 0, v[16:17]
                                        ; implicit-def: $vgpr17
	s_or_b32 s10, s10, vcc_lo
	s_delay_alu instid0(SALU_CYCLE_1) | instskip(NEXT) | instid1(SALU_CYCLE_1)
	s_and_saveexec_b32 s42, s10
	s_xor_b32 s10, exec_lo, s42
; %bb.4231:                             ;   in Loop: Header=BB4_4177 Depth=2
	v_min_i32_e32 v17, 31, v18
	s_delay_alu instid0(VALU_DEP_1) | instskip(NEXT) | instid1(VALU_DEP_1)
	v_lshl_or_b32 v3, v17, 2, v3
	v_and_or_b32 v17, v16, 3, v3
                                        ; implicit-def: $vgpr3
; %bb.4232:                             ;   in Loop: Header=BB4_4177 Depth=2
	s_and_not1_saveexec_b32 s10, s10
; %bb.4233:                             ;   in Loop: Header=BB4_4177 Depth=2
	v_mov_b32_e32 v17, v3
; %bb.4234:                             ;   in Loop: Header=BB4_4177 Depth=2
	s_or_b32 exec_lo, exec_lo, s10
.LBB4_4235:                             ;   in Loop: Header=BB4_4177 Depth=2
	s_delay_alu instid0(SALU_CYCLE_1)
	s_or_b32 exec_lo, exec_lo, s41
                                        ; implicit-def: $vgpr3
.LBB4_4236:                             ;   in Loop: Header=BB4_4177 Depth=2
	s_and_not1_saveexec_b32 s10, s12
; %bb.4237:                             ;   in Loop: Header=BB4_4177 Depth=2
	v_or_b32_e32 v17, 0x7b, v3
; %bb.4238:                             ;   in Loop: Header=BB4_4177 Depth=2
	s_or_b32 exec_lo, exec_lo, s10
                                        ; implicit-def: $vgpr21
.LBB4_4239:                             ;   in Loop: Header=BB4_4177 Depth=2
	s_and_not1_saveexec_b32 s10, s11
	s_cbranch_execz .LBB4_4176
; %bb.4240:                             ;   in Loop: Header=BB4_4177 Depth=2
	s_mov_b32 s11, exec_lo
                                        ; implicit-def: $vgpr17
	v_cmpx_ne_u64_e32 0, v[54:55]
	s_xor_b32 s11, exec_lo, s11
; %bb.4241:                             ;   in Loop: Header=BB4_4177 Depth=2
	v_lshrrev_b32_e32 v3, 24, v21
                                        ; implicit-def: $vgpr21
	s_delay_alu instid0(VALU_DEP_1)
	v_or_b32_e32 v17, 0x7f, v3
; %bb.4242:                             ;   in Loop: Header=BB4_4177 Depth=2
	s_and_not1_saveexec_b32 s11, s11
	s_cbranch_execz .LBB4_4175
; %bb.4243:                             ;   in Loop: Header=BB4_4177 Depth=2
	v_cmp_lt_i32_e32 vcc_lo, -1, v21
	v_cndmask_b32_e64 v17, -4, 0x7c, vcc_lo
	s_branch .LBB4_4175
.LBB4_4244:                             ;   in Loop: Header=BB4_49 Depth=1
	s_or_b32 exec_lo, exec_lo, s13
	v_cmp_ne_u32_e64 s10, 0, v123
	s_and_saveexec_b32 s11, s2
	s_cbranch_execz .LBB4_4263
.LBB4_4245:                             ;   in Loop: Header=BB4_49 Depth=1
	s_and_saveexec_b32 s12, s3
	s_delay_alu instid0(SALU_CYCLE_1)
	s_xor_b32 s12, exec_lo, s12
	s_cbranch_execz .LBB4_4260
; %bb.4246:                             ;   in Loop: Header=BB4_49 Depth=1
	s_and_saveexec_b32 s13, s4
	s_cbranch_execz .LBB4_4259
; %bb.4247:                             ;   in Loop: Header=BB4_49 Depth=1
	s_mov_b32 s15, exec_lo
	s_mov_b32 s14, exec_lo
	v_mbcnt_lo_u32_b32 v0, s15, 0
	global_wb scope:SCOPE_DEV
	s_wait_storecnt 0x0
	s_wait_loadcnt_dscnt 0x0
	global_inv scope:SCOPE_DEV
	v_cmpx_eq_u32_e32 0, v0
	s_cbranch_execz .LBB4_4249
; %bb.4248:                             ;   in Loop: Header=BB4_49 Depth=1
	s_bcnt1_i32_b32 s15, s15
	s_delay_alu instid0(SALU_CYCLE_1)
	v_mov_b32_e32 v54, s15
	s_wait_loadcnt 0x0
	ds_add_u64 v0, v[54:55]
	s_trap 2
.LBB4_4249:                             ;   in Loop: Header=BB4_49 Depth=1
	s_or_b32 exec_lo, exec_lo, s14
	s_trap 2
	ds_load_b64 v[10:11], v0
	s_wait_dscnt 0x0
	v_add_nc_u64_e32 v[38:39], v[38:39], v[64:65]
	s_mov_b32 s14, exec_lo
	s_delay_alu instid0(VALU_DEP_1)
	v_cmpx_lt_u64_e64 v[10:11], v[38:39]
	s_cbranch_execz .LBB4_4258
; %bb.4250:                             ;   in Loop: Header=BB4_49 Depth=1
	s_mov_b32 s15, 0
	s_mov_b32 s43, 0
                                        ; implicit-def: $sgpr41
                                        ; implicit-def: $sgpr42
	s_branch .LBB4_4252
.LBB4_4251:                             ;   in Loop: Header=BB4_4252 Depth=2
	s_or_b32 exec_lo, exec_lo, s45
	s_delay_alu instid0(SALU_CYCLE_1) | instskip(NEXT) | instid1(SALU_CYCLE_1)
	s_and_b32 s44, exec_lo, s46
	s_or_b32 s15, s44, s15
	s_and_not1_b32 s41, s41, exec_lo
	s_and_b32 s44, s42, exec_lo
	s_delay_alu instid0(SALU_CYCLE_1)
	s_or_b32 s41, s41, s44
	s_and_not1_b32 exec_lo, exec_lo, s15
	s_cbranch_execz .LBB4_4256
.LBB4_4252:                             ;   Parent Loop BB4_49 Depth=1
                                        ; =>  This Inner Loop Header: Depth=2
	s_add_co_i32 s43, s43, 1
	s_delay_alu instid0(SALU_CYCLE_1) | instskip(SKIP_1) | instid1(SALU_CYCLE_1)
	s_cmp_lg_u32 s43, 0x2710
	s_cselect_b32 s44, -1, 0
	s_and_b32 vcc_lo, exec_lo, s44
	s_cbranch_vccz .LBB4_4254
; %bb.4253:                             ;   in Loop: Header=BB4_4252 Depth=2
	s_mov_b32 s46, -1
	s_or_b32 s42, s42, exec_lo
	s_and_saveexec_b32 s45, s44
	s_cbranch_execz .LBB4_4251
	s_branch .LBB4_4255
.LBB4_4254:                             ;   in Loop: Header=BB4_4252 Depth=2
	s_trap 2
	ds_load_b64 v[10:11], v0
	s_and_not1_b32 s44, s44, exec_lo
	s_mov_b32 s43, 0
	s_wait_loadcnt_dscnt 0x0
	flat_load_b32 v0, v[10:11] scope:SCOPE_SYS
	s_wait_loadcnt_dscnt 0x0
	global_inv scope:SCOPE_SYS
	v_cmp_eq_u32_e32 vcc_lo, 0, v0
	s_and_b32 s45, vcc_lo, exec_lo
	s_delay_alu instid0(SALU_CYCLE_1)
	s_or_b32 s44, s44, s45
	s_mov_b32 s46, -1
	s_or_b32 s42, s42, exec_lo
	s_and_saveexec_b32 s45, s44
	s_cbranch_execz .LBB4_4251
.LBB4_4255:                             ;   in Loop: Header=BB4_4252 Depth=2
	s_sleep 1
	s_trap 2
	ds_load_b64 v[10:11], v0
	s_wait_dscnt 0x0
	s_and_not1_b32 s42, s42, exec_lo
	v_cmp_ge_u64_e32 vcc_lo, v[10:11], v[38:39]
	s_or_not1_b32 s46, vcc_lo, exec_lo
	s_branch .LBB4_4251
.LBB4_4256:                             ;   in Loop: Header=BB4_49 Depth=1
	s_or_b32 exec_lo, exec_lo, s15
	s_and_saveexec_b32 s15, s41
	s_delay_alu instid0(SALU_CYCLE_1)
	s_xor_b32 s15, exec_lo, s15
	s_cbranch_execz .LBB4_4258
; %bb.4257:                             ;   in Loop: Header=BB4_49 Depth=1
	ds_store_b32 v0, v124
	s_trap 2
.LBB4_4258:                             ;   in Loop: Header=BB4_49 Depth=1
	s_or_b32 exec_lo, exec_lo, s14
	;;#ASMSTART
	s_wakeup
	;;#ASMEND
.LBB4_4259:                             ;   in Loop: Header=BB4_49 Depth=1
	s_or_b32 exec_lo, exec_lo, s13
.LBB4_4260:                             ;   in Loop: Header=BB4_49 Depth=1
	s_and_not1_saveexec_b32 s12, s12
	s_cbranch_execz .LBB4_4262
; %bb.4261:                             ;   in Loop: Header=BB4_49 Depth=1
	global_wb scope:SCOPE_DEV
	s_wait_storecnt 0x0
	s_wait_loadcnt_dscnt 0x0
	global_inv scope:SCOPE_DEV
	s_barrier_signal -1
	s_barrier_wait -1
.LBB4_4262:                             ;   in Loop: Header=BB4_49 Depth=1
	s_or_b32 exec_lo, exec_lo, s12
.LBB4_4263:                             ;   in Loop: Header=BB4_49 Depth=1
	s_delay_alu instid0(SALU_CYCLE_1) | instskip(SKIP_1) | instid1(VALU_DEP_1)
	s_or_b32 exec_lo, exec_lo, s11
	v_and_b32_e32 v0, 16, v120
	v_cmp_ne_u32_e32 vcc_lo, 0, v0
	s_and_b32 s11, vcc_lo, s10
	s_delay_alu instid0(SALU_CYCLE_1)
	s_and_saveexec_b32 s10, s11
	s_cbranch_execz .LBB4_4265
; %bb.4264:                             ;   in Loop: Header=BB4_49 Depth=1
	global_wb scope:SCOPE_SYS
	s_wait_storecnt 0x0
	s_wait_loadcnt_dscnt 0x0
	global_inv scope:SCOPE_SYS
.LBB4_4265:                             ;   in Loop: Header=BB4_49 Depth=1
	s_or_b32 exec_lo, exec_lo, s10
	v_cmp_ne_u32_e32 vcc_lo, 0, v0
	s_xor_b32 s10, s7, -1
	s_delay_alu instid0(SALU_CYCLE_1) | instskip(NEXT) | instid1(SALU_CYCLE_1)
	s_and_b32 s11, vcc_lo, s10
	s_and_saveexec_b32 s10, s11
	s_cbranch_execz .LBB4_4267
; %bb.4266:                             ;   in Loop: Header=BB4_49 Depth=1
	global_wb scope:SCOPE_SYS
	s_wait_storecnt 0x0
	s_wait_loadcnt_dscnt 0x0
	flat_store_b32 v[52:53], v124 scope:SCOPE_SYS
.LBB4_4267:                             ;   in Loop: Header=BB4_49 Depth=1
	s_wait_xcnt 0x0
	s_or_b32 exec_lo, exec_lo, s10
	v_and_b32_e32 v0, 48, v120
	s_mov_b32 s10, exec_lo
	s_delay_alu instid0(VALU_DEP_1)
	v_cmpx_ne_u32_e32 0, v0
	s_cbranch_execz .LBB4_4269
; %bb.4268:                             ;   in Loop: Header=BB4_49 Depth=1
	v_add_nc_u64_e32 v[8:9], 1, v[8:9]
	global_wb scope:SCOPE_SYS
	s_wait_storecnt 0x0
	s_wait_loadcnt_dscnt 0x0
	flat_store_b64 v[32:33], v[8:9] scope:SCOPE_SYS
.LBB4_4269:                             ;   in Loop: Header=BB4_49 Depth=1
	s_wait_xcnt 0x0
	s_or_b32 exec_lo, exec_lo, s10
	v_mov_b32_e32 v0, v96
.LBB4_4270:                             ;   in Loop: Header=BB4_49 Depth=1
	s_or_b32 exec_lo, exec_lo, s40
	s_and_saveexec_b32 s11, s29
	s_cbranch_execz .LBB4_48
; %bb.4271:                             ;   in Loop: Header=BB4_49 Depth=1
	s_delay_alu instid0(VALU_DEP_1) | instskip(SKIP_2) | instid1(VALU_DEP_2)
	v_sub_nc_u32_e32 v0, v86, v0
	v_and_b32_e32 v3, 12, v120
	s_mov_b32 s12, exec_lo
	v_min_i32_e32 v10, v96, v0
	s_delay_alu instid0(VALU_DEP_2)
	v_cmpx_ne_u32_e32 0, v3
	s_cbranch_execz .LBB4_4297
; %bb.4272:                             ;   in Loop: Header=BB4_49 Depth=1
	v_and_b32_e32 v54, 8, v120
	v_add_nc_u64_e32 v[12:13], 1, v[8:9]
	s_mov_b32 s13, exec_lo
	s_wait_loadcnt 0x0
	s_delay_alu instid0(VALU_DEP_2) | instskip(NEXT) | instid1(VALU_DEP_1)
	v_add_nc_u64_e32 v[14:15], v[48:49], v[54:55]
	v_cmpx_lt_u64_e64 v[14:15], v[12:13]
	s_cbranch_execz .LBB4_4284
; %bb.4273:                             ;   in Loop: Header=BB4_49 Depth=1
	v_and_b32_e32 v0, 64, v120
	s_mov_b32 s14, 0
	s_mov_b32 s41, 0
                                        ; implicit-def: $sgpr15
                                        ; implicit-def: $sgpr29
                                        ; implicit-def: $sgpr40
	s_delay_alu instid0(VALU_DEP_1)
	v_cmp_eq_u32_e32 vcc_lo, 0, v0
	s_branch .LBB4_4277
.LBB4_4274:                             ;   in Loop: Header=BB4_4277 Depth=2
	s_wait_loadcnt_dscnt 0x0
	v_add_nc_u64_e32 v[14:15], v[48:49], v[54:55]
	s_or_b32 s44, s44, exec_lo
	s_delay_alu instid0(VALU_DEP_1)
	v_cmp_ge_u64_e64 s10, v[14:15], v[12:13]
	s_or_not1_b32 s43, s10, exec_lo
.LBB4_4275:                             ;   in Loop: Header=BB4_4277 Depth=2
	s_or_b32 exec_lo, exec_lo, s46
	s_delay_alu instid0(SALU_CYCLE_1)
	s_and_not1_b32 s10, s40, exec_lo
	s_and_b32 s40, s44, exec_lo
	s_and_not1_b32 s29, s29, exec_lo
	s_and_b32 s43, s43, exec_lo
	s_or_b32 s40, s10, s40
	s_or_b32 s29, s29, s43
.LBB4_4276:                             ;   in Loop: Header=BB4_4277 Depth=2
	s_or_b32 exec_lo, exec_lo, s42
	s_delay_alu instid0(SALU_CYCLE_1) | instskip(NEXT) | instid1(SALU_CYCLE_1)
	s_and_b32 s10, exec_lo, s29
	s_or_b32 s14, s10, s14
	s_and_not1_b32 s10, s15, exec_lo
	s_and_b32 s15, s40, exec_lo
	s_delay_alu instid0(SALU_CYCLE_1)
	s_or_b32 s15, s10, s15
	s_and_not1_b32 exec_lo, exec_lo, s14
	s_cbranch_execz .LBB4_4281
.LBB4_4277:                             ;   Parent Loop BB4_49 Depth=1
                                        ; =>  This Inner Loop Header: Depth=2
	s_sleep 1
	s_wait_loadcnt_dscnt 0x0
	flat_load_b64 v[48:49], v[32:33] scope:SCOPE_SYS
	s_or_b32 s40, s40, exec_lo
	s_or_b32 s29, s29, exec_lo
                                        ; implicit-def: $vgpr0
	s_wait_xcnt 0x0
	s_and_saveexec_b32 s42, vcc_lo
	s_cbranch_execz .LBB4_4276
; %bb.4278:                             ;   in Loop: Header=BB4_4277 Depth=2
	s_cmp_lt_i32 s41, 0x270f
	s_mov_b32 s43, -1
	s_cselect_b32 s45, -1, 0
	s_cmp_gt_i32 s41, 0x270e
	s_cbranch_scc0 .LBB4_4280
; %bb.4279:                             ;   in Loop: Header=BB4_4277 Depth=2
	s_trap 2
	ds_load_b64 v[14:15], v0
	s_and_not1_b32 s41, s45, exec_lo
	s_mov_b32 s44, 0
	s_wait_storecnt 0x0
	s_wait_loadcnt_dscnt 0x0
	flat_load_b32 v0, v[14:15] scope:SCOPE_SYS
	s_wait_loadcnt_dscnt 0x0
	global_inv scope:SCOPE_SYS
	v_cmp_eq_u32_e64 s10, 0, v0
	s_and_b32 s10, s10, exec_lo
	s_delay_alu instid0(SALU_CYCLE_1)
	s_or_b32 s45, s41, s10
	s_mov_b32 s41, 0
	s_and_saveexec_b32 s46, s45
	s_cbranch_execz .LBB4_4275
	s_branch .LBB4_4274
.LBB4_4280:                             ;   in Loop: Header=BB4_4277 Depth=2
	s_add_co_i32 s41, s41, 1
	s_mov_b32 s44, -1
                                        ; implicit-def: $vgpr0
	s_and_saveexec_b32 s46, s45
	s_cbranch_execz .LBB4_4275
	s_branch .LBB4_4274
.LBB4_4281:                             ;   in Loop: Header=BB4_49 Depth=1
	s_or_b32 exec_lo, exec_lo, s14
	s_xor_b32 s10, s15, -1
	s_delay_alu instid0(SALU_CYCLE_1) | instskip(NEXT) | instid1(SALU_CYCLE_1)
	s_and_saveexec_b32 s14, s10
	s_xor_b32 s10, exec_lo, s14
	s_cbranch_execz .LBB4_4283
; %bb.4282:                             ;   in Loop: Header=BB4_49 Depth=1
	v_or_b32_e32 v120, 64, v120
	s_wait_storecnt 0x0
	s_wait_loadcnt_dscnt 0x0
	ds_store_b32 v0, v0
	s_trap 2
.LBB4_4283:                             ;   in Loop: Header=BB4_49 Depth=1
	s_or_b32 exec_lo, exec_lo, s10
.LBB4_4284:                             ;   in Loop: Header=BB4_49 Depth=1
	s_delay_alu instid0(SALU_CYCLE_1) | instskip(SKIP_4) | instid1(VALU_DEP_2)
	s_or_b32 exec_lo, exec_lo, s13
	v_and_b32_e32 v0, 0x108, v120
	v_and_b32_e32 v8, 7, v8
	s_mov_b32 s10, exec_lo
	;;#ASMSTART
	s_wakeup
	;;#ASMEND
	v_cmpx_ne_u32_e32 0x108, v0
	s_xor_b32 s10, exec_lo, s10
; %bb.4285:                             ;   in Loop: Header=BB4_49 Depth=1
	v_mov_b32_e32 v9, v55
; %bb.4286:                             ;   in Loop: Header=BB4_49 Depth=1
	s_and_not1_saveexec_b32 s10, s10
	s_cbranch_execz .LBB4_4288
; %bb.4287:                             ;   in Loop: Header=BB4_49 Depth=1
	v_mad_nc_u64_u32 v[14:15], v8, 24, v[6:7]
	v_dual_ashrrev_i32 v11, 31, v10 :: v_dual_mov_b32 v9, v55
	flat_store_b64 v[14:15], v[10:11] offset:8
.LBB4_4288:                             ;   in Loop: Header=BB4_49 Depth=1
	s_wait_xcnt 0x0
	s_or_b32 exec_lo, exec_lo, s10
	v_and_b32_e32 v0, 0x100, v120
	s_mov_b32 s10, -1
	s_mov_b32 s13, exec_lo
                                        ; implicit-def: $vgpr14_vgpr15
	s_delay_alu instid0(VALU_DEP_1)
	v_cmpx_ne_u32_e32 0, v0
	s_cbranch_execz .LBB4_4292
; %bb.4289:                             ;   in Loop: Header=BB4_49 Depth=1
	v_mad_nc_u64_u32 v[16:17], v8, 24, v[6:7]
	s_mov_b32 s14, exec_lo
                                        ; implicit-def: $vgpr14_vgpr15
	s_delay_alu instid0(VALU_DEP_1)
	v_mad_u32 v17, v9, 24, v17
	flat_load_b32 v0, v[16:17]
	s_wait_loadcnt_dscnt 0x0
	v_cmp_ne_u32_e32 vcc_lo, 1, v0
	s_wait_xcnt 0x0
	v_cmpx_eq_u32_e32 1, v0
	s_cbranch_execz .LBB4_4291
; %bb.4290:                             ;   in Loop: Header=BB4_49 Depth=1
	flat_load_b32 v14, v[16:17] offset:4 scope:SCOPE_SYS
	s_wait_loadcnt_dscnt 0x0
	v_ashrrev_i32_e32 v15, 31, v14
.LBB4_4291:                             ;   in Loop: Header=BB4_49 Depth=1
	s_wait_xcnt 0x0
	s_or_b32 exec_lo, exec_lo, s14
	s_delay_alu instid0(SALU_CYCLE_1)
	s_or_not1_b32 s10, vcc_lo, exec_lo
.LBB4_4292:                             ;   in Loop: Header=BB4_49 Depth=1
	s_or_b32 exec_lo, exec_lo, s13
	s_and_saveexec_b32 s13, s10
; %bb.4293:                             ;   in Loop: Header=BB4_49 Depth=1
	v_mul_u64_e32 v[14:15], v[8:9], v[34:35]
; %bb.4294:                             ;   in Loop: Header=BB4_49 Depth=1
	s_or_b32 exec_lo, exec_lo, s13
	v_cmp_eq_u32_e32 vcc_lo, 0, v54
	s_delay_alu instid0(VALU_DEP_2) | instskip(SKIP_3) | instid1(VALU_DEP_1)
	v_add_nc_u64_e32 v[8:9], v[36:37], v[14:15]
	v_and_b32_e32 v3, 0x2000, v120
	s_mov_b32 s10, exec_lo
	v_cndmask_b32_e32 v0, 0xc8, v125, vcc_lo
	v_add_nc_u32_e32 v0, v0, v0
	ds_store_b64 v0, v[8:9] offset:584
	v_cmpx_ne_u32_e32 0, v3
	s_cbranch_execz .LBB4_4296
; %bb.4295:                             ;   in Loop: Header=BB4_49 Depth=1
	ds_load_b64 v[8:9], v0 offset:872
	s_wait_dscnt 0x0
	v_add_nc_u64_e32 v[8:9], 1, v[8:9]
	ds_store_b64 v0, v[8:9] offset:872
.LBB4_4296:                             ;   in Loop: Header=BB4_49 Depth=1
	s_or_b32 exec_lo, exec_lo, s10
	v_mov_b64_e32 v[8:9], v[12:13]
.LBB4_4297:                             ;   in Loop: Header=BB4_49 Depth=1
	s_or_b32 exec_lo, exec_lo, s12
	s_and_saveexec_b32 s10, s2
	s_cbranch_execz .LBB4_4316
; %bb.4298:                             ;   in Loop: Header=BB4_49 Depth=1
	s_and_saveexec_b32 s12, s3
	s_delay_alu instid0(SALU_CYCLE_1)
	s_xor_b32 s12, exec_lo, s12
	s_cbranch_execz .LBB4_4313
; %bb.4299:                             ;   in Loop: Header=BB4_49 Depth=1
	s_and_saveexec_b32 s13, s4
	s_cbranch_execz .LBB4_4312
; %bb.4300:                             ;   in Loop: Header=BB4_49 Depth=1
	s_mov_b32 s15, exec_lo
	s_mov_b32 s14, exec_lo
	v_mbcnt_lo_u32_b32 v0, s15, 0
	global_wb scope:SCOPE_DEV
	s_wait_storecnt 0x0
	s_wait_loadcnt_dscnt 0x0
	global_inv scope:SCOPE_DEV
	v_cmpx_eq_u32_e32 0, v0
	s_cbranch_execz .LBB4_4302
; %bb.4301:                             ;   in Loop: Header=BB4_49 Depth=1
	s_bcnt1_i32_b32 s15, s15
	s_delay_alu instid0(SALU_CYCLE_1)
	v_mov_b32_e32 v54, s15
	s_wait_loadcnt 0x0
	ds_add_u64 v0, v[54:55]
	s_trap 2
.LBB4_4302:                             ;   in Loop: Header=BB4_49 Depth=1
	s_or_b32 exec_lo, exec_lo, s14
	s_trap 2
	ds_load_b64 v[12:13], v0
	s_wait_dscnt 0x0
	v_add_nc_u64_e32 v[38:39], v[38:39], v[64:65]
	s_mov_b32 s14, exec_lo
	s_delay_alu instid0(VALU_DEP_1)
	v_cmpx_lt_u64_e64 v[12:13], v[38:39]
	s_cbranch_execz .LBB4_4311
; %bb.4303:                             ;   in Loop: Header=BB4_49 Depth=1
	s_mov_b32 s15, 0
	s_mov_b32 s41, 0
                                        ; implicit-def: $sgpr29
                                        ; implicit-def: $sgpr40
	s_branch .LBB4_4305
.LBB4_4304:                             ;   in Loop: Header=BB4_4305 Depth=2
	s_or_b32 exec_lo, exec_lo, s43
	s_delay_alu instid0(SALU_CYCLE_1) | instskip(NEXT) | instid1(SALU_CYCLE_1)
	s_and_b32 s42, exec_lo, s44
	s_or_b32 s15, s42, s15
	s_and_not1_b32 s29, s29, exec_lo
	s_and_b32 s42, s40, exec_lo
	s_delay_alu instid0(SALU_CYCLE_1)
	s_or_b32 s29, s29, s42
	s_and_not1_b32 exec_lo, exec_lo, s15
	s_cbranch_execz .LBB4_4309
.LBB4_4305:                             ;   Parent Loop BB4_49 Depth=1
                                        ; =>  This Inner Loop Header: Depth=2
	s_add_co_i32 s41, s41, 1
	s_delay_alu instid0(SALU_CYCLE_1) | instskip(SKIP_1) | instid1(SALU_CYCLE_1)
	s_cmp_lg_u32 s41, 0x2710
	s_cselect_b32 s42, -1, 0
	s_and_b32 vcc_lo, exec_lo, s42
	s_cbranch_vccz .LBB4_4307
; %bb.4306:                             ;   in Loop: Header=BB4_4305 Depth=2
	s_mov_b32 s44, -1
	s_or_b32 s40, s40, exec_lo
	s_and_saveexec_b32 s43, s42
	s_cbranch_execz .LBB4_4304
	s_branch .LBB4_4308
.LBB4_4307:                             ;   in Loop: Header=BB4_4305 Depth=2
	s_trap 2
	ds_load_b64 v[12:13], v0
	s_and_not1_b32 s42, s42, exec_lo
	s_mov_b32 s41, 0
	s_wait_loadcnt_dscnt 0x0
	flat_load_b32 v0, v[12:13] scope:SCOPE_SYS
	s_wait_loadcnt_dscnt 0x0
	global_inv scope:SCOPE_SYS
	v_cmp_eq_u32_e32 vcc_lo, 0, v0
	s_and_b32 s43, vcc_lo, exec_lo
	s_delay_alu instid0(SALU_CYCLE_1)
	s_or_b32 s42, s42, s43
	s_mov_b32 s44, -1
	s_or_b32 s40, s40, exec_lo
	s_and_saveexec_b32 s43, s42
	s_cbranch_execz .LBB4_4304
.LBB4_4308:                             ;   in Loop: Header=BB4_4305 Depth=2
	s_sleep 1
	s_trap 2
	ds_load_b64 v[12:13], v0
	s_wait_dscnt 0x0
	s_and_not1_b32 s40, s40, exec_lo
	v_cmp_ge_u64_e32 vcc_lo, v[12:13], v[38:39]
	s_or_not1_b32 s44, vcc_lo, exec_lo
	s_branch .LBB4_4304
.LBB4_4309:                             ;   in Loop: Header=BB4_49 Depth=1
	s_or_b32 exec_lo, exec_lo, s15
	s_and_saveexec_b32 s15, s29
	s_delay_alu instid0(SALU_CYCLE_1)
	s_xor_b32 s15, exec_lo, s15
	s_cbranch_execz .LBB4_4311
; %bb.4310:                             ;   in Loop: Header=BB4_49 Depth=1
	ds_store_b32 v0, v124
	s_trap 2
.LBB4_4311:                             ;   in Loop: Header=BB4_49 Depth=1
	s_or_b32 exec_lo, exec_lo, s14
	;;#ASMSTART
	s_wakeup
	;;#ASMEND
.LBB4_4312:                             ;   in Loop: Header=BB4_49 Depth=1
	s_or_b32 exec_lo, exec_lo, s13
.LBB4_4313:                             ;   in Loop: Header=BB4_49 Depth=1
	s_and_not1_saveexec_b32 s12, s12
	s_cbranch_execz .LBB4_4315
; %bb.4314:                             ;   in Loop: Header=BB4_49 Depth=1
	global_wb scope:SCOPE_DEV
	s_wait_storecnt 0x0
	s_wait_loadcnt_dscnt 0x0
	global_inv scope:SCOPE_DEV
	s_barrier_signal -1
	s_barrier_wait -1
.LBB4_4315:                             ;   in Loop: Header=BB4_49 Depth=1
	s_or_b32 exec_lo, exec_lo, s12
.LBB4_4316:                             ;   in Loop: Header=BB4_49 Depth=1
	s_delay_alu instid0(SALU_CYCLE_1)
	s_or_b32 exec_lo, exec_lo, s10
	s_trap 2
	ds_load_b32 v0, v0
	v_cmp_lt_i32_e32 vcc_lo, 0, v10
	s_wait_dscnt 0x0
	v_readfirstlane_b32 s10, v0
	v_and_b32_e32 v0, 16, v120
	s_cmp_eq_u32 s10, 0
	s_delay_alu instid0(VALU_DEP_1) | instskip(SKIP_1) | instid1(SALU_CYCLE_1)
	v_cmp_ne_u32_e64 s10, 0, v0
	s_cselect_b32 s12, -1, 0
	s_and_b32 s12, vcc_lo, s12
	s_delay_alu instid0(SALU_CYCLE_1) | instskip(NEXT) | instid1(SALU_CYCLE_1)
	s_and_b32 s12, s10, s12
	s_and_saveexec_b32 s10, s12
	s_cbranch_execz .LBB4_4318
; %bb.4317:                             ;   in Loop: Header=BB4_49 Depth=1
	global_wb scope:SCOPE_SYS
	s_wait_loadcnt 0x0
	s_wait_storecnt 0x0
	global_inv scope:SCOPE_SYS
.LBB4_4318:                             ;   in Loop: Header=BB4_49 Depth=1
	s_or_b32 exec_lo, exec_lo, s10
	v_cmp_ne_u32_e32 vcc_lo, 0, v0
	s_xor_b32 s10, s7, -1
	s_delay_alu instid0(SALU_CYCLE_1) | instskip(NEXT) | instid1(SALU_CYCLE_1)
	s_and_b32 s12, vcc_lo, s10
	s_and_saveexec_b32 s10, s12
	s_cbranch_execz .LBB4_4320
; %bb.4319:                             ;   in Loop: Header=BB4_49 Depth=1
	global_wb scope:SCOPE_SYS
	s_wait_loadcnt 0x0
	s_wait_storecnt 0x0
	flat_store_b32 v[52:53], v124 scope:SCOPE_SYS
.LBB4_4320:                             ;   in Loop: Header=BB4_49 Depth=1
	s_wait_xcnt 0x0
	s_or_b32 exec_lo, exec_lo, s10
	v_and_b32_e32 v0, 48, v120
	s_mov_b32 s10, exec_lo
	s_delay_alu instid0(VALU_DEP_1)
	v_cmpx_ne_u32_e32 0, v0
	s_cbranch_execz .LBB4_47
; %bb.4321:                             ;   in Loop: Header=BB4_49 Depth=1
	v_add_nc_u64_e32 v[8:9], 1, v[8:9]
	global_wb scope:SCOPE_SYS
	s_wait_storecnt 0x0
	s_wait_loadcnt_dscnt 0x0
	flat_store_b64 v[32:33], v[8:9] scope:SCOPE_SYS
	s_branch .LBB4_47
.LBB4_4322:
	s_or_b32 exec_lo, exec_lo, s26
.LBB4_4323:
	s_delay_alu instid0(SALU_CYCLE_1)
	s_or_b32 exec_lo, exec_lo, s24
                                        ; implicit-def: $vgpr26_vgpr27
                                        ; implicit-def: $vgpr4_vgpr5
                                        ; implicit-def: $vgpr34
                                        ; implicit-def: $vgpr48_vgpr49
                                        ; implicit-def: $vgpr36_vgpr37
                                        ; implicit-def: $vgpr32_vgpr33
                                        ; implicit-def: $vgpr121
                                        ; implicit-def: $vgpr15
                                        ; implicit-def: $vgpr50_vgpr51
.LBB4_4324:
	s_and_not1_saveexec_b32 s15, s23
	s_cbranch_execz .LBB4_8592
; %bb.4325:
	v_mov_b64_e32 v[38:39], 0
	s_mov_b32 s23, exec_lo
	v_cmpx_ne_u64_e32 0, v[4:5]
	s_cbranch_execz .LBB4_8591
; %bb.4326:
	v_dual_ashrrev_i32 v35, 31, v34 :: v_dual_bitop2_b32 v0, 31, v31 bitop3:0x40
	v_dual_mov_b32 v53, 0 :: v_dual_lshrrev_b32 v106, 5, v121
	s_ashr_i32 s2, s21, 31
	v_and_b32_e32 v107, 31, v121
	s_delay_alu instid0(VALU_DEP_3) | instskip(NEXT) | instid1(VALU_DEP_3)
	v_cmp_eq_u32_e64 s4, 0, v0
	v_dual_lshlrev_b32 v0, 10, v106 :: v_dual_lshrrev_b32 v54, 5, v1
	v_mov_b32_e32 v55, v53
	s_lshr_b32 s2, s2, 24
	v_cmp_eq_u32_e32 vcc_lo, 32, v1
	s_add_co_i32 s2, s21, s2
	v_mov_b64_e32 v[80:81], 0
	v_mov_b64_e32 v[38:39], 0
	v_cmp_ge_u32_e64 s1, v121, v1
	s_ashr_i32 s24, s2, 8
	v_cmp_ne_u32_e64 s2, 32, v1
	v_cmp_ne_u32_e64 s3, v1, v2
	v_cmp_le_u32_e64 s5, v107, v15
	v_cmp_eq_u32_e64 s6, 0, v107
	v_lshl_or_b32 v64, v107, 4, v0
	v_dual_mov_b32 v65, v53 :: v_dual_lshlrev_b32 v66, 10, v54
	v_dual_mov_b32 v67, v53 :: v_dual_lshlrev_b32 v68, 9, v54
	v_dual_mov_b32 v69, v53 :: v_dual_mov_b32 v71, v53
	v_and_b32_e32 v70, 0x1fe0, v1
	v_dual_mov_b32 v108, 1 :: v_dual_mov_b32 v109, 0x7f800000
	v_mov_b32_e32 v110, 0x7c
	s_mov_b64 s[16:17], 0xffffffffffffff
	s_mov_b64 s[18:19], 0x100000000000000
	s_mov_b32 s25, 0
	s_xor_b32 s26, vcc_lo, -1
	s_brev_b32 s27, 28
	s_trap 2
	s_branch .LBB4_4329
.LBB4_4327:                             ;   in Loop: Header=BB4_4329 Depth=1
	s_wait_xcnt 0x0
	s_or_b32 exec_lo, exec_lo, s7
.LBB4_4328:                             ;   in Loop: Header=BB4_4329 Depth=1
	s_delay_alu instid0(SALU_CYCLE_1) | instskip(SKIP_1) | instid1(VALU_DEP_1)
	s_or_b32 exec_lo, exec_lo, s10
	v_add_nc_u64_e32 v[80:81], v[80:81], v[50:51]
	v_cmp_ge_u64_e32 vcc_lo, v[80:81], v[4:5]
	s_or_b32 s25, vcc_lo, s25
	s_delay_alu instid0(SALU_CYCLE_1)
	s_and_not1_b32 exec_lo, exec_lo, s25
	s_cbranch_execz .LBB4_8590
.LBB4_4329:                             ; =>This Loop Header: Depth=1
                                        ;     Child Loop BB4_4338 Depth 2
                                        ;     Child Loop BB4_4362 Depth 2
	;; [unrolled: 1-line block ×10, first 2 shown]
	v_sub_nc_u64_e32 v[10:11], v[4:5], v[80:81]
	s_delay_alu instid0(VALU_DEP_1) | instskip(NEXT) | instid1(VALU_DEP_1)
	v_min_u64 v[82:83], v[50:51], v[10:11]
	v_add_nc_u32_e32 v0, 15, v82
	s_delay_alu instid0(VALU_DEP_2) | instskip(NEXT) | instid1(VALU_DEP_2)
	v_cmp_eq_u64_e32 vcc_lo, 0, v[82:83]
	v_and_b32_e32 v0, 0x7ffffff0, v0
	s_or_b32 s28, s1, vcc_lo
	s_delay_alu instid0(SALU_CYCLE_1) | instskip(NEXT) | instid1(VALU_DEP_1)
	s_xor_b32 s7, s28, -1
	v_dual_mov_b32 v0, v53 :: v_dual_max_i32 v83, s24, v0
	s_and_saveexec_b32 s29, s7
	s_cbranch_execz .LBB4_8544
; %bb.4330:                             ;   in Loop: Header=BB4_4329 Depth=1
	s_and_saveexec_b32 s7, s0
	s_cbranch_execz .LBB4_4332
; %bb.4331:                             ;   in Loop: Header=BB4_4329 Depth=1
	s_trap 2
	ds_load_b64 v[14:15], v0
	ds_load_2addr_b64 v[10:13], v0 offset1:1
	v_add_nc_u64_e32 v[16:17], v[80:81], v[26:27]
	s_wait_dscnt 0x1
	s_delay_alu instid0(VALU_DEP_1) | instskip(SKIP_4) | instid1(VALU_DEP_4)
	v_add_nc_u64_e32 v[18:19], v[14:15], v[16:17]
	v_cmp_ne_u64_e32 vcc_lo, 0, v[14:15]
	s_wait_dscnt 0x0
	v_add_nc_u64_e32 v[10:11], v[10:11], v[16:17]
	v_add_nc_u64_e32 v[12:13], v[12:13], v[16:17]
	v_dual_cndmask_b32 v15, 0, v19 :: v_dual_cndmask_b32 v14, 0, v18
	ds_store_b64 v0, v[10:11]
	ds_store_b64 v0, v[12:13]
	;; [unrolled: 1-line block ×3, first 2 shown]
.LBB4_4332:                             ;   in Loop: Header=BB4_4329 Depth=1
	s_or_b32 exec_lo, exec_lo, s7
	v_and_b32_e32 v0, 4, v120
	s_mov_b32 s10, exec_lo
	s_delay_alu instid0(VALU_DEP_1)
	v_cmpx_ne_u32_e32 0, v0
	s_cbranch_execz .LBB4_4354
; %bb.4333:                             ;   in Loop: Header=BB4_4329 Depth=1
	v_add_nc_u64_e32 v[10:11], 1, v[8:9]
	s_mov_b32 s11, exec_lo
	s_wait_loadcnt 0x0
	s_delay_alu instid0(VALU_DEP_1)
	v_cmpx_lt_u64_e64 v[48:49], v[10:11]
	s_cbranch_execz .LBB4_4345
; %bb.4334:                             ;   in Loop: Header=BB4_4329 Depth=1
	v_and_b32_e32 v0, 64, v120
	s_mov_b32 s12, 0
	s_mov_b32 s41, 0
                                        ; implicit-def: $sgpr13
                                        ; implicit-def: $sgpr14
                                        ; implicit-def: $sgpr40
	s_delay_alu instid0(VALU_DEP_1)
	v_cmp_eq_u32_e32 vcc_lo, 0, v0
	s_branch .LBB4_4338
.LBB4_4335:                             ;   in Loop: Header=BB4_4338 Depth=2
	s_wait_loadcnt_dscnt 0x0
	v_cmp_ge_u64_e64 s7, v[48:49], v[10:11]
	s_or_b32 s44, s44, exec_lo
	s_or_not1_b32 s43, s7, exec_lo
.LBB4_4336:                             ;   in Loop: Header=BB4_4338 Depth=2
	s_or_b32 exec_lo, exec_lo, s46
	s_delay_alu instid0(SALU_CYCLE_1)
	s_and_not1_b32 s7, s40, exec_lo
	s_and_b32 s40, s44, exec_lo
	s_and_not1_b32 s14, s14, exec_lo
	s_and_b32 s43, s43, exec_lo
	s_or_b32 s40, s7, s40
	s_or_b32 s14, s14, s43
.LBB4_4337:                             ;   in Loop: Header=BB4_4338 Depth=2
	s_or_b32 exec_lo, exec_lo, s42
	s_delay_alu instid0(SALU_CYCLE_1) | instskip(NEXT) | instid1(SALU_CYCLE_1)
	s_and_b32 s7, exec_lo, s14
	s_or_b32 s12, s7, s12
	s_and_not1_b32 s7, s13, exec_lo
	s_and_b32 s13, s40, exec_lo
	s_delay_alu instid0(SALU_CYCLE_1)
	s_or_b32 s13, s7, s13
	s_and_not1_b32 exec_lo, exec_lo, s12
	s_cbranch_execz .LBB4_4342
.LBB4_4338:                             ;   Parent Loop BB4_4329 Depth=1
                                        ; =>  This Inner Loop Header: Depth=2
	s_sleep 1
	s_wait_loadcnt_dscnt 0x0
	flat_load_b64 v[48:49], v[32:33] scope:SCOPE_SYS
	s_or_b32 s40, s40, exec_lo
	s_or_b32 s14, s14, exec_lo
                                        ; implicit-def: $vgpr0
	s_wait_xcnt 0x0
	s_and_saveexec_b32 s42, vcc_lo
	s_cbranch_execz .LBB4_4337
; %bb.4339:                             ;   in Loop: Header=BB4_4338 Depth=2
	s_cmp_lt_i32 s41, 0x270f
	s_mov_b32 s43, -1
	s_cselect_b32 s45, -1, 0
	s_cmp_gt_i32 s41, 0x270e
	s_cbranch_scc0 .LBB4_4341
; %bb.4340:                             ;   in Loop: Header=BB4_4338 Depth=2
	s_trap 2
	ds_load_b64 v[12:13], v0
	s_and_not1_b32 s41, s45, exec_lo
	s_mov_b32 s44, 0
	s_wait_storecnt 0x0
	s_wait_loadcnt_dscnt 0x0
	flat_load_b32 v0, v[12:13] scope:SCOPE_SYS
	s_wait_loadcnt_dscnt 0x0
	global_inv scope:SCOPE_SYS
	v_cmp_eq_u32_e64 s7, 0, v0
	s_and_b32 s7, s7, exec_lo
	s_delay_alu instid0(SALU_CYCLE_1)
	s_or_b32 s45, s41, s7
	s_mov_b32 s41, 0
	s_and_saveexec_b32 s46, s45
	s_cbranch_execz .LBB4_4336
	s_branch .LBB4_4335
.LBB4_4341:                             ;   in Loop: Header=BB4_4338 Depth=2
	s_add_co_i32 s41, s41, 1
	s_mov_b32 s44, -1
                                        ; implicit-def: $vgpr0
	s_and_saveexec_b32 s46, s45
	s_cbranch_execz .LBB4_4336
	s_branch .LBB4_4335
.LBB4_4342:                             ;   in Loop: Header=BB4_4329 Depth=1
	s_or_b32 exec_lo, exec_lo, s12
	s_xor_b32 s7, s13, -1
	s_delay_alu instid0(SALU_CYCLE_1) | instskip(NEXT) | instid1(SALU_CYCLE_1)
	s_and_saveexec_b32 s12, s7
	s_xor_b32 s7, exec_lo, s12
	s_cbranch_execz .LBB4_4344
; %bb.4343:                             ;   in Loop: Header=BB4_4329 Depth=1
	v_or_b32_e32 v120, 64, v120
	s_wait_storecnt 0x0
	s_wait_loadcnt_dscnt 0x0
	ds_store_b32 v0, v0
	s_trap 2
.LBB4_4344:                             ;   in Loop: Header=BB4_4329 Depth=1
	s_or_b32 exec_lo, exec_lo, s7
.LBB4_4345:                             ;   in Loop: Header=BB4_4329 Depth=1
	s_delay_alu instid0(SALU_CYCLE_1)
	s_or_b32 exec_lo, exec_lo, s11
	v_and_b32_e32 v0, 0x100, v120
	v_and_b32_e32 v52, 7, v8
	s_mov_b32 s7, -1
	s_mov_b32 s11, exec_lo
	;;#ASMSTART
	s_wakeup
	;;#ASMEND
                                        ; implicit-def: $vgpr8_vgpr9
	v_cmpx_ne_u32_e32 0, v0
	s_cbranch_execz .LBB4_4349
; %bb.4346:                             ;   in Loop: Header=BB4_4329 Depth=1
	v_mad_nc_u64_u32 v[12:13], v52, 24, v[6:7]
	s_mov_b32 s12, exec_lo
                                        ; implicit-def: $vgpr8_vgpr9
	flat_load_b32 v0, v[12:13]
	s_wait_loadcnt_dscnt 0x0
	v_cmp_ne_u32_e32 vcc_lo, 1, v0
	s_wait_xcnt 0x0
	v_cmpx_eq_u32_e32 1, v0
	s_cbranch_execz .LBB4_4348
; %bb.4347:                             ;   in Loop: Header=BB4_4329 Depth=1
	flat_load_b32 v8, v[12:13] offset:4 scope:SCOPE_SYS
	s_wait_loadcnt_dscnt 0x0
	v_ashrrev_i32_e32 v9, 31, v8
.LBB4_4348:                             ;   in Loop: Header=BB4_4329 Depth=1
	s_wait_xcnt 0x0
	s_or_b32 exec_lo, exec_lo, s12
	s_delay_alu instid0(SALU_CYCLE_1)
	s_or_not1_b32 s7, vcc_lo, exec_lo
.LBB4_4349:                             ;   in Loop: Header=BB4_4329 Depth=1
	s_or_b32 exec_lo, exec_lo, s11
	s_and_saveexec_b32 s11, s7
; %bb.4350:                             ;   in Loop: Header=BB4_4329 Depth=1
	v_mul_u64_e32 v[8:9], v[52:53], v[34:35]
; %bb.4351:                             ;   in Loop: Header=BB4_4329 Depth=1
	s_or_b32 exec_lo, exec_lo, s11
	s_delay_alu instid0(VALU_DEP_1)
	v_add_nc_u64_e32 v[8:9], v[36:37], v[8:9]
	v_and_b32_e32 v0, 0x2000, v120
	s_mov_b32 s7, exec_lo
	ds_store_b64 v0, v[8:9] offset:728
	v_cmpx_ne_u32_e32 0, v0
	s_cbranch_execz .LBB4_4353
; %bb.4352:                             ;   in Loop: Header=BB4_4329 Depth=1
	ds_load_b64 v[8:9], v0 offset:872
	s_wait_dscnt 0x0
	v_add_nc_u64_e32 v[8:9], 1, v[8:9]
	ds_store_b64 v0, v[8:9] offset:872
.LBB4_4353:                             ;   in Loop: Header=BB4_4329 Depth=1
	s_or_b32 exec_lo, exec_lo, s7
	v_mov_b64_e32 v[8:9], v[10:11]
.LBB4_4354:                             ;   in Loop: Header=BB4_4329 Depth=1
	s_or_b32 exec_lo, exec_lo, s10
	s_and_saveexec_b32 s7, s2
	s_cbranch_execz .LBB4_4373
; %bb.4355:                             ;   in Loop: Header=BB4_4329 Depth=1
	s_and_saveexec_b32 s10, s3
	s_delay_alu instid0(SALU_CYCLE_1)
	s_xor_b32 s10, exec_lo, s10
	s_cbranch_execz .LBB4_4370
; %bb.4356:                             ;   in Loop: Header=BB4_4329 Depth=1
	s_and_saveexec_b32 s11, s4
	s_cbranch_execz .LBB4_4369
; %bb.4357:                             ;   in Loop: Header=BB4_4329 Depth=1
	s_mov_b32 s13, exec_lo
	s_mov_b32 s12, exec_lo
	v_mbcnt_lo_u32_b32 v0, s13, 0
	global_wb scope:SCOPE_DEV
	s_wait_storecnt 0x0
	s_wait_loadcnt_dscnt 0x0
	global_inv scope:SCOPE_DEV
	v_cmpx_eq_u32_e32 0, v0
	s_cbranch_execz .LBB4_4359
; %bb.4358:                             ;   in Loop: Header=BB4_4329 Depth=1
	s_bcnt1_i32_b32 s13, s13
	s_delay_alu instid0(SALU_CYCLE_1)
	v_mov_b32_e32 v52, s13
	s_wait_loadcnt 0x0
	ds_add_u64 v0, v[52:53]
	s_trap 2
.LBB4_4359:                             ;   in Loop: Header=BB4_4329 Depth=1
	s_or_b32 exec_lo, exec_lo, s12
	s_trap 2
	ds_load_b64 v[10:11], v0
	s_wait_dscnt 0x0
	v_add_nc_u64_e32 v[38:39], v[38:39], v[54:55]
	s_mov_b32 s12, exec_lo
	s_delay_alu instid0(VALU_DEP_1)
	v_cmpx_lt_u64_e64 v[10:11], v[38:39]
	s_cbranch_execz .LBB4_4368
; %bb.4360:                             ;   in Loop: Header=BB4_4329 Depth=1
	s_mov_b32 s13, 0
	s_mov_b32 s41, 0
                                        ; implicit-def: $sgpr14
                                        ; implicit-def: $sgpr40
	s_branch .LBB4_4362
.LBB4_4361:                             ;   in Loop: Header=BB4_4362 Depth=2
	s_or_b32 exec_lo, exec_lo, s43
	s_delay_alu instid0(SALU_CYCLE_1) | instskip(NEXT) | instid1(SALU_CYCLE_1)
	s_and_b32 s42, exec_lo, s44
	s_or_b32 s13, s42, s13
	s_and_not1_b32 s14, s14, exec_lo
	s_and_b32 s42, s40, exec_lo
	s_delay_alu instid0(SALU_CYCLE_1)
	s_or_b32 s14, s14, s42
	s_and_not1_b32 exec_lo, exec_lo, s13
	s_cbranch_execz .LBB4_4366
.LBB4_4362:                             ;   Parent Loop BB4_4329 Depth=1
                                        ; =>  This Inner Loop Header: Depth=2
	s_add_co_i32 s41, s41, 1
	s_delay_alu instid0(SALU_CYCLE_1) | instskip(SKIP_1) | instid1(SALU_CYCLE_1)
	s_cmp_lg_u32 s41, 0x2710
	s_cselect_b32 s42, -1, 0
	s_and_b32 vcc_lo, exec_lo, s42
	s_cbranch_vccz .LBB4_4364
; %bb.4363:                             ;   in Loop: Header=BB4_4362 Depth=2
	s_mov_b32 s44, -1
	s_or_b32 s40, s40, exec_lo
	s_and_saveexec_b32 s43, s42
	s_cbranch_execz .LBB4_4361
	s_branch .LBB4_4365
.LBB4_4364:                             ;   in Loop: Header=BB4_4362 Depth=2
	s_trap 2
	ds_load_b64 v[10:11], v0
	s_and_not1_b32 s42, s42, exec_lo
	s_mov_b32 s41, 0
	s_wait_loadcnt_dscnt 0x0
	flat_load_b32 v0, v[10:11] scope:SCOPE_SYS
	s_wait_loadcnt_dscnt 0x0
	global_inv scope:SCOPE_SYS
	v_cmp_eq_u32_e32 vcc_lo, 0, v0
	s_and_b32 s43, vcc_lo, exec_lo
	s_delay_alu instid0(SALU_CYCLE_1)
	s_or_b32 s42, s42, s43
	s_mov_b32 s44, -1
	s_or_b32 s40, s40, exec_lo
	s_and_saveexec_b32 s43, s42
	s_cbranch_execz .LBB4_4361
.LBB4_4365:                             ;   in Loop: Header=BB4_4362 Depth=2
	s_sleep 1
	s_trap 2
	ds_load_b64 v[10:11], v0
	s_wait_dscnt 0x0
	s_and_not1_b32 s40, s40, exec_lo
	v_cmp_ge_u64_e32 vcc_lo, v[10:11], v[38:39]
	s_or_not1_b32 s44, vcc_lo, exec_lo
	s_branch .LBB4_4361
.LBB4_4366:                             ;   in Loop: Header=BB4_4329 Depth=1
	s_or_b32 exec_lo, exec_lo, s13
	s_and_saveexec_b32 s13, s14
	s_delay_alu instid0(SALU_CYCLE_1)
	s_xor_b32 s13, exec_lo, s13
	s_cbranch_execz .LBB4_4368
; %bb.4367:                             ;   in Loop: Header=BB4_4329 Depth=1
	ds_store_b32 v0, v108
	s_trap 2
.LBB4_4368:                             ;   in Loop: Header=BB4_4329 Depth=1
	s_or_b32 exec_lo, exec_lo, s12
	;;#ASMSTART
	s_wakeup
	;;#ASMEND
.LBB4_4369:                             ;   in Loop: Header=BB4_4329 Depth=1
	s_or_b32 exec_lo, exec_lo, s11
.LBB4_4370:                             ;   in Loop: Header=BB4_4329 Depth=1
	s_and_not1_saveexec_b32 s10, s10
	s_cbranch_execz .LBB4_4372
; %bb.4371:                             ;   in Loop: Header=BB4_4329 Depth=1
	global_wb scope:SCOPE_DEV
	s_wait_storecnt 0x0
	s_wait_loadcnt_dscnt 0x0
	global_inv scope:SCOPE_DEV
	s_barrier_signal -1
	s_barrier_wait -1
.LBB4_4372:                             ;   in Loop: Header=BB4_4329 Depth=1
	s_or_b32 exec_lo, exec_lo, s10
.LBB4_4373:                             ;   in Loop: Header=BB4_4329 Depth=1
	s_delay_alu instid0(SALU_CYCLE_1) | instskip(SKIP_3) | instid1(VALU_DEP_1)
	s_or_b32 exec_lo, exec_lo, s7
	s_trap 2
	ds_load_b32 v0, v0
	v_and_b32_e32 v3, 0x4000, v120
	v_cmp_ne_u32_e32 vcc_lo, 0, v3
	s_and_b32 s10, s26, vcc_lo
	s_delay_alu instid0(SALU_CYCLE_1)
	s_and_saveexec_b32 s7, s10
	s_cbranch_execz .LBB4_4392
; %bb.4374:                             ;   in Loop: Header=BB4_4329 Depth=1
	s_and_saveexec_b32 s10, s3
	s_delay_alu instid0(SALU_CYCLE_1)
	s_xor_b32 s10, exec_lo, s10
	s_cbranch_execz .LBB4_4389
; %bb.4375:                             ;   in Loop: Header=BB4_4329 Depth=1
	s_and_saveexec_b32 s11, s4
	s_cbranch_execz .LBB4_4388
; %bb.4376:                             ;   in Loop: Header=BB4_4329 Depth=1
	s_mov_b32 s13, exec_lo
	s_mov_b32 s12, exec_lo
	v_mbcnt_lo_u32_b32 v3, s13, 0
	global_wb scope:SCOPE_DEV
	s_wait_storecnt 0x0
	s_wait_loadcnt_dscnt 0x0
	global_inv scope:SCOPE_DEV
	v_cmpx_eq_u32_e32 0, v3
	s_cbranch_execz .LBB4_4378
; %bb.4377:                             ;   in Loop: Header=BB4_4329 Depth=1
	s_bcnt1_i32_b32 s13, s13
	s_delay_alu instid0(SALU_CYCLE_1)
	v_mov_b32_e32 v52, s13
	s_wait_loadcnt 0x0
	ds_add_u64 v0, v[52:53]
	s_trap 2
.LBB4_4378:                             ;   in Loop: Header=BB4_4329 Depth=1
	s_or_b32 exec_lo, exec_lo, s12
	s_trap 2
	ds_load_b64 v[10:11], v0
	s_wait_dscnt 0x0
	v_add_nc_u64_e32 v[38:39], v[38:39], v[54:55]
	s_mov_b32 s12, exec_lo
	s_delay_alu instid0(VALU_DEP_1)
	v_cmpx_lt_u64_e64 v[10:11], v[38:39]
	s_cbranch_execz .LBB4_4387
; %bb.4379:                             ;   in Loop: Header=BB4_4329 Depth=1
	s_mov_b32 s13, 0
	s_mov_b32 s41, 0
                                        ; implicit-def: $sgpr14
                                        ; implicit-def: $sgpr40
	s_branch .LBB4_4381
.LBB4_4380:                             ;   in Loop: Header=BB4_4381 Depth=2
	s_or_b32 exec_lo, exec_lo, s43
	s_delay_alu instid0(SALU_CYCLE_1) | instskip(NEXT) | instid1(SALU_CYCLE_1)
	s_and_b32 s42, exec_lo, s44
	s_or_b32 s13, s42, s13
	s_and_not1_b32 s14, s14, exec_lo
	s_and_b32 s42, s40, exec_lo
	s_delay_alu instid0(SALU_CYCLE_1)
	s_or_b32 s14, s14, s42
	s_and_not1_b32 exec_lo, exec_lo, s13
	s_cbranch_execz .LBB4_4385
.LBB4_4381:                             ;   Parent Loop BB4_4329 Depth=1
                                        ; =>  This Inner Loop Header: Depth=2
	s_add_co_i32 s41, s41, 1
	s_delay_alu instid0(SALU_CYCLE_1) | instskip(SKIP_1) | instid1(SALU_CYCLE_1)
	s_cmp_lg_u32 s41, 0x2710
	s_cselect_b32 s42, -1, 0
	s_and_b32 vcc_lo, exec_lo, s42
	s_cbranch_vccz .LBB4_4383
; %bb.4382:                             ;   in Loop: Header=BB4_4381 Depth=2
	s_mov_b32 s44, -1
	s_or_b32 s40, s40, exec_lo
	s_and_saveexec_b32 s43, s42
	s_cbranch_execz .LBB4_4380
	s_branch .LBB4_4384
.LBB4_4383:                             ;   in Loop: Header=BB4_4381 Depth=2
	s_trap 2
	ds_load_b64 v[10:11], v0
	s_and_not1_b32 s42, s42, exec_lo
	s_mov_b32 s41, 0
	s_wait_loadcnt_dscnt 0x0
	flat_load_b32 v3, v[10:11] scope:SCOPE_SYS
	s_wait_loadcnt_dscnt 0x0
	global_inv scope:SCOPE_SYS
	v_cmp_eq_u32_e32 vcc_lo, 0, v3
	s_and_b32 s43, vcc_lo, exec_lo
	s_delay_alu instid0(SALU_CYCLE_1)
	s_or_b32 s42, s42, s43
	s_mov_b32 s44, -1
	s_or_b32 s40, s40, exec_lo
	s_and_saveexec_b32 s43, s42
	s_cbranch_execz .LBB4_4380
.LBB4_4384:                             ;   in Loop: Header=BB4_4381 Depth=2
	s_sleep 1
	s_trap 2
	ds_load_b64 v[10:11], v0
	s_wait_dscnt 0x0
	s_and_not1_b32 s40, s40, exec_lo
	v_cmp_ge_u64_e32 vcc_lo, v[10:11], v[38:39]
	s_or_not1_b32 s44, vcc_lo, exec_lo
	s_branch .LBB4_4380
.LBB4_4385:                             ;   in Loop: Header=BB4_4329 Depth=1
	s_or_b32 exec_lo, exec_lo, s13
	s_and_saveexec_b32 s13, s14
	s_delay_alu instid0(SALU_CYCLE_1)
	s_xor_b32 s13, exec_lo, s13
	s_cbranch_execz .LBB4_4387
; %bb.4386:                             ;   in Loop: Header=BB4_4329 Depth=1
	ds_store_b32 v0, v108
	s_trap 2
.LBB4_4387:                             ;   in Loop: Header=BB4_4329 Depth=1
	s_or_b32 exec_lo, exec_lo, s12
	;;#ASMSTART
	s_wakeup
	;;#ASMEND
.LBB4_4388:                             ;   in Loop: Header=BB4_4329 Depth=1
	s_or_b32 exec_lo, exec_lo, s11
.LBB4_4389:                             ;   in Loop: Header=BB4_4329 Depth=1
	s_and_not1_saveexec_b32 s10, s10
	s_cbranch_execz .LBB4_4391
; %bb.4390:                             ;   in Loop: Header=BB4_4329 Depth=1
	global_wb scope:SCOPE_DEV
	s_wait_storecnt 0x0
	s_wait_loadcnt_dscnt 0x0
	global_inv scope:SCOPE_DEV
	s_barrier_signal -1
	s_barrier_wait -1
.LBB4_4391:                             ;   in Loop: Header=BB4_4329 Depth=1
	s_or_b32 exec_lo, exec_lo, s10
.LBB4_4392:                             ;   in Loop: Header=BB4_4329 Depth=1
	s_delay_alu instid0(SALU_CYCLE_1)
	s_or_b32 exec_lo, exec_lo, s7
	s_trap 2
	s_wait_dscnt 0x0
	ds_load_b64 v[84:85], v0
	v_min_u32_e32 v83, v83, v82
	s_wait_dscnt 0x0
	v_cmp_eq_u64_e32 vcc_lo, 0, v[84:85]
	s_cbranch_vccnz .LBB4_4400
; %bb.4393:                             ;   in Loop: Header=BB4_4329 Depth=1
	s_trap 2
	ds_load_b64 v[86:87], v0
	s_wait_dscnt 0x0
	v_cmp_eq_u64_e32 vcc_lo, 0, v[86:87]
	s_cbranch_vccnz .LBB4_4400
; %bb.4394:                             ;   in Loop: Header=BB4_4329 Depth=1
	s_trap 2
	ds_load_b64 v[10:11], v0
	s_mov_b32 s7, -1
	s_wait_dscnt 0x0
	v_readfirstlane_b32 s40, v10
	s_and_saveexec_b32 s10, s5
	s_cbranch_execz .LBB4_4396
; %bb.4395:                             ;   in Loop: Header=BB4_4329 Depth=1
	ds_load_b32 v3, v0 offset:720
	s_wait_dscnt 0x0
	v_and_b32_e32 v3, 15, v3
	s_delay_alu instid0(VALU_DEP_1)
	v_cmp_eq_u32_e32 vcc_lo, 0, v3
	s_or_not1_b32 s7, vcc_lo, exec_lo
.LBB4_4396:                             ;   in Loop: Header=BB4_4329 Depth=1
	s_or_b32 exec_lo, exec_lo, s10
	s_and_saveexec_b32 s10, s6
	s_cbranch_execz .LBB4_4398
; %bb.4397:                             ;   in Loop: Header=BB4_4329 Depth=1
	ds_load_b32 v3, v0 offset:784
	s_wait_dscnt 0x0
	v_and_b32_e32 v3, 15, v3
	s_delay_alu instid0(VALU_DEP_1) | instskip(SKIP_3) | instid1(SALU_CYCLE_1)
	v_cmp_eq_u32_e32 vcc_lo, 0, v3
	s_and_b32 s11, s7, vcc_lo
	s_and_not1_b32 s7, s7, exec_lo
	s_and_b32 s11, s11, exec_lo
	s_or_b32 s7, s7, s11
.LBB4_4398:                             ;   in Loop: Header=BB4_4329 Depth=1
	s_or_b32 exec_lo, exec_lo, s10
	v_cmp_eq_u32_e32 vcc_lo, 0, v0
	s_xor_b32 s7, s7, -1
	v_mov_b32_e32 v30, 0
	v_cndmask_b32_e64 v3, 0, 1, s7
	s_mov_b32 s7, -1
	v_dual_cndmask_b32 v111, 0, v83, vcc_lo :: v_dual_mov_b32 v123, v121
	s_delay_alu instid0(VALU_DEP_2) | instskip(NEXT) | instid1(VALU_DEP_2)
	v_cmp_ne_u32_e32 vcc_lo, 0, v3
	v_mov_b32_e32 v122, v111
	s_cbranch_vccz .LBB4_4401
; %bb.4399:                             ;   in Loop: Header=BB4_4329 Depth=1
	s_and_saveexec_b32 s12, s7
	s_cbranch_execnz .LBB4_7356
	s_branch .LBB4_8520
.LBB4_4400:                             ;   in Loop: Header=BB4_4329 Depth=1
	s_mov_b32 s7, 0
	s_and_saveexec_b32 s10, s2
	s_cbranch_execnz .LBB4_8521
	s_branch .LBB4_8539
.LBB4_4401:                             ;   in Loop: Header=BB4_4329 Depth=1
	v_lshrrev_b32_e32 v0, 10, v111
	s_mov_b32 s10, exec_lo
	s_delay_alu instid0(VALU_DEP_1) | instskip(NEXT) | instid1(VALU_DEP_1)
	v_sub_nc_u32_e32 v116, v0, v106
	v_cmpx_lt_i32_e32 0, v116
	s_cbranch_execz .LBB4_6453
; %bb.4402:                             ;   in Loop: Header=BB4_4329 Depth=1
	s_trap 2
	ds_load_b64 v[10:11], v0
	v_add_nc_u64_e32 v[96:97], v[84:85], v[64:65]
	v_add_nc_u64_e32 v[100:101], v[86:87], v[64:65]
	s_bitcmp1_b32 s40, 0
	s_mov_b32 s11, 0
	s_cselect_b32 s12, -1, 0
	s_wait_dscnt 0x0
	v_add_nc_u64_e32 v[98:99], v[10:11], v[64:65]
	s_branch .LBB4_4405
.LBB4_4403:                             ;   in Loop: Header=BB4_4405 Depth=2
	s_or_b32 exec_lo, exec_lo, s13
.LBB4_4404:                             ;   in Loop: Header=BB4_4405 Depth=2
	s_delay_alu instid0(SALU_CYCLE_1)
	s_or_b32 exec_lo, exec_lo, s7
	v_lshl_or_b32 v11, v114, 8, v41
	v_dual_lshlrev_b32 v12, 16, v112 :: v_dual_lshlrev_b32 v13, 24, v30
	v_lshl_or_b32 v14, v118, 8, v117
	v_dual_lshlrev_b32 v16, 16, v119 :: v_dual_lshlrev_b32 v17, 24, v40
	;; [unrolled: 2-line block ×3, first 2 shown]
	v_or3_b32 v13, v11, v12, v13
	s_delay_alu instid0(VALU_DEP_4)
	v_or3_b32 v12, v14, v16, v17
	v_dual_lshlrev_b32 v0, 24, v0 :: v_dual_lshlrev_b32 v11, 16, v103
	v_lshl_or_b32 v16, v102, 8, v44
	v_or3_b32 v14, v19, v30, v52
	v_lshl_or_b32 v17, v22, 8, v46
	v_dual_lshlrev_b32 v19, 16, v21 :: v_dual_lshlrev_b32 v20, 24, v20
	v_lshl_or_b32 v3, v24, 8, v3
	v_dual_lshlrev_b32 v21, 16, v25 :: v_dual_lshlrev_b32 v24, 16, v56
	v_dual_lshlrev_b32 v22, 24, v45 :: v_dual_lshlrev_b32 v10, 24, v10
	v_lshl_or_b32 v23, v47, 8, v23
	v_dual_lshlrev_b32 v25, 24, v57 :: v_dual_lshlrev_b32 v30, 16, v15
	v_lshl_or_b32 v52, v18, 8, v58
	v_or3_b32 v15, v16, v11, v0
	v_sub_nc_u32_e32 v116, v116, v54
	v_or3_b32 v17, v17, v19, v20
	v_or3_b32 v16, v3, v21, v22
	;; [unrolled: 1-line block ×4, first 2 shown]
	s_clause 0x1
	global_store_b128 v[100:101], v[12:15], off th:TH_STORE_NT
	global_store_b128 v[100:101], v[16:19], off offset:512 th:TH_STORE_NT
	v_add_nc_u64_e32 v[96:97], v[96:97], v[66:67]
	v_add_nc_u64_e32 v[98:99], v[98:99], v[66:67]
	v_cmp_gt_i32_e32 vcc_lo, 1, v116
	s_wait_xcnt 0x0
	v_add_nc_u64_e32 v[100:101], v[100:101], v[66:67]
	s_or_b32 s11, vcc_lo, s11
	s_delay_alu instid0(SALU_CYCLE_1)
	s_and_not1_b32 exec_lo, exec_lo, s11
	s_cbranch_execz .LBB4_6452
.LBB4_4405:                             ;   Parent Loop BB4_4329 Depth=1
                                        ; =>  This Inner Loop Header: Depth=2
	global_load_b128 v[22:25], v[96:97], off th:TH_LOAD_NT
	global_load_b128 v[18:21], v[98:99], off th:TH_LOAD_NT
	global_load_b128 v[14:17], v[96:97], off offset:512 th:TH_LOAD_NT
	global_load_b128 v[10:13], v[98:99], off offset:512 th:TH_LOAD_NT
	s_and_b32 vcc_lo, exec_lo, s12
	s_mov_b32 s13, -1
	s_wait_loadcnt 0x3
	v_and_b32_e32 v30, 0xff, v22
	v_bfe_i32 v3, v22, 0, 8
	s_wait_loadcnt 0x2
	v_bfe_i32 v0, v18, 0, 8
	s_delay_alu instid0(VALU_DEP_3)
	v_cmp_ne_u16_e64 s7, 0, v30
                                        ; implicit-def: $vgpr30
	s_cbranch_vccz .LBB4_4427
; %bb.4406:                             ;   in Loop: Header=BB4_4405 Depth=2
	v_dual_mov_b32 v52, 0 :: v_dual_mov_b32 v30, 0
	s_wait_xcnt 0x0
	s_and_saveexec_b32 s13, s7
	s_cbranch_execz .LBB4_4416
; %bb.4407:                             ;   in Loop: Header=BB4_4405 Depth=2
	v_bfrev_b32_e32 v30, 1
	s_mov_b32 s14, exec_lo
	v_cmpx_ne_u16_e32 0xff80, v3
	s_cbranch_execz .LBB4_4415
; %bb.4408:                             ;   in Loop: Header=BB4_4405 Depth=2
	v_and_b32_e32 v30, 0x7c, v22
	v_and_b32_e32 v102, 3, v22
	s_delay_alu instid0(VALU_DEP_2) | instskip(SKIP_1) | instid1(SALU_CYCLE_1)
	v_cmp_ne_u32_e32 vcc_lo, 0x7c, v30
                                        ; implicit-def: $vgpr30
	s_and_saveexec_b32 s41, vcc_lo
	s_xor_b32 s41, exec_lo, s41
	s_cbranch_execz .LBB4_4412
; %bb.4409:                             ;   in Loop: Header=BB4_4405 Depth=2
	v_bfe_u32 v30, v22, 2, 5
	s_mov_b32 s42, exec_lo
	s_delay_alu instid0(VALU_DEP_1)
	v_cmpx_eq_u32_e32 0, v30
; %bb.4410:                             ;   in Loop: Header=BB4_4405 Depth=2
	v_clz_i32_u32_e32 v30, v102
	s_delay_alu instid0(VALU_DEP_1) | instskip(NEXT) | instid1(VALU_DEP_1)
	v_min_u32_e32 v30, 32, v30
	v_subrev_nc_u32_e32 v102, 29, v30
	v_sub_nc_u32_e32 v30, 30, v30
	s_delay_alu instid0(VALU_DEP_2) | instskip(NEXT) | instid1(VALU_DEP_1)
	v_lshlrev_b64_e32 v[102:103], v102, v[22:23]
	v_and_b32_e32 v102, 3, v102
; %bb.4411:                             ;   in Loop: Header=BB4_4405 Depth=2
	s_or_b32 exec_lo, exec_lo, s42
	v_lshlrev_b32_e32 v103, 24, v22
	s_delay_alu instid0(VALU_DEP_1) | instskip(NEXT) | instid1(VALU_DEP_1)
	v_and_b32_e32 v103, 0x80000000, v103
	v_lshl_add_u32 v30, v30, 23, v103
	s_delay_alu instid0(VALU_DEP_1) | instskip(NEXT) | instid1(VALU_DEP_1)
	v_lshl_or_b32 v30, v102, 21, v30
                                        ; implicit-def: $vgpr102
	v_add_nc_u32_e32 v30, 0x38000000, v30
.LBB4_4412:                             ;   in Loop: Header=BB4_4405 Depth=2
	s_and_not1_saveexec_b32 s41, s41
; %bb.4413:                             ;   in Loop: Header=BB4_4405 Depth=2
	v_cmp_lt_i16_e32 vcc_lo, -1, v3
	v_cndmask_b32_e32 v30, 0xff800000, v109, vcc_lo
	v_cmp_eq_u32_e32 vcc_lo, 0, v102
	s_delay_alu instid0(VALU_DEP_2)
	v_cndmask_b32_e32 v30, 0x7f800001, v30, vcc_lo
; %bb.4414:                             ;   in Loop: Header=BB4_4405 Depth=2
	s_or_b32 exec_lo, exec_lo, s41
.LBB4_4415:                             ;   in Loop: Header=BB4_4405 Depth=2
	s_delay_alu instid0(SALU_CYCLE_1)
	s_or_b32 exec_lo, exec_lo, s14
.LBB4_4416:                             ;   in Loop: Header=BB4_4405 Depth=2
	s_delay_alu instid0(SALU_CYCLE_1) | instskip(NEXT) | instid1(SALU_CYCLE_1)
	s_or_b32 exec_lo, exec_lo, s13
	s_mov_b32 s13, exec_lo
	v_cmpx_ne_u16_e32 0, v0
	s_cbranch_execz .LBB4_4426
; %bb.4417:                             ;   in Loop: Header=BB4_4405 Depth=2
	v_bfrev_b32_e32 v52, 1
	s_mov_b32 s14, exec_lo
	v_cmpx_ne_u16_e32 0xff80, v0
	s_cbranch_execz .LBB4_4425
; %bb.4418:                             ;   in Loop: Header=BB4_4405 Depth=2
	v_and_b32_e32 v52, 0x7c, v18
	v_and_b32_e32 v102, 3, v18
	s_delay_alu instid0(VALU_DEP_2) | instskip(SKIP_1) | instid1(SALU_CYCLE_1)
	v_cmp_ne_u32_e32 vcc_lo, 0x7c, v52
                                        ; implicit-def: $vgpr52
	s_and_saveexec_b32 s41, vcc_lo
	s_xor_b32 s41, exec_lo, s41
	s_cbranch_execz .LBB4_4422
; %bb.4419:                             ;   in Loop: Header=BB4_4405 Depth=2
	v_bfe_u32 v52, v18, 2, 5
	s_mov_b32 s42, exec_lo
	s_delay_alu instid0(VALU_DEP_1)
	v_cmpx_eq_u32_e32 0, v52
; %bb.4420:                             ;   in Loop: Header=BB4_4405 Depth=2
	v_clz_i32_u32_e32 v52, v102
	s_delay_alu instid0(VALU_DEP_1) | instskip(NEXT) | instid1(VALU_DEP_1)
	v_min_u32_e32 v52, 32, v52
	v_subrev_nc_u32_e32 v102, 29, v52
	s_delay_alu instid0(VALU_DEP_1) | instskip(NEXT) | instid1(VALU_DEP_1)
	v_lshlrev_b64_e32 v[102:103], v102, v[18:19]
	v_dual_sub_nc_u32 v52, 30, v52 :: v_dual_bitop2_b32 v102, 3, v102 bitop3:0x40
; %bb.4421:                             ;   in Loop: Header=BB4_4405 Depth=2
	s_or_b32 exec_lo, exec_lo, s42
	v_lshlrev_b32_e32 v103, 24, v18
	s_delay_alu instid0(VALU_DEP_1) | instskip(NEXT) | instid1(VALU_DEP_1)
	v_and_b32_e32 v103, 0x80000000, v103
	v_lshl_add_u32 v52, v52, 23, v103
	s_delay_alu instid0(VALU_DEP_1) | instskip(NEXT) | instid1(VALU_DEP_1)
	v_lshl_or_b32 v52, v102, 21, v52
                                        ; implicit-def: $vgpr102
	v_add_nc_u32_e32 v52, 0x38000000, v52
.LBB4_4422:                             ;   in Loop: Header=BB4_4405 Depth=2
	s_and_not1_saveexec_b32 s41, s41
; %bb.4423:                             ;   in Loop: Header=BB4_4405 Depth=2
	v_cmp_lt_i16_e32 vcc_lo, -1, v0
	v_cndmask_b32_e32 v52, 0xff800000, v109, vcc_lo
	v_cmp_eq_u32_e32 vcc_lo, 0, v102
	s_delay_alu instid0(VALU_DEP_2)
	v_cndmask_b32_e32 v52, 0x7f800001, v52, vcc_lo
; %bb.4424:                             ;   in Loop: Header=BB4_4405 Depth=2
	s_or_b32 exec_lo, exec_lo, s41
.LBB4_4425:                             ;   in Loop: Header=BB4_4405 Depth=2
	s_delay_alu instid0(SALU_CYCLE_1)
	s_or_b32 exec_lo, exec_lo, s14
.LBB4_4426:                             ;   in Loop: Header=BB4_4405 Depth=2
	s_delay_alu instid0(SALU_CYCLE_1) | instskip(NEXT) | instid1(VALU_DEP_1)
	s_or_b32 exec_lo, exec_lo, s13
	v_dual_max_num_f32 v52, v52, v52 :: v_dual_max_num_f32 v30, v30, v30
	s_mov_b32 s13, 0
	s_delay_alu instid0(VALU_DEP_1)
	v_max_num_f32_e32 v30, v30, v52
.LBB4_4427:                             ;   in Loop: Header=BB4_4405 Depth=2
	s_and_b32 vcc_lo, exec_lo, s13
	s_cbranch_vccz .LBB4_4449
; %bb.4428:                             ;   in Loop: Header=BB4_4405 Depth=2
	v_dual_mov_b32 v52, 0 :: v_dual_mov_b32 v30, 0
	s_wait_xcnt 0x0
	s_and_saveexec_b32 s13, s7
	s_cbranch_execz .LBB4_4438
; %bb.4429:                             ;   in Loop: Header=BB4_4405 Depth=2
	v_bfrev_b32_e32 v30, 1
	s_mov_b32 s7, exec_lo
	v_cmpx_ne_u16_e32 0xff80, v3
	s_cbranch_execz .LBB4_4437
; %bb.4430:                             ;   in Loop: Header=BB4_4405 Depth=2
	v_and_b32_e32 v30, 0x7c, v22
	v_and_b32_e32 v102, 3, v22
	s_delay_alu instid0(VALU_DEP_2) | instskip(SKIP_1) | instid1(SALU_CYCLE_1)
	v_cmp_ne_u32_e32 vcc_lo, 0x7c, v30
                                        ; implicit-def: $vgpr30
	s_and_saveexec_b32 s14, vcc_lo
	s_xor_b32 s14, exec_lo, s14
	s_cbranch_execz .LBB4_4434
; %bb.4431:                             ;   in Loop: Header=BB4_4405 Depth=2
	v_bfe_u32 v3, v22, 2, 5
	s_mov_b32 s41, exec_lo
	s_delay_alu instid0(VALU_DEP_1)
	v_cmpx_eq_u32_e32 0, v3
; %bb.4432:                             ;   in Loop: Header=BB4_4405 Depth=2
	v_clz_i32_u32_e32 v3, v102
	s_delay_alu instid0(VALU_DEP_1) | instskip(NEXT) | instid1(VALU_DEP_1)
	v_min_u32_e32 v3, 32, v3
	v_subrev_nc_u32_e32 v30, 29, v3
	s_delay_alu instid0(VALU_DEP_1) | instskip(NEXT) | instid1(VALU_DEP_1)
	v_lshlrev_b64_e32 v[102:103], v30, v[22:23]
	v_dual_sub_nc_u32 v3, 30, v3 :: v_dual_bitop2_b32 v102, 3, v102 bitop3:0x40
; %bb.4433:                             ;   in Loop: Header=BB4_4405 Depth=2
	s_or_b32 exec_lo, exec_lo, s41
	v_lshlrev_b32_e32 v30, 24, v22
	s_delay_alu instid0(VALU_DEP_1) | instskip(NEXT) | instid1(VALU_DEP_1)
	v_and_b32_e32 v30, 0x80000000, v30
	v_lshl_add_u32 v3, v3, 23, v30
	s_delay_alu instid0(VALU_DEP_1) | instskip(NEXT) | instid1(VALU_DEP_1)
	v_lshl_or_b32 v3, v102, 21, v3
                                        ; implicit-def: $vgpr102
	v_add_nc_u32_e32 v30, 0x38000000, v3
                                        ; implicit-def: $vgpr3
.LBB4_4434:                             ;   in Loop: Header=BB4_4405 Depth=2
	s_and_not1_saveexec_b32 s14, s14
; %bb.4435:                             ;   in Loop: Header=BB4_4405 Depth=2
	v_cmp_lt_i16_e32 vcc_lo, -1, v3
	v_cndmask_b32_e32 v3, 0xff800000, v109, vcc_lo
	v_cmp_eq_u32_e32 vcc_lo, 0, v102
	s_delay_alu instid0(VALU_DEP_2)
	v_cndmask_b32_e32 v30, 0x7f800001, v3, vcc_lo
; %bb.4436:                             ;   in Loop: Header=BB4_4405 Depth=2
	s_or_b32 exec_lo, exec_lo, s14
.LBB4_4437:                             ;   in Loop: Header=BB4_4405 Depth=2
	s_delay_alu instid0(SALU_CYCLE_1)
	s_or_b32 exec_lo, exec_lo, s7
.LBB4_4438:                             ;   in Loop: Header=BB4_4405 Depth=2
	s_delay_alu instid0(SALU_CYCLE_1) | instskip(NEXT) | instid1(SALU_CYCLE_1)
	s_or_b32 exec_lo, exec_lo, s13
	s_mov_b32 s7, exec_lo
	v_cmpx_ne_u16_e32 0, v0
	s_cbranch_execz .LBB4_4448
; %bb.4439:                             ;   in Loop: Header=BB4_4405 Depth=2
	v_bfrev_b32_e32 v52, 1
	s_mov_b32 s13, exec_lo
	v_cmpx_ne_u16_e32 0xff80, v0
	s_cbranch_execz .LBB4_4447
; %bb.4440:                             ;   in Loop: Header=BB4_4405 Depth=2
	v_and_b32_e32 v52, 0x7c, v18
	v_and_b32_e32 v3, 3, v18
	s_delay_alu instid0(VALU_DEP_2) | instskip(SKIP_1) | instid1(SALU_CYCLE_1)
	v_cmp_ne_u32_e32 vcc_lo, 0x7c, v52
                                        ; implicit-def: $vgpr52
	s_and_saveexec_b32 s14, vcc_lo
	s_xor_b32 s14, exec_lo, s14
	s_cbranch_execz .LBB4_4444
; %bb.4441:                             ;   in Loop: Header=BB4_4405 Depth=2
	v_bfe_u32 v0, v18, 2, 5
	s_mov_b32 s41, exec_lo
	s_delay_alu instid0(VALU_DEP_1)
	v_cmpx_eq_u32_e32 0, v0
; %bb.4442:                             ;   in Loop: Header=BB4_4405 Depth=2
	v_clz_i32_u32_e32 v0, v3
	s_delay_alu instid0(VALU_DEP_1) | instskip(NEXT) | instid1(VALU_DEP_1)
	v_min_u32_e32 v0, 32, v0
	v_subrev_nc_u32_e32 v3, 29, v0
	s_delay_alu instid0(VALU_DEP_1) | instskip(NEXT) | instid1(VALU_DEP_1)
	v_lshlrev_b64_e32 v[102:103], v3, v[18:19]
	v_dual_sub_nc_u32 v0, 30, v0 :: v_dual_bitop2_b32 v3, 3, v102 bitop3:0x40
; %bb.4443:                             ;   in Loop: Header=BB4_4405 Depth=2
	s_or_b32 exec_lo, exec_lo, s41
	v_lshlrev_b32_e32 v52, 24, v18
	s_delay_alu instid0(VALU_DEP_1) | instskip(NEXT) | instid1(VALU_DEP_1)
	v_and_b32_e32 v52, 0x80000000, v52
	v_lshl_add_u32 v0, v0, 23, v52
	s_delay_alu instid0(VALU_DEP_1) | instskip(NEXT) | instid1(VALU_DEP_1)
	v_lshl_or_b32 v0, v3, 21, v0
                                        ; implicit-def: $vgpr3
	v_add_nc_u32_e32 v52, 0x38000000, v0
                                        ; implicit-def: $vgpr0
.LBB4_4444:                             ;   in Loop: Header=BB4_4405 Depth=2
	s_and_not1_saveexec_b32 s14, s14
; %bb.4445:                             ;   in Loop: Header=BB4_4405 Depth=2
	v_cmp_lt_i16_e32 vcc_lo, -1, v0
	v_cndmask_b32_e32 v0, 0xff800000, v109, vcc_lo
	v_cmp_eq_u32_e32 vcc_lo, 0, v3
	s_delay_alu instid0(VALU_DEP_2)
	v_cndmask_b32_e32 v52, 0x7f800001, v0, vcc_lo
; %bb.4446:                             ;   in Loop: Header=BB4_4405 Depth=2
	s_or_b32 exec_lo, exec_lo, s14
.LBB4_4447:                             ;   in Loop: Header=BB4_4405 Depth=2
	s_delay_alu instid0(SALU_CYCLE_1)
	s_or_b32 exec_lo, exec_lo, s13
.LBB4_4448:                             ;   in Loop: Header=BB4_4405 Depth=2
	s_delay_alu instid0(SALU_CYCLE_1) | instskip(NEXT) | instid1(VALU_DEP_1)
	s_or_b32 exec_lo, exec_lo, s7
	v_dual_max_num_f32 v0, v52, v52 :: v_dual_max_num_f32 v3, v30, v30
	s_delay_alu instid0(VALU_DEP_1)
	v_min_num_f32_e32 v30, v3, v0
.LBB4_4449:                             ;   in Loop: Header=BB4_4405 Depth=2
	s_delay_alu instid0(VALU_DEP_1) | instskip(SKIP_4) | instid1(VALU_DEP_2)
	v_and_b32_e32 v102, 0x7f800000, v30
	v_dual_mov_b32 v103, v53 :: v_dual_lshrrev_b32 v0, 24, v30
	v_and_b32_e32 v52, 0x7fffff, v30
                                        ; implicit-def: $vgpr117
	s_mov_b32 s7, exec_lo
	s_wait_xcnt 0x0
	v_cmpx_ne_u64_e32 0x7f800000, v[102:103]
	s_xor_b32 s13, exec_lo, s7
	s_cbranch_execz .LBB4_4463
; %bb.4450:                             ;   in Loop: Header=BB4_4405 Depth=2
	v_and_b32_e32 v102, 0x7fffffff, v30
	v_mov_b32_e32 v103, v53
	v_and_b32_e32 v0, 0x80, v0
                                        ; implicit-def: $vgpr117
	s_mov_b32 s7, exec_lo
	s_delay_alu instid0(VALU_DEP_2)
	v_cmpx_gt_u64_e32 0x47600001, v[102:103]
	s_xor_b32 s14, exec_lo, s7
	s_cbranch_execz .LBB4_4460
; %bb.4451:                             ;   in Loop: Header=BB4_4405 Depth=2
	v_mov_b32_e32 v117, 0
	s_mov_b32 s41, exec_lo
	v_cmpx_ne_u32_e32 0, v30
	s_cbranch_execz .LBB4_4459
; %bb.4452:                             ;   in Loop: Header=BB4_4405 Depth=2
	v_bfe_u32 v3, v30, 23, 8
	v_or_b32_e32 v112, 0x800000, v52
	s_delay_alu instid0(VALU_DEP_2) | instskip(SKIP_1) | instid1(VALU_DEP_2)
	v_sub_nc_u32_e32 v30, 0x71, v3
	v_cmp_gt_u32_e32 vcc_lo, 0x72, v3
	v_cndmask_b32_e32 v30, 0, v30, vcc_lo
	v_cmp_eq_u32_e32 vcc_lo, 0, v3
	v_cndmask_b32_e32 v52, v112, v52, vcc_lo
	s_delay_alu instid0(VALU_DEP_3) | instskip(NEXT) | instid1(VALU_DEP_1)
	v_cndmask_b32_e64 v30, v30, 0x70, vcc_lo
	v_dual_add_nc_u32 v102, 21, v30 :: v_dual_add_nc_u32 v113, 20, v30
	s_delay_alu instid0(VALU_DEP_1) | instskip(NEXT) | instid1(VALU_DEP_2)
	v_lshlrev_b64_e64 v[102:103], v102, -1
	v_lshlrev_b64_e64 v[112:113], v113, 1
	s_delay_alu instid0(VALU_DEP_2) | instskip(NEXT) | instid1(VALU_DEP_3)
	v_bfi_b32 v115, v103, 0, 0
	v_bfi_b32 v114, v102, 0, v52
	v_lshrrev_b64 v[102:103], v30, v[52:53]
	s_delay_alu instid0(VALU_DEP_2) | instskip(NEXT) | instid1(VALU_DEP_2)
	v_cmp_eq_u64_e64 s7, v[114:115], v[112:113]
	v_mov_b64_e32 v[112:113], v[102:103]
	s_and_saveexec_b32 s42, s7
; %bb.4453:                             ;   in Loop: Header=BB4_4405 Depth=2
	v_bfe_u32 v52, v102, 21, 1
	s_delay_alu instid0(VALU_DEP_1) | instskip(NEXT) | instid1(VALU_DEP_1)
	v_add_nc_u64_e32 v[112:113], v[102:103], v[52:53]
	v_add_nc_u64_e32 v[112:113], -1, v[112:113]
; %bb.4454:                             ;   in Loop: Header=BB4_4405 Depth=2
	s_or_b32 exec_lo, exec_lo, s42
	v_add_nc_u32_e32 v3, 0xffffff81, v3
	v_lshrrev_b32_e32 v52, 23, v102
	s_mov_b32 s7, exec_lo
	s_delay_alu instid0(VALU_DEP_2) | instskip(NEXT) | instid1(VALU_DEP_1)
	v_cndmask_b32_e64 v3, v3, 0xffffff82, vcc_lo
	v_add3_u32 v30, v30, v3, v52
	v_and_b32_e32 v3, 0x1fffff, v112
	s_delay_alu instid0(VALU_DEP_2) | instskip(NEXT) | instid1(VALU_DEP_2)
	v_add_nc_u32_e32 v112, 14, v30
	v_add_nc_u32_e32 v52, v3, v102
                                        ; implicit-def: $vgpr102_vgpr103
                                        ; implicit-def: $vgpr3
	s_delay_alu instid0(VALU_DEP_2)
	v_cmpx_ne_u32_e32 0, v112
	s_xor_b32 s7, exec_lo, s7
; %bb.4455:                             ;   in Loop: Header=BB4_4405 Depth=2
	s_delay_alu instid0(VALU_DEP_2) | instskip(SKIP_2) | instid1(VALU_DEP_2)
	v_cmp_lt_u64_e32 vcc_lo, 0xffffff, v[52:53]
	v_add_nc_u32_e32 v3, 15, v30
	v_cndmask_b32_e64 v30, 0, 1, vcc_lo
	v_cndmask_b32_e32 v3, v112, v3, vcc_lo
	s_delay_alu instid0(VALU_DEP_2)
	v_lshrrev_b64 v[102:103], v30, v[52:53]
; %bb.4456:                             ;   in Loop: Header=BB4_4405 Depth=2
	s_and_not1_saveexec_b32 s7, s7
; %bb.4457:                             ;   in Loop: Header=BB4_4405 Depth=2
	v_mov_b64_e32 v[102:103], v[52:53]
	v_bfe_u32 v3, v52, 23, 1
; %bb.4458:                             ;   in Loop: Header=BB4_4405 Depth=2
	s_or_b32 exec_lo, exec_lo, s7
	s_delay_alu instid0(VALU_DEP_2) | instskip(NEXT) | instid1(VALU_DEP_2)
	v_lshrrev_b64 v[102:103], 21, v[102:103]
	v_cmp_gt_i32_e32 vcc_lo, 32, v3
	v_min_i32_e32 v30, 31, v3
	v_cmp_eq_u32_e64 s7, 0, v3
	s_delay_alu instid0(VALU_DEP_4) | instskip(NEXT) | instid1(VALU_DEP_3)
	v_cndmask_b32_e32 v102, 3, v102, vcc_lo
	v_dual_cndmask_b32 v103, 0, v103 :: v_dual_lshlrev_b32 v30, 2, v30
	s_delay_alu instid0(VALU_DEP_1) | instskip(NEXT) | instid1(VALU_DEP_2)
	v_and_b32_e32 v30, 0xfc, v30
	v_cmp_eq_u64_e32 vcc_lo, 0, v[102:103]
	s_delay_alu instid0(VALU_DEP_2)
	v_and_or_b32 v3, v102, 3, v30
	s_and_b32 s7, s7, vcc_lo
	s_delay_alu instid0(VALU_DEP_1) | instid1(SALU_CYCLE_1)
	v_cndmask_b32_e64 v3, v3, 0, s7
	s_delay_alu instid0(VALU_DEP_1)
	v_or_b32_e32 v117, v3, v0
.LBB4_4459:                             ;   in Loop: Header=BB4_4405 Depth=2
	s_or_b32 exec_lo, exec_lo, s41
                                        ; implicit-def: $vgpr0
.LBB4_4460:                             ;   in Loop: Header=BB4_4405 Depth=2
	s_and_not1_saveexec_b32 s7, s14
; %bb.4461:                             ;   in Loop: Header=BB4_4405 Depth=2
	v_or_b32_e32 v117, 0x7b, v0
; %bb.4462:                             ;   in Loop: Header=BB4_4405 Depth=2
	s_or_b32 exec_lo, exec_lo, s7
                                        ; implicit-def: $vgpr30
                                        ; implicit-def: $vgpr0
.LBB4_4463:                             ;   in Loop: Header=BB4_4405 Depth=2
	s_and_not1_saveexec_b32 s7, s13
	s_cbranch_execz .LBB4_4469
; %bb.4464:                             ;   in Loop: Header=BB4_4405 Depth=2
	s_mov_b32 s13, exec_lo
                                        ; implicit-def: $vgpr117
	v_cmpx_ne_u64_e32 0, v[52:53]
	s_xor_b32 s13, exec_lo, s13
; %bb.4465:                             ;   in Loop: Header=BB4_4405 Depth=2
	v_or_b32_e32 v117, 0x7f, v0
                                        ; implicit-def: $vgpr30
; %bb.4466:                             ;   in Loop: Header=BB4_4405 Depth=2
	s_and_not1_saveexec_b32 s13, s13
; %bb.4467:                             ;   in Loop: Header=BB4_4405 Depth=2
	v_cmp_lt_i32_e32 vcc_lo, -1, v30
	v_cndmask_b32_e32 v117, 0xfc, v110, vcc_lo
; %bb.4468:                             ;   in Loop: Header=BB4_4405 Depth=2
	s_or_b32 exec_lo, exec_lo, s13
.LBB4_4469:                             ;   in Loop: Header=BB4_4405 Depth=2
	s_delay_alu instid0(SALU_CYCLE_1) | instskip(SKIP_4) | instid1(VALU_DEP_2)
	s_or_b32 exec_lo, exec_lo, s7
	v_lshrrev_b16 v52, 8, v22
	v_lshrrev_b16 v102, 8, v18
	s_and_b32 vcc_lo, exec_lo, s12
	s_mov_b32 s13, -1
                                        ; implicit-def: $vgpr3
	v_and_b32_e32 v0, 0xffff, v52
	v_cmp_ne_u16_e64 s7, 0, v52
	s_cbranch_vccz .LBB4_4491
; %bb.4470:                             ;   in Loop: Header=BB4_4405 Depth=2
	v_dual_mov_b32 v30, 0 :: v_dual_mov_b32 v3, 0
	s_and_saveexec_b32 s13, s7
	s_cbranch_execz .LBB4_4480
; %bb.4471:                             ;   in Loop: Header=BB4_4405 Depth=2
	v_bfrev_b32_e32 v3, 1
	s_mov_b32 s14, exec_lo
	v_cmpx_ne_u16_e32 0x80, v52
	s_cbranch_execz .LBB4_4479
; %bb.4472:                             ;   in Loop: Header=BB4_4405 Depth=2
	v_and_b32_e32 v3, 0x7c, v0
	v_and_b32_e32 v103, 3, v0
	s_delay_alu instid0(VALU_DEP_2) | instskip(SKIP_1) | instid1(SALU_CYCLE_1)
	v_cmp_ne_u32_e32 vcc_lo, 0x7c, v3
                                        ; implicit-def: $vgpr3
	s_and_saveexec_b32 s41, vcc_lo
	s_xor_b32 s41, exec_lo, s41
	s_cbranch_execz .LBB4_4476
; %bb.4473:                             ;   in Loop: Header=BB4_4405 Depth=2
	v_bfe_u32 v3, v0, 2, 5
	s_mov_b32 s42, exec_lo
	s_delay_alu instid0(VALU_DEP_1)
	v_cmpx_eq_u32_e32 0, v3
; %bb.4474:                             ;   in Loop: Header=BB4_4405 Depth=2
	v_clz_i32_u32_e32 v3, v103
	s_delay_alu instid0(VALU_DEP_1) | instskip(NEXT) | instid1(VALU_DEP_1)
	v_min_u32_e32 v3, 32, v3
	v_subrev_nc_u32_e32 v103, 29, v3
	s_delay_alu instid0(VALU_DEP_1) | instskip(NEXT) | instid1(VALU_DEP_1)
	v_lshlrev_b64_e32 v[112:113], v103, v[52:53]
	v_dual_sub_nc_u32 v3, 30, v3 :: v_dual_bitop2_b32 v103, 3, v112 bitop3:0x40
; %bb.4475:                             ;   in Loop: Header=BB4_4405 Depth=2
	s_or_b32 exec_lo, exec_lo, s42
	v_lshlrev_b32_e32 v112, 16, v22
	s_delay_alu instid0(VALU_DEP_1) | instskip(NEXT) | instid1(VALU_DEP_1)
	v_and_b32_e32 v112, 0x80000000, v112
	v_lshl_add_u32 v3, v3, 23, v112
	s_delay_alu instid0(VALU_DEP_1) | instskip(NEXT) | instid1(VALU_DEP_1)
	v_lshl_or_b32 v3, v103, 21, v3
                                        ; implicit-def: $vgpr103
	v_add_nc_u32_e32 v3, 0x38000000, v3
.LBB4_4476:                             ;   in Loop: Header=BB4_4405 Depth=2
	s_and_not1_saveexec_b32 s41, s41
; %bb.4477:                             ;   in Loop: Header=BB4_4405 Depth=2
	v_cmp_lt_i16_e32 vcc_lo, -1, v22
	v_cndmask_b32_e32 v3, 0xff800000, v109, vcc_lo
	v_cmp_eq_u32_e32 vcc_lo, 0, v103
	s_delay_alu instid0(VALU_DEP_2)
	v_cndmask_b32_e32 v3, 0x7f800001, v3, vcc_lo
; %bb.4478:                             ;   in Loop: Header=BB4_4405 Depth=2
	s_or_b32 exec_lo, exec_lo, s41
.LBB4_4479:                             ;   in Loop: Header=BB4_4405 Depth=2
	s_delay_alu instid0(SALU_CYCLE_1)
	s_or_b32 exec_lo, exec_lo, s14
.LBB4_4480:                             ;   in Loop: Header=BB4_4405 Depth=2
	s_delay_alu instid0(SALU_CYCLE_1) | instskip(NEXT) | instid1(SALU_CYCLE_1)
	s_or_b32 exec_lo, exec_lo, s13
	s_mov_b32 s13, exec_lo
	v_cmpx_ne_u16_e32 0, v102
	s_cbranch_execz .LBB4_4490
; %bb.4481:                             ;   in Loop: Header=BB4_4405 Depth=2
	v_bfrev_b32_e32 v30, 1
	s_mov_b32 s14, exec_lo
	v_cmpx_ne_u16_e32 0x80, v102
	s_cbranch_execz .LBB4_4489
; %bb.4482:                             ;   in Loop: Header=BB4_4405 Depth=2
	v_and_b32_e32 v112, 0xffff, v102
	s_delay_alu instid0(VALU_DEP_1) | instskip(SKIP_1) | instid1(VALU_DEP_2)
	v_and_b32_e32 v30, 0x7c, v112
	v_and_b32_e32 v103, 3, v112
	v_cmp_ne_u32_e32 vcc_lo, 0x7c, v30
                                        ; implicit-def: $vgpr30
	s_and_saveexec_b32 s41, vcc_lo
	s_delay_alu instid0(SALU_CYCLE_1)
	s_xor_b32 s41, exec_lo, s41
	s_cbranch_execz .LBB4_4486
; %bb.4483:                             ;   in Loop: Header=BB4_4405 Depth=2
	v_bfe_u32 v30, v112, 2, 5
	s_mov_b32 s42, exec_lo
	s_delay_alu instid0(VALU_DEP_1)
	v_cmpx_eq_u32_e32 0, v30
	s_cbranch_execz .LBB4_4485
; %bb.4484:                             ;   in Loop: Header=BB4_4405 Depth=2
	v_clz_i32_u32_e32 v30, v103
	s_delay_alu instid0(VALU_DEP_1) | instskip(SKIP_1) | instid1(VALU_DEP_2)
	v_min_u32_e32 v30, 32, v30
	v_mov_b32_e32 v103, v53
	v_subrev_nc_u32_e32 v112, 29, v30
	v_sub_nc_u32_e32 v30, 30, v30
	s_delay_alu instid0(VALU_DEP_2) | instskip(NEXT) | instid1(VALU_DEP_1)
	v_lshlrev_b64_e32 v[112:113], v112, v[102:103]
	v_and_b32_e32 v103, 3, v112
.LBB4_4485:                             ;   in Loop: Header=BB4_4405 Depth=2
	s_or_b32 exec_lo, exec_lo, s42
	v_lshlrev_b32_e32 v112, 16, v18
	s_delay_alu instid0(VALU_DEP_1) | instskip(NEXT) | instid1(VALU_DEP_1)
	v_and_b32_e32 v112, 0x80000000, v112
	v_lshl_add_u32 v30, v30, 23, v112
	s_delay_alu instid0(VALU_DEP_1) | instskip(NEXT) | instid1(VALU_DEP_1)
	v_lshl_or_b32 v30, v103, 21, v30
                                        ; implicit-def: $vgpr103
	v_add_nc_u32_e32 v30, 0x38000000, v30
.LBB4_4486:                             ;   in Loop: Header=BB4_4405 Depth=2
	s_and_not1_saveexec_b32 s41, s41
; %bb.4487:                             ;   in Loop: Header=BB4_4405 Depth=2
	v_cmp_lt_i16_e32 vcc_lo, -1, v18
	v_cndmask_b32_e32 v30, 0xff800000, v109, vcc_lo
	v_cmp_eq_u32_e32 vcc_lo, 0, v103
	s_delay_alu instid0(VALU_DEP_2)
	v_cndmask_b32_e32 v30, 0x7f800001, v30, vcc_lo
; %bb.4488:                             ;   in Loop: Header=BB4_4405 Depth=2
	s_or_b32 exec_lo, exec_lo, s41
.LBB4_4489:                             ;   in Loop: Header=BB4_4405 Depth=2
	s_delay_alu instid0(SALU_CYCLE_1)
	s_or_b32 exec_lo, exec_lo, s14
.LBB4_4490:                             ;   in Loop: Header=BB4_4405 Depth=2
	s_delay_alu instid0(SALU_CYCLE_1) | instskip(NEXT) | instid1(VALU_DEP_1)
	s_or_b32 exec_lo, exec_lo, s13
	v_dual_max_num_f32 v30, v30, v30 :: v_dual_max_num_f32 v3, v3, v3
	s_mov_b32 s13, 0
	s_delay_alu instid0(VALU_DEP_1)
	v_max_num_f32_e32 v3, v3, v30
.LBB4_4491:                             ;   in Loop: Header=BB4_4405 Depth=2
	s_and_b32 vcc_lo, exec_lo, s13
	s_cbranch_vccz .LBB4_4513
; %bb.4492:                             ;   in Loop: Header=BB4_4405 Depth=2
	v_dual_mov_b32 v30, 0 :: v_dual_mov_b32 v3, 0
	s_and_saveexec_b32 s13, s7
	s_cbranch_execz .LBB4_4502
; %bb.4493:                             ;   in Loop: Header=BB4_4405 Depth=2
	v_bfrev_b32_e32 v3, 1
	s_mov_b32 s7, exec_lo
	v_cmpx_ne_u16_e32 0x80, v52
	s_cbranch_execz .LBB4_4501
; %bb.4494:                             ;   in Loop: Header=BB4_4405 Depth=2
	v_and_b32_e32 v3, 0x7c, v0
	v_and_b32_e32 v103, 3, v0
	s_delay_alu instid0(VALU_DEP_2) | instskip(SKIP_1) | instid1(SALU_CYCLE_1)
	v_cmp_ne_u32_e32 vcc_lo, 0x7c, v3
                                        ; implicit-def: $vgpr3
	s_and_saveexec_b32 s14, vcc_lo
	s_xor_b32 s14, exec_lo, s14
	s_cbranch_execz .LBB4_4498
; %bb.4495:                             ;   in Loop: Header=BB4_4405 Depth=2
	v_bfe_u32 v0, v0, 2, 5
	s_mov_b32 s41, exec_lo
	s_delay_alu instid0(VALU_DEP_1)
	v_cmpx_eq_u32_e32 0, v0
; %bb.4496:                             ;   in Loop: Header=BB4_4405 Depth=2
	v_clz_i32_u32_e32 v0, v103
	s_delay_alu instid0(VALU_DEP_1) | instskip(NEXT) | instid1(VALU_DEP_1)
	v_min_u32_e32 v0, 32, v0
	v_subrev_nc_u32_e32 v3, 29, v0
	v_sub_nc_u32_e32 v0, 30, v0
	s_delay_alu instid0(VALU_DEP_2) | instskip(NEXT) | instid1(VALU_DEP_1)
	v_lshlrev_b64_e32 v[112:113], v3, v[52:53]
	v_and_b32_e32 v103, 3, v112
; %bb.4497:                             ;   in Loop: Header=BB4_4405 Depth=2
	s_or_b32 exec_lo, exec_lo, s41
	v_lshlrev_b32_e32 v3, 16, v22
	s_delay_alu instid0(VALU_DEP_1) | instskip(NEXT) | instid1(VALU_DEP_1)
	v_and_b32_e32 v3, 0x80000000, v3
	v_lshl_add_u32 v0, v0, 23, v3
	s_delay_alu instid0(VALU_DEP_1) | instskip(NEXT) | instid1(VALU_DEP_1)
	v_lshl_or_b32 v0, v103, 21, v0
                                        ; implicit-def: $vgpr103
	v_add_nc_u32_e32 v3, 0x38000000, v0
.LBB4_4498:                             ;   in Loop: Header=BB4_4405 Depth=2
	s_and_not1_saveexec_b32 s14, s14
; %bb.4499:                             ;   in Loop: Header=BB4_4405 Depth=2
	v_cmp_lt_i16_e32 vcc_lo, -1, v22
	v_cndmask_b32_e32 v0, 0xff800000, v109, vcc_lo
	v_cmp_eq_u32_e32 vcc_lo, 0, v103
	s_delay_alu instid0(VALU_DEP_2)
	v_cndmask_b32_e32 v3, 0x7f800001, v0, vcc_lo
; %bb.4500:                             ;   in Loop: Header=BB4_4405 Depth=2
	s_or_b32 exec_lo, exec_lo, s14
.LBB4_4501:                             ;   in Loop: Header=BB4_4405 Depth=2
	s_delay_alu instid0(SALU_CYCLE_1)
	s_or_b32 exec_lo, exec_lo, s7
.LBB4_4502:                             ;   in Loop: Header=BB4_4405 Depth=2
	s_delay_alu instid0(SALU_CYCLE_1) | instskip(NEXT) | instid1(SALU_CYCLE_1)
	s_or_b32 exec_lo, exec_lo, s13
	s_mov_b32 s7, exec_lo
	v_cmpx_ne_u16_e32 0, v102
	s_cbranch_execz .LBB4_4512
; %bb.4503:                             ;   in Loop: Header=BB4_4405 Depth=2
	v_bfrev_b32_e32 v30, 1
	s_mov_b32 s13, exec_lo
	v_cmpx_ne_u16_e32 0x80, v102
	s_cbranch_execz .LBB4_4511
; %bb.4504:                             ;   in Loop: Header=BB4_4405 Depth=2
	v_and_b32_e32 v52, 0xffff, v102
	s_delay_alu instid0(VALU_DEP_1) | instskip(SKIP_1) | instid1(VALU_DEP_2)
	v_and_b32_e32 v30, 0x7c, v52
	v_and_b32_e32 v0, 3, v52
	v_cmp_ne_u32_e32 vcc_lo, 0x7c, v30
                                        ; implicit-def: $vgpr30
	s_and_saveexec_b32 s14, vcc_lo
	s_delay_alu instid0(SALU_CYCLE_1)
	s_xor_b32 s14, exec_lo, s14
	s_cbranch_execz .LBB4_4508
; %bb.4505:                             ;   in Loop: Header=BB4_4405 Depth=2
	v_bfe_u32 v30, v52, 2, 5
	s_mov_b32 s41, exec_lo
	s_delay_alu instid0(VALU_DEP_1)
	v_cmpx_eq_u32_e32 0, v30
; %bb.4506:                             ;   in Loop: Header=BB4_4405 Depth=2
	v_clz_i32_u32_e32 v0, v0
	s_delay_alu instid0(VALU_DEP_1) | instskip(SKIP_1) | instid1(VALU_DEP_2)
	v_min_u32_e32 v0, 32, v0
	v_mov_b32_e32 v103, v53
	v_subrev_nc_u32_e32 v30, 29, v0
	s_delay_alu instid0(VALU_DEP_1) | instskip(NEXT) | instid1(VALU_DEP_1)
	v_lshlrev_b64_e32 v[102:103], v30, v[102:103]
	v_dual_sub_nc_u32 v30, 30, v0 :: v_dual_bitop2_b32 v0, 3, v102 bitop3:0x40
; %bb.4507:                             ;   in Loop: Header=BB4_4405 Depth=2
	s_or_b32 exec_lo, exec_lo, s41
	v_lshlrev_b32_e32 v52, 16, v18
	s_delay_alu instid0(VALU_DEP_1) | instskip(NEXT) | instid1(VALU_DEP_1)
	v_and_b32_e32 v52, 0x80000000, v52
	v_lshl_add_u32 v30, v30, 23, v52
	s_delay_alu instid0(VALU_DEP_1) | instskip(NEXT) | instid1(VALU_DEP_1)
	v_lshl_or_b32 v0, v0, 21, v30
	v_add_nc_u32_e32 v30, 0x38000000, v0
                                        ; implicit-def: $vgpr0
.LBB4_4508:                             ;   in Loop: Header=BB4_4405 Depth=2
	s_and_not1_saveexec_b32 s14, s14
; %bb.4509:                             ;   in Loop: Header=BB4_4405 Depth=2
	v_cmp_lt_i16_e32 vcc_lo, -1, v18
	v_cndmask_b32_e32 v30, 0xff800000, v109, vcc_lo
	v_cmp_eq_u32_e32 vcc_lo, 0, v0
	s_delay_alu instid0(VALU_DEP_2)
	v_cndmask_b32_e32 v30, 0x7f800001, v30, vcc_lo
; %bb.4510:                             ;   in Loop: Header=BB4_4405 Depth=2
	s_or_b32 exec_lo, exec_lo, s14
.LBB4_4511:                             ;   in Loop: Header=BB4_4405 Depth=2
	s_delay_alu instid0(SALU_CYCLE_1)
	s_or_b32 exec_lo, exec_lo, s13
.LBB4_4512:                             ;   in Loop: Header=BB4_4405 Depth=2
	s_delay_alu instid0(SALU_CYCLE_1) | instskip(NEXT) | instid1(VALU_DEP_1)
	s_or_b32 exec_lo, exec_lo, s7
	v_dual_max_num_f32 v0, v30, v30 :: v_dual_max_num_f32 v3, v3, v3
	s_delay_alu instid0(VALU_DEP_1)
	v_min_num_f32_e32 v3, v3, v0
.LBB4_4513:                             ;   in Loop: Header=BB4_4405 Depth=2
	s_delay_alu instid0(VALU_DEP_1) | instskip(SKIP_3) | instid1(VALU_DEP_2)
	v_and_b32_e32 v102, 0x7f800000, v3
	v_dual_mov_b32 v103, v53 :: v_dual_lshrrev_b32 v0, 24, v3
	v_and_b32_e32 v52, 0x7fffff, v3
                                        ; implicit-def: $vgpr118
	s_mov_b32 s7, exec_lo
	v_cmpx_ne_u64_e32 0x7f800000, v[102:103]
	s_xor_b32 s13, exec_lo, s7
	s_cbranch_execz .LBB4_4527
; %bb.4514:                             ;   in Loop: Header=BB4_4405 Depth=2
	v_and_b32_e32 v102, 0x7fffffff, v3
	v_mov_b32_e32 v103, v53
	v_and_b32_e32 v0, 0x80, v0
                                        ; implicit-def: $vgpr118
	s_mov_b32 s7, exec_lo
	s_delay_alu instid0(VALU_DEP_2)
	v_cmpx_gt_u64_e32 0x47600001, v[102:103]
	s_xor_b32 s14, exec_lo, s7
	s_cbranch_execz .LBB4_4524
; %bb.4515:                             ;   in Loop: Header=BB4_4405 Depth=2
	v_mov_b32_e32 v118, 0
	s_mov_b32 s41, exec_lo
	v_cmpx_ne_u32_e32 0, v3
	s_cbranch_execz .LBB4_4523
; %bb.4516:                             ;   in Loop: Header=BB4_4405 Depth=2
	v_bfe_u32 v3, v3, 23, 8
	v_or_b32_e32 v112, 0x800000, v52
	s_delay_alu instid0(VALU_DEP_2) | instskip(SKIP_1) | instid1(VALU_DEP_2)
	v_sub_nc_u32_e32 v30, 0x71, v3
	v_cmp_gt_u32_e32 vcc_lo, 0x72, v3
	v_cndmask_b32_e32 v30, 0, v30, vcc_lo
	v_cmp_eq_u32_e32 vcc_lo, 0, v3
	v_cndmask_b32_e32 v52, v112, v52, vcc_lo
	s_delay_alu instid0(VALU_DEP_3) | instskip(NEXT) | instid1(VALU_DEP_1)
	v_cndmask_b32_e64 v30, v30, 0x70, vcc_lo
	v_dual_add_nc_u32 v102, 21, v30 :: v_dual_add_nc_u32 v113, 20, v30
	s_delay_alu instid0(VALU_DEP_1) | instskip(NEXT) | instid1(VALU_DEP_2)
	v_lshlrev_b64_e64 v[102:103], v102, -1
	v_lshlrev_b64_e64 v[112:113], v113, 1
	s_delay_alu instid0(VALU_DEP_2) | instskip(NEXT) | instid1(VALU_DEP_3)
	v_bfi_b32 v115, v103, 0, 0
	v_bfi_b32 v114, v102, 0, v52
	v_lshrrev_b64 v[102:103], v30, v[52:53]
	s_delay_alu instid0(VALU_DEP_2) | instskip(NEXT) | instid1(VALU_DEP_2)
	v_cmp_eq_u64_e64 s7, v[114:115], v[112:113]
	v_mov_b64_e32 v[112:113], v[102:103]
	s_and_saveexec_b32 s42, s7
; %bb.4517:                             ;   in Loop: Header=BB4_4405 Depth=2
	v_bfe_u32 v52, v102, 21, 1
	s_delay_alu instid0(VALU_DEP_1) | instskip(NEXT) | instid1(VALU_DEP_1)
	v_add_nc_u64_e32 v[112:113], v[102:103], v[52:53]
	v_add_nc_u64_e32 v[112:113], -1, v[112:113]
; %bb.4518:                             ;   in Loop: Header=BB4_4405 Depth=2
	s_or_b32 exec_lo, exec_lo, s42
	v_add_nc_u32_e32 v3, 0xffffff81, v3
	v_lshrrev_b32_e32 v52, 23, v102
	s_mov_b32 s7, exec_lo
	s_delay_alu instid0(VALU_DEP_2) | instskip(NEXT) | instid1(VALU_DEP_1)
	v_cndmask_b32_e64 v3, v3, 0xffffff82, vcc_lo
	v_add3_u32 v30, v30, v3, v52
	v_and_b32_e32 v3, 0x1fffff, v112
	s_delay_alu instid0(VALU_DEP_2) | instskip(NEXT) | instid1(VALU_DEP_2)
	v_add_nc_u32_e32 v112, 14, v30
	v_add_nc_u32_e32 v52, v3, v102
                                        ; implicit-def: $vgpr102_vgpr103
                                        ; implicit-def: $vgpr3
	s_delay_alu instid0(VALU_DEP_2)
	v_cmpx_ne_u32_e32 0, v112
	s_xor_b32 s7, exec_lo, s7
; %bb.4519:                             ;   in Loop: Header=BB4_4405 Depth=2
	s_delay_alu instid0(VALU_DEP_2) | instskip(SKIP_2) | instid1(VALU_DEP_2)
	v_cmp_lt_u64_e32 vcc_lo, 0xffffff, v[52:53]
	v_add_nc_u32_e32 v3, 15, v30
	v_cndmask_b32_e64 v30, 0, 1, vcc_lo
	v_cndmask_b32_e32 v3, v112, v3, vcc_lo
	s_delay_alu instid0(VALU_DEP_2)
	v_lshrrev_b64 v[102:103], v30, v[52:53]
; %bb.4520:                             ;   in Loop: Header=BB4_4405 Depth=2
	s_and_not1_saveexec_b32 s7, s7
; %bb.4521:                             ;   in Loop: Header=BB4_4405 Depth=2
	v_mov_b64_e32 v[102:103], v[52:53]
	v_bfe_u32 v3, v52, 23, 1
; %bb.4522:                             ;   in Loop: Header=BB4_4405 Depth=2
	s_or_b32 exec_lo, exec_lo, s7
	s_delay_alu instid0(VALU_DEP_2) | instskip(NEXT) | instid1(VALU_DEP_2)
	v_lshrrev_b64 v[102:103], 21, v[102:103]
	v_cmp_gt_i32_e32 vcc_lo, 32, v3
	v_min_i32_e32 v30, 31, v3
	v_cmp_eq_u32_e64 s7, 0, v3
	s_delay_alu instid0(VALU_DEP_4) | instskip(NEXT) | instid1(VALU_DEP_3)
	v_cndmask_b32_e32 v102, 3, v102, vcc_lo
	v_dual_cndmask_b32 v103, 0, v103 :: v_dual_lshlrev_b32 v30, 2, v30
	s_delay_alu instid0(VALU_DEP_1) | instskip(NEXT) | instid1(VALU_DEP_2)
	v_and_b32_e32 v30, 0xfc, v30
	v_cmp_eq_u64_e32 vcc_lo, 0, v[102:103]
	s_delay_alu instid0(VALU_DEP_2)
	v_and_or_b32 v3, v102, 3, v30
	s_and_b32 s7, s7, vcc_lo
	s_delay_alu instid0(VALU_DEP_1) | instid1(SALU_CYCLE_1)
	v_cndmask_b32_e64 v3, v3, 0, s7
	s_delay_alu instid0(VALU_DEP_1)
	v_or_b32_e32 v118, v3, v0
.LBB4_4523:                             ;   in Loop: Header=BB4_4405 Depth=2
	s_or_b32 exec_lo, exec_lo, s41
                                        ; implicit-def: $vgpr0
.LBB4_4524:                             ;   in Loop: Header=BB4_4405 Depth=2
	s_and_not1_saveexec_b32 s7, s14
; %bb.4525:                             ;   in Loop: Header=BB4_4405 Depth=2
	v_or_b32_e32 v118, 0x7b, v0
; %bb.4526:                             ;   in Loop: Header=BB4_4405 Depth=2
	s_or_b32 exec_lo, exec_lo, s7
                                        ; implicit-def: $vgpr3
                                        ; implicit-def: $vgpr0
.LBB4_4527:                             ;   in Loop: Header=BB4_4405 Depth=2
	s_and_not1_saveexec_b32 s7, s13
	s_cbranch_execz .LBB4_4533
; %bb.4528:                             ;   in Loop: Header=BB4_4405 Depth=2
	s_mov_b32 s13, exec_lo
                                        ; implicit-def: $vgpr118
	v_cmpx_ne_u64_e32 0, v[52:53]
	s_xor_b32 s13, exec_lo, s13
; %bb.4529:                             ;   in Loop: Header=BB4_4405 Depth=2
	v_or_b32_e32 v118, 0x7f, v0
                                        ; implicit-def: $vgpr3
; %bb.4530:                             ;   in Loop: Header=BB4_4405 Depth=2
	s_and_not1_saveexec_b32 s13, s13
; %bb.4531:                             ;   in Loop: Header=BB4_4405 Depth=2
	v_cmp_lt_i32_e32 vcc_lo, -1, v3
	v_cndmask_b32_e32 v118, 0xfc, v110, vcc_lo
; %bb.4532:                             ;   in Loop: Header=BB4_4405 Depth=2
	s_or_b32 exec_lo, exec_lo, s13
.LBB4_4533:                             ;   in Loop: Header=BB4_4405 Depth=2
	s_delay_alu instid0(SALU_CYCLE_1) | instskip(SKIP_4) | instid1(VALU_DEP_2)
	s_or_b32 exec_lo, exec_lo, s7
	v_lshrrev_b32_e32 v52, 16, v22
	v_lshrrev_b32_e32 v30, 16, v18
	s_and_b32 vcc_lo, exec_lo, s12
	s_mov_b32 s13, -1
                                        ; implicit-def: $vgpr3
	v_and_b32_e32 v0, 0xff, v52
	s_delay_alu instid0(VALU_DEP_1)
	v_cmp_ne_u16_e64 s7, 0, v0
	s_cbranch_vccz .LBB4_4555
; %bb.4534:                             ;   in Loop: Header=BB4_4405 Depth=2
	v_dual_mov_b32 v102, 0 :: v_dual_mov_b32 v3, 0
	s_and_saveexec_b32 s13, s7
	s_cbranch_execz .LBB4_4544
; %bb.4535:                             ;   in Loop: Header=BB4_4405 Depth=2
	v_bfrev_b32_e32 v3, 1
	s_mov_b32 s14, exec_lo
	v_cmpx_ne_u16_e32 0x80, v0
	s_cbranch_execz .LBB4_4543
; %bb.4536:                             ;   in Loop: Header=BB4_4405 Depth=2
	v_and_b32_e32 v3, 0x7c0000, v22
	v_bfe_u32 v103, v22, 16, 2
	s_delay_alu instid0(VALU_DEP_2) | instskip(SKIP_1) | instid1(SALU_CYCLE_1)
	v_cmp_ne_u32_e32 vcc_lo, 0x7c0000, v3
                                        ; implicit-def: $vgpr3
	s_and_saveexec_b32 s41, vcc_lo
	s_xor_b32 s41, exec_lo, s41
	s_cbranch_execz .LBB4_4540
; %bb.4537:                             ;   in Loop: Header=BB4_4405 Depth=2
	v_bfe_u32 v3, v22, 18, 5
	s_mov_b32 s42, exec_lo
	s_delay_alu instid0(VALU_DEP_1)
	v_cmpx_eq_u32_e32 0, v3
; %bb.4538:                             ;   in Loop: Header=BB4_4405 Depth=2
	v_clz_i32_u32_e32 v3, v103
	s_delay_alu instid0(VALU_DEP_1) | instskip(NEXT) | instid1(VALU_DEP_1)
	v_min_u32_e32 v3, 32, v3
	v_subrev_nc_u32_e32 v103, 29, v3
	s_delay_alu instid0(VALU_DEP_1) | instskip(NEXT) | instid1(VALU_DEP_1)
	v_lshlrev_b64_e32 v[112:113], v103, v[52:53]
	v_dual_sub_nc_u32 v3, 30, v3 :: v_dual_bitop2_b32 v103, 3, v112 bitop3:0x40
; %bb.4539:                             ;   in Loop: Header=BB4_4405 Depth=2
	s_or_b32 exec_lo, exec_lo, s42
	v_lshlrev_b32_e32 v112, 24, v52
	s_delay_alu instid0(VALU_DEP_1) | instskip(NEXT) | instid1(VALU_DEP_1)
	v_and_b32_e32 v112, 0x80000000, v112
	v_lshl_add_u32 v3, v3, 23, v112
	s_delay_alu instid0(VALU_DEP_1) | instskip(NEXT) | instid1(VALU_DEP_1)
	v_lshl_or_b32 v3, v103, 21, v3
                                        ; implicit-def: $vgpr103
	v_add_nc_u32_e32 v3, 0x38000000, v3
.LBB4_4540:                             ;   in Loop: Header=BB4_4405 Depth=2
	s_and_not1_saveexec_b32 s41, s41
; %bb.4541:                             ;   in Loop: Header=BB4_4405 Depth=2
	v_bfe_i32 v3, v52, 0, 8
	s_delay_alu instid0(VALU_DEP_1) | instskip(SKIP_2) | instid1(VALU_DEP_2)
	v_cmp_lt_i16_e32 vcc_lo, -1, v3
	v_cndmask_b32_e32 v3, 0xff800000, v109, vcc_lo
	v_cmp_eq_u32_e32 vcc_lo, 0, v103
	v_cndmask_b32_e32 v3, 0x7f800001, v3, vcc_lo
; %bb.4542:                             ;   in Loop: Header=BB4_4405 Depth=2
	s_or_b32 exec_lo, exec_lo, s41
.LBB4_4543:                             ;   in Loop: Header=BB4_4405 Depth=2
	s_delay_alu instid0(SALU_CYCLE_1)
	s_or_b32 exec_lo, exec_lo, s14
.LBB4_4544:                             ;   in Loop: Header=BB4_4405 Depth=2
	s_delay_alu instid0(SALU_CYCLE_1) | instskip(SKIP_2) | instid1(VALU_DEP_1)
	s_or_b32 exec_lo, exec_lo, s13
	v_and_b32_e32 v103, 0xff, v30
	s_mov_b32 s13, exec_lo
	v_cmpx_ne_u16_e32 0, v103
	s_cbranch_execz .LBB4_4554
; %bb.4545:                             ;   in Loop: Header=BB4_4405 Depth=2
	v_bfrev_b32_e32 v102, 1
	s_mov_b32 s14, exec_lo
	v_cmpx_ne_u16_e32 0x80, v103
	s_cbranch_execz .LBB4_4553
; %bb.4546:                             ;   in Loop: Header=BB4_4405 Depth=2
	v_and_b32_e32 v102, 0x7c0000, v18
	v_bfe_u32 v103, v18, 16, 2
	s_delay_alu instid0(VALU_DEP_2) | instskip(SKIP_1) | instid1(SALU_CYCLE_1)
	v_cmp_ne_u32_e32 vcc_lo, 0x7c0000, v102
                                        ; implicit-def: $vgpr102
	s_and_saveexec_b32 s41, vcc_lo
	s_xor_b32 s41, exec_lo, s41
	s_cbranch_execz .LBB4_4550
; %bb.4547:                             ;   in Loop: Header=BB4_4405 Depth=2
	v_bfe_u32 v102, v18, 18, 5
	s_mov_b32 s42, exec_lo
	s_delay_alu instid0(VALU_DEP_1)
	v_cmpx_eq_u32_e32 0, v102
; %bb.4548:                             ;   in Loop: Header=BB4_4405 Depth=2
	v_clz_i32_u32_e32 v102, v103
	s_delay_alu instid0(VALU_DEP_1) | instskip(NEXT) | instid1(VALU_DEP_1)
	v_min_u32_e32 v102, 32, v102
	v_subrev_nc_u32_e32 v103, 29, v102
	s_delay_alu instid0(VALU_DEP_1) | instskip(NEXT) | instid1(VALU_DEP_1)
	v_lshlrev_b64_e32 v[112:113], v103, v[30:31]
	v_dual_sub_nc_u32 v102, 30, v102 :: v_dual_bitop2_b32 v103, 3, v112 bitop3:0x40
; %bb.4549:                             ;   in Loop: Header=BB4_4405 Depth=2
	s_or_b32 exec_lo, exec_lo, s42
	v_lshlrev_b32_e32 v112, 24, v30
	s_delay_alu instid0(VALU_DEP_1) | instskip(NEXT) | instid1(VALU_DEP_1)
	v_and_b32_e32 v112, 0x80000000, v112
	v_lshl_add_u32 v102, v102, 23, v112
	s_delay_alu instid0(VALU_DEP_1) | instskip(NEXT) | instid1(VALU_DEP_1)
	v_lshl_or_b32 v102, v103, 21, v102
                                        ; implicit-def: $vgpr103
	v_add_nc_u32_e32 v102, 0x38000000, v102
.LBB4_4550:                             ;   in Loop: Header=BB4_4405 Depth=2
	s_and_not1_saveexec_b32 s41, s41
; %bb.4551:                             ;   in Loop: Header=BB4_4405 Depth=2
	v_bfe_i32 v102, v30, 0, 8
	s_delay_alu instid0(VALU_DEP_1) | instskip(SKIP_2) | instid1(VALU_DEP_2)
	v_cmp_lt_i16_e32 vcc_lo, -1, v102
	v_cndmask_b32_e32 v102, 0xff800000, v109, vcc_lo
	v_cmp_eq_u32_e32 vcc_lo, 0, v103
	v_cndmask_b32_e32 v102, 0x7f800001, v102, vcc_lo
; %bb.4552:                             ;   in Loop: Header=BB4_4405 Depth=2
	s_or_b32 exec_lo, exec_lo, s41
.LBB4_4553:                             ;   in Loop: Header=BB4_4405 Depth=2
	s_delay_alu instid0(SALU_CYCLE_1)
	s_or_b32 exec_lo, exec_lo, s14
.LBB4_4554:                             ;   in Loop: Header=BB4_4405 Depth=2
	s_delay_alu instid0(SALU_CYCLE_1) | instskip(NEXT) | instid1(VALU_DEP_1)
	s_or_b32 exec_lo, exec_lo, s13
	v_dual_max_num_f32 v102, v102, v102 :: v_dual_max_num_f32 v3, v3, v3
	s_mov_b32 s13, 0
	s_delay_alu instid0(VALU_DEP_1)
	v_max_num_f32_e32 v3, v3, v102
.LBB4_4555:                             ;   in Loop: Header=BB4_4405 Depth=2
	s_and_b32 vcc_lo, exec_lo, s13
	s_cbranch_vccz .LBB4_4577
; %bb.4556:                             ;   in Loop: Header=BB4_4405 Depth=2
	v_dual_mov_b32 v102, 0 :: v_dual_mov_b32 v3, 0
	s_and_saveexec_b32 s13, s7
	s_cbranch_execz .LBB4_4566
; %bb.4557:                             ;   in Loop: Header=BB4_4405 Depth=2
	v_bfrev_b32_e32 v3, 1
	s_mov_b32 s7, exec_lo
	v_cmpx_ne_u16_e32 0x80, v0
	s_cbranch_execz .LBB4_4565
; %bb.4558:                             ;   in Loop: Header=BB4_4405 Depth=2
	v_and_b32_e32 v3, 0x7c0000, v22
	v_bfe_u32 v0, v22, 16, 2
	s_delay_alu instid0(VALU_DEP_2) | instskip(SKIP_1) | instid1(SALU_CYCLE_1)
	v_cmp_ne_u32_e32 vcc_lo, 0x7c0000, v3
                                        ; implicit-def: $vgpr3
	s_and_saveexec_b32 s14, vcc_lo
	s_xor_b32 s14, exec_lo, s14
	s_cbranch_execz .LBB4_4562
; %bb.4559:                             ;   in Loop: Header=BB4_4405 Depth=2
	v_bfe_u32 v3, v22, 18, 5
	s_mov_b32 s41, exec_lo
	s_delay_alu instid0(VALU_DEP_1)
	v_cmpx_eq_u32_e32 0, v3
; %bb.4560:                             ;   in Loop: Header=BB4_4405 Depth=2
	v_clz_i32_u32_e32 v0, v0
	s_delay_alu instid0(VALU_DEP_1) | instskip(NEXT) | instid1(VALU_DEP_1)
	v_min_u32_e32 v0, 32, v0
	v_subrev_nc_u32_e32 v3, 29, v0
	s_delay_alu instid0(VALU_DEP_1) | instskip(SKIP_1) | instid1(VALU_DEP_2)
	v_lshlrev_b64_e32 v[112:113], v3, v[52:53]
	v_sub_nc_u32_e32 v3, 30, v0
	v_and_b32_e32 v0, 3, v112
; %bb.4561:                             ;   in Loop: Header=BB4_4405 Depth=2
	s_or_b32 exec_lo, exec_lo, s41
	v_lshlrev_b32_e32 v52, 24, v52
	s_delay_alu instid0(VALU_DEP_1) | instskip(NEXT) | instid1(VALU_DEP_1)
	v_and_b32_e32 v52, 0x80000000, v52
	v_lshl_add_u32 v3, v3, 23, v52
                                        ; implicit-def: $vgpr52
	s_delay_alu instid0(VALU_DEP_1) | instskip(NEXT) | instid1(VALU_DEP_1)
	v_lshl_or_b32 v0, v0, 21, v3
	v_add_nc_u32_e32 v3, 0x38000000, v0
                                        ; implicit-def: $vgpr0
.LBB4_4562:                             ;   in Loop: Header=BB4_4405 Depth=2
	s_and_not1_saveexec_b32 s14, s14
; %bb.4563:                             ;   in Loop: Header=BB4_4405 Depth=2
	v_bfe_i32 v3, v52, 0, 8
	s_delay_alu instid0(VALU_DEP_1) | instskip(SKIP_2) | instid1(VALU_DEP_2)
	v_cmp_lt_i16_e32 vcc_lo, -1, v3
	v_cndmask_b32_e32 v3, 0xff800000, v109, vcc_lo
	v_cmp_eq_u32_e32 vcc_lo, 0, v0
	v_cndmask_b32_e32 v3, 0x7f800001, v3, vcc_lo
; %bb.4564:                             ;   in Loop: Header=BB4_4405 Depth=2
	s_or_b32 exec_lo, exec_lo, s14
.LBB4_4565:                             ;   in Loop: Header=BB4_4405 Depth=2
	s_delay_alu instid0(SALU_CYCLE_1)
	s_or_b32 exec_lo, exec_lo, s7
.LBB4_4566:                             ;   in Loop: Header=BB4_4405 Depth=2
	s_delay_alu instid0(SALU_CYCLE_1) | instskip(SKIP_2) | instid1(VALU_DEP_1)
	s_or_b32 exec_lo, exec_lo, s13
	v_and_b32_e32 v0, 0xff, v30
	s_mov_b32 s7, exec_lo
	v_cmpx_ne_u16_e32 0, v0
	s_cbranch_execz .LBB4_4576
; %bb.4567:                             ;   in Loop: Header=BB4_4405 Depth=2
	v_bfrev_b32_e32 v102, 1
	s_mov_b32 s13, exec_lo
	v_cmpx_ne_u16_e32 0x80, v0
	s_cbranch_execz .LBB4_4575
; %bb.4568:                             ;   in Loop: Header=BB4_4405 Depth=2
	v_and_b32_e32 v52, 0x7c0000, v18
	v_bfe_u32 v0, v18, 16, 2
	s_mov_b32 s14, exec_lo
                                        ; implicit-def: $vgpr102
	s_delay_alu instid0(VALU_DEP_2)
	v_cmpx_ne_u32_e32 0x7c0000, v52
	s_xor_b32 s14, exec_lo, s14
	s_cbranch_execz .LBB4_4572
; %bb.4569:                             ;   in Loop: Header=BB4_4405 Depth=2
	v_bfe_u32 v52, v18, 18, 5
	s_mov_b32 s41, exec_lo
	s_delay_alu instid0(VALU_DEP_1)
	v_cmpx_eq_u32_e32 0, v52
; %bb.4570:                             ;   in Loop: Header=BB4_4405 Depth=2
	v_clz_i32_u32_e32 v0, v0
	s_delay_alu instid0(VALU_DEP_1) | instskip(NEXT) | instid1(VALU_DEP_1)
	v_min_u32_e32 v0, 32, v0
	v_subrev_nc_u32_e32 v52, 29, v0
	s_delay_alu instid0(VALU_DEP_1) | instskip(NEXT) | instid1(VALU_DEP_1)
	v_lshlrev_b64_e32 v[102:103], v52, v[30:31]
	v_dual_sub_nc_u32 v52, 30, v0 :: v_dual_bitop2_b32 v0, 3, v102 bitop3:0x40
; %bb.4571:                             ;   in Loop: Header=BB4_4405 Depth=2
	s_or_b32 exec_lo, exec_lo, s41
	v_lshlrev_b32_e32 v30, 24, v30
	s_delay_alu instid0(VALU_DEP_1) | instskip(NEXT) | instid1(VALU_DEP_1)
	v_and_b32_e32 v30, 0x80000000, v30
	v_lshl_add_u32 v30, v52, 23, v30
	s_delay_alu instid0(VALU_DEP_1) | instskip(NEXT) | instid1(VALU_DEP_1)
	v_lshl_or_b32 v0, v0, 21, v30
                                        ; implicit-def: $vgpr30
	v_add_nc_u32_e32 v102, 0x38000000, v0
                                        ; implicit-def: $vgpr0
.LBB4_4572:                             ;   in Loop: Header=BB4_4405 Depth=2
	s_and_not1_saveexec_b32 s14, s14
; %bb.4573:                             ;   in Loop: Header=BB4_4405 Depth=2
	v_bfe_i32 v30, v30, 0, 8
	s_delay_alu instid0(VALU_DEP_1) | instskip(SKIP_2) | instid1(VALU_DEP_2)
	v_cmp_lt_i16_e32 vcc_lo, -1, v30
	v_cndmask_b32_e32 v30, 0xff800000, v109, vcc_lo
	v_cmp_eq_u32_e32 vcc_lo, 0, v0
	v_cndmask_b32_e32 v102, 0x7f800001, v30, vcc_lo
; %bb.4574:                             ;   in Loop: Header=BB4_4405 Depth=2
	s_or_b32 exec_lo, exec_lo, s14
.LBB4_4575:                             ;   in Loop: Header=BB4_4405 Depth=2
	s_delay_alu instid0(SALU_CYCLE_1)
	s_or_b32 exec_lo, exec_lo, s13
.LBB4_4576:                             ;   in Loop: Header=BB4_4405 Depth=2
	s_delay_alu instid0(SALU_CYCLE_1) | instskip(NEXT) | instid1(VALU_DEP_1)
	s_or_b32 exec_lo, exec_lo, s7
	v_dual_max_num_f32 v0, v102, v102 :: v_dual_max_num_f32 v3, v3, v3
	s_delay_alu instid0(VALU_DEP_1)
	v_min_num_f32_e32 v3, v3, v0
.LBB4_4577:                             ;   in Loop: Header=BB4_4405 Depth=2
	s_delay_alu instid0(VALU_DEP_1) | instskip(SKIP_3) | instid1(VALU_DEP_2)
	v_and_b32_e32 v102, 0x7f800000, v3
	v_dual_mov_b32 v103, v53 :: v_dual_lshrrev_b32 v0, 24, v3
	v_and_b32_e32 v52, 0x7fffff, v3
                                        ; implicit-def: $vgpr119
	s_mov_b32 s7, exec_lo
	v_cmpx_ne_u64_e32 0x7f800000, v[102:103]
	s_xor_b32 s13, exec_lo, s7
	s_cbranch_execz .LBB4_4591
; %bb.4578:                             ;   in Loop: Header=BB4_4405 Depth=2
	v_and_b32_e32 v102, 0x7fffffff, v3
	v_mov_b32_e32 v103, v53
	v_and_b32_e32 v0, 0x80, v0
                                        ; implicit-def: $vgpr119
	s_mov_b32 s7, exec_lo
	s_delay_alu instid0(VALU_DEP_2)
	v_cmpx_gt_u64_e32 0x47600001, v[102:103]
	s_xor_b32 s14, exec_lo, s7
	s_cbranch_execz .LBB4_4588
; %bb.4579:                             ;   in Loop: Header=BB4_4405 Depth=2
	v_mov_b32_e32 v119, 0
	s_mov_b32 s41, exec_lo
	v_cmpx_ne_u32_e32 0, v3
	s_cbranch_execz .LBB4_4587
; %bb.4580:                             ;   in Loop: Header=BB4_4405 Depth=2
	v_bfe_u32 v3, v3, 23, 8
	v_or_b32_e32 v112, 0x800000, v52
	s_delay_alu instid0(VALU_DEP_2) | instskip(SKIP_1) | instid1(VALU_DEP_2)
	v_sub_nc_u32_e32 v30, 0x71, v3
	v_cmp_gt_u32_e32 vcc_lo, 0x72, v3
	v_cndmask_b32_e32 v30, 0, v30, vcc_lo
	v_cmp_eq_u32_e32 vcc_lo, 0, v3
	v_cndmask_b32_e32 v52, v112, v52, vcc_lo
	s_delay_alu instid0(VALU_DEP_3) | instskip(NEXT) | instid1(VALU_DEP_1)
	v_cndmask_b32_e64 v30, v30, 0x70, vcc_lo
	v_dual_add_nc_u32 v102, 21, v30 :: v_dual_add_nc_u32 v113, 20, v30
	s_delay_alu instid0(VALU_DEP_1) | instskip(NEXT) | instid1(VALU_DEP_2)
	v_lshlrev_b64_e64 v[102:103], v102, -1
	v_lshlrev_b64_e64 v[112:113], v113, 1
	s_delay_alu instid0(VALU_DEP_2) | instskip(NEXT) | instid1(VALU_DEP_3)
	v_bfi_b32 v115, v103, 0, 0
	v_bfi_b32 v114, v102, 0, v52
	v_lshrrev_b64 v[102:103], v30, v[52:53]
	s_delay_alu instid0(VALU_DEP_2) | instskip(NEXT) | instid1(VALU_DEP_2)
	v_cmp_eq_u64_e64 s7, v[114:115], v[112:113]
	v_mov_b64_e32 v[112:113], v[102:103]
	s_and_saveexec_b32 s42, s7
; %bb.4581:                             ;   in Loop: Header=BB4_4405 Depth=2
	v_bfe_u32 v52, v102, 21, 1
	s_delay_alu instid0(VALU_DEP_1) | instskip(NEXT) | instid1(VALU_DEP_1)
	v_add_nc_u64_e32 v[112:113], v[102:103], v[52:53]
	v_add_nc_u64_e32 v[112:113], -1, v[112:113]
; %bb.4582:                             ;   in Loop: Header=BB4_4405 Depth=2
	s_or_b32 exec_lo, exec_lo, s42
	v_add_nc_u32_e32 v3, 0xffffff81, v3
	v_lshrrev_b32_e32 v52, 23, v102
	s_mov_b32 s7, exec_lo
	s_delay_alu instid0(VALU_DEP_2) | instskip(NEXT) | instid1(VALU_DEP_1)
	v_cndmask_b32_e64 v3, v3, 0xffffff82, vcc_lo
	v_add3_u32 v30, v30, v3, v52
	v_and_b32_e32 v3, 0x1fffff, v112
	s_delay_alu instid0(VALU_DEP_2) | instskip(NEXT) | instid1(VALU_DEP_2)
	v_add_nc_u32_e32 v112, 14, v30
	v_add_nc_u32_e32 v52, v3, v102
                                        ; implicit-def: $vgpr102_vgpr103
                                        ; implicit-def: $vgpr3
	s_delay_alu instid0(VALU_DEP_2)
	v_cmpx_ne_u32_e32 0, v112
	s_xor_b32 s7, exec_lo, s7
; %bb.4583:                             ;   in Loop: Header=BB4_4405 Depth=2
	s_delay_alu instid0(VALU_DEP_2) | instskip(SKIP_2) | instid1(VALU_DEP_2)
	v_cmp_lt_u64_e32 vcc_lo, 0xffffff, v[52:53]
	v_add_nc_u32_e32 v3, 15, v30
	v_cndmask_b32_e64 v30, 0, 1, vcc_lo
	v_cndmask_b32_e32 v3, v112, v3, vcc_lo
	s_delay_alu instid0(VALU_DEP_2)
	v_lshrrev_b64 v[102:103], v30, v[52:53]
; %bb.4584:                             ;   in Loop: Header=BB4_4405 Depth=2
	s_and_not1_saveexec_b32 s7, s7
; %bb.4585:                             ;   in Loop: Header=BB4_4405 Depth=2
	v_mov_b64_e32 v[102:103], v[52:53]
	v_bfe_u32 v3, v52, 23, 1
; %bb.4586:                             ;   in Loop: Header=BB4_4405 Depth=2
	s_or_b32 exec_lo, exec_lo, s7
	s_delay_alu instid0(VALU_DEP_2) | instskip(NEXT) | instid1(VALU_DEP_2)
	v_lshrrev_b64 v[102:103], 21, v[102:103]
	v_cmp_gt_i32_e32 vcc_lo, 32, v3
	v_min_i32_e32 v30, 31, v3
	v_cmp_eq_u32_e64 s7, 0, v3
	s_delay_alu instid0(VALU_DEP_4) | instskip(NEXT) | instid1(VALU_DEP_3)
	v_cndmask_b32_e32 v102, 3, v102, vcc_lo
	v_dual_cndmask_b32 v103, 0, v103 :: v_dual_lshlrev_b32 v30, 2, v30
	s_delay_alu instid0(VALU_DEP_1) | instskip(NEXT) | instid1(VALU_DEP_2)
	v_and_b32_e32 v30, 0xfc, v30
	v_cmp_eq_u64_e32 vcc_lo, 0, v[102:103]
	s_delay_alu instid0(VALU_DEP_2)
	v_and_or_b32 v3, v102, 3, v30
	s_and_b32 s7, s7, vcc_lo
	s_delay_alu instid0(VALU_DEP_1) | instid1(SALU_CYCLE_1)
	v_cndmask_b32_e64 v3, v3, 0, s7
	s_delay_alu instid0(VALU_DEP_1)
	v_or_b32_e32 v119, v3, v0
.LBB4_4587:                             ;   in Loop: Header=BB4_4405 Depth=2
	s_or_b32 exec_lo, exec_lo, s41
                                        ; implicit-def: $vgpr0
.LBB4_4588:                             ;   in Loop: Header=BB4_4405 Depth=2
	s_and_not1_saveexec_b32 s7, s14
; %bb.4589:                             ;   in Loop: Header=BB4_4405 Depth=2
	v_or_b32_e32 v119, 0x7b, v0
; %bb.4590:                             ;   in Loop: Header=BB4_4405 Depth=2
	s_or_b32 exec_lo, exec_lo, s7
                                        ; implicit-def: $vgpr3
                                        ; implicit-def: $vgpr0
.LBB4_4591:                             ;   in Loop: Header=BB4_4405 Depth=2
	s_and_not1_saveexec_b32 s7, s13
	s_cbranch_execz .LBB4_4597
; %bb.4592:                             ;   in Loop: Header=BB4_4405 Depth=2
	s_mov_b32 s13, exec_lo
                                        ; implicit-def: $vgpr119
	v_cmpx_ne_u64_e32 0, v[52:53]
	s_xor_b32 s13, exec_lo, s13
; %bb.4593:                             ;   in Loop: Header=BB4_4405 Depth=2
	v_or_b32_e32 v119, 0x7f, v0
                                        ; implicit-def: $vgpr3
; %bb.4594:                             ;   in Loop: Header=BB4_4405 Depth=2
	s_and_not1_saveexec_b32 s13, s13
; %bb.4595:                             ;   in Loop: Header=BB4_4405 Depth=2
	v_cmp_lt_i32_e32 vcc_lo, -1, v3
	v_cndmask_b32_e32 v119, 0xfc, v110, vcc_lo
; %bb.4596:                             ;   in Loop: Header=BB4_4405 Depth=2
	s_or_b32 exec_lo, exec_lo, s13
.LBB4_4597:                             ;   in Loop: Header=BB4_4405 Depth=2
	s_delay_alu instid0(SALU_CYCLE_1)
	s_or_b32 exec_lo, exec_lo, s7
	v_lshrrev_b32_e32 v52, 24, v22
	v_lshrrev_b32_e32 v30, 24, v18
	v_cmp_lt_u32_e64 s7, 0xffffff, v22
	s_and_b32 vcc_lo, exec_lo, s12
	s_mov_b32 s13, -1
                                        ; implicit-def: $vgpr3
	s_cbranch_vccz .LBB4_4619
; %bb.4598:                             ;   in Loop: Header=BB4_4405 Depth=2
	v_dual_mov_b32 v3, 0 :: v_dual_mov_b32 v0, 0
	s_and_saveexec_b32 s13, s7
	s_cbranch_execz .LBB4_4608
; %bb.4599:                             ;   in Loop: Header=BB4_4405 Depth=2
	v_bfrev_b32_e32 v0, 1
	s_mov_b32 s14, exec_lo
	v_cmpx_ne_u32_e32 0x80, v52
	s_cbranch_execz .LBB4_4607
; %bb.4600:                             ;   in Loop: Header=BB4_4405 Depth=2
	v_and_b32_e32 v0, 0x7c000000, v22
	v_bfe_u32 v102, v22, 24, 2
	s_delay_alu instid0(VALU_DEP_2) | instskip(SKIP_1) | instid1(SALU_CYCLE_1)
	v_cmp_ne_u32_e32 vcc_lo, 0x7c000000, v0
                                        ; implicit-def: $vgpr0
	s_and_saveexec_b32 s41, vcc_lo
	s_xor_b32 s41, exec_lo, s41
	s_cbranch_execz .LBB4_4604
; %bb.4601:                             ;   in Loop: Header=BB4_4405 Depth=2
	v_bfe_u32 v0, v22, 26, 5
	s_mov_b32 s42, exec_lo
	s_delay_alu instid0(VALU_DEP_1)
	v_cmpx_eq_u32_e32 0, v0
; %bb.4602:                             ;   in Loop: Header=BB4_4405 Depth=2
	v_clz_i32_u32_e32 v0, v102
	s_delay_alu instid0(VALU_DEP_1) | instskip(NEXT) | instid1(VALU_DEP_1)
	v_min_u32_e32 v0, 32, v0
	v_subrev_nc_u32_e32 v102, 29, v0
	s_delay_alu instid0(VALU_DEP_1) | instskip(NEXT) | instid1(VALU_DEP_1)
	v_lshlrev_b64_e32 v[102:103], v102, v[52:53]
	v_dual_sub_nc_u32 v0, 30, v0 :: v_dual_bitop2_b32 v102, 3, v102 bitop3:0x40
; %bb.4603:                             ;   in Loop: Header=BB4_4405 Depth=2
	s_or_b32 exec_lo, exec_lo, s42
	v_and_b32_e32 v103, 0x80000000, v22
	s_delay_alu instid0(VALU_DEP_1) | instskip(NEXT) | instid1(VALU_DEP_1)
	v_lshl_add_u32 v0, v0, 23, v103
	v_lshl_or_b32 v0, v102, 21, v0
                                        ; implicit-def: $vgpr102
	s_delay_alu instid0(VALU_DEP_1)
	v_add_nc_u32_e32 v0, 0x38000000, v0
.LBB4_4604:                             ;   in Loop: Header=BB4_4405 Depth=2
	s_and_not1_saveexec_b32 s41, s41
; %bb.4605:                             ;   in Loop: Header=BB4_4405 Depth=2
	v_cmp_lt_i32_e32 vcc_lo, -1, v22
	v_cndmask_b32_e32 v0, 0xff800000, v109, vcc_lo
	v_cmp_eq_u32_e32 vcc_lo, 0, v102
	s_delay_alu instid0(VALU_DEP_2)
	v_cndmask_b32_e32 v0, 0x7f800001, v0, vcc_lo
; %bb.4606:                             ;   in Loop: Header=BB4_4405 Depth=2
	s_or_b32 exec_lo, exec_lo, s41
.LBB4_4607:                             ;   in Loop: Header=BB4_4405 Depth=2
	s_delay_alu instid0(SALU_CYCLE_1)
	s_or_b32 exec_lo, exec_lo, s14
.LBB4_4608:                             ;   in Loop: Header=BB4_4405 Depth=2
	s_delay_alu instid0(SALU_CYCLE_1) | instskip(NEXT) | instid1(SALU_CYCLE_1)
	s_or_b32 exec_lo, exec_lo, s13
	s_mov_b32 s13, exec_lo
	v_cmpx_lt_u32_e32 0xffffff, v18
	s_cbranch_execz .LBB4_4618
; %bb.4609:                             ;   in Loop: Header=BB4_4405 Depth=2
	v_bfrev_b32_e32 v3, 1
	s_mov_b32 s14, exec_lo
	v_cmpx_ne_u32_e32 0x80, v30
	s_cbranch_execz .LBB4_4617
; %bb.4610:                             ;   in Loop: Header=BB4_4405 Depth=2
	v_and_b32_e32 v3, 0x7c000000, v18
	v_bfe_u32 v102, v18, 24, 2
	s_delay_alu instid0(VALU_DEP_2) | instskip(SKIP_1) | instid1(SALU_CYCLE_1)
	v_cmp_ne_u32_e32 vcc_lo, 0x7c000000, v3
                                        ; implicit-def: $vgpr3
	s_and_saveexec_b32 s41, vcc_lo
	s_xor_b32 s41, exec_lo, s41
	s_cbranch_execz .LBB4_4614
; %bb.4611:                             ;   in Loop: Header=BB4_4405 Depth=2
	v_bfe_u32 v3, v18, 26, 5
	s_mov_b32 s42, exec_lo
	s_delay_alu instid0(VALU_DEP_1)
	v_cmpx_eq_u32_e32 0, v3
; %bb.4612:                             ;   in Loop: Header=BB4_4405 Depth=2
	v_clz_i32_u32_e32 v3, v102
	s_delay_alu instid0(VALU_DEP_1) | instskip(NEXT) | instid1(VALU_DEP_1)
	v_min_u32_e32 v3, 32, v3
	v_subrev_nc_u32_e32 v102, 29, v3
	s_delay_alu instid0(VALU_DEP_1) | instskip(NEXT) | instid1(VALU_DEP_1)
	v_lshlrev_b64_e32 v[102:103], v102, v[30:31]
	v_dual_sub_nc_u32 v3, 30, v3 :: v_dual_bitop2_b32 v102, 3, v102 bitop3:0x40
; %bb.4613:                             ;   in Loop: Header=BB4_4405 Depth=2
	s_or_b32 exec_lo, exec_lo, s42
	v_and_b32_e32 v103, 0x80000000, v18
	s_delay_alu instid0(VALU_DEP_1) | instskip(NEXT) | instid1(VALU_DEP_1)
	v_lshl_add_u32 v3, v3, 23, v103
	v_lshl_or_b32 v3, v102, 21, v3
                                        ; implicit-def: $vgpr102
	s_delay_alu instid0(VALU_DEP_1)
	v_add_nc_u32_e32 v3, 0x38000000, v3
.LBB4_4614:                             ;   in Loop: Header=BB4_4405 Depth=2
	s_and_not1_saveexec_b32 s41, s41
; %bb.4615:                             ;   in Loop: Header=BB4_4405 Depth=2
	v_cmp_lt_i32_e32 vcc_lo, -1, v18
	v_cndmask_b32_e32 v3, 0xff800000, v109, vcc_lo
	v_cmp_eq_u32_e32 vcc_lo, 0, v102
	s_delay_alu instid0(VALU_DEP_2)
	v_cndmask_b32_e32 v3, 0x7f800001, v3, vcc_lo
; %bb.4616:                             ;   in Loop: Header=BB4_4405 Depth=2
	s_or_b32 exec_lo, exec_lo, s41
.LBB4_4617:                             ;   in Loop: Header=BB4_4405 Depth=2
	s_delay_alu instid0(SALU_CYCLE_1)
	s_or_b32 exec_lo, exec_lo, s14
.LBB4_4618:                             ;   in Loop: Header=BB4_4405 Depth=2
	s_delay_alu instid0(SALU_CYCLE_1) | instskip(NEXT) | instid1(VALU_DEP_1)
	s_or_b32 exec_lo, exec_lo, s13
	v_dual_max_num_f32 v3, v3, v3 :: v_dual_max_num_f32 v0, v0, v0
	s_mov_b32 s13, 0
	s_delay_alu instid0(VALU_DEP_1)
	v_max_num_f32_e32 v3, v0, v3
.LBB4_4619:                             ;   in Loop: Header=BB4_4405 Depth=2
	s_and_b32 vcc_lo, exec_lo, s13
	s_cbranch_vccz .LBB4_4641
; %bb.4620:                             ;   in Loop: Header=BB4_4405 Depth=2
	v_dual_mov_b32 v3, 0 :: v_dual_mov_b32 v0, 0
	s_and_saveexec_b32 s13, s7
	s_cbranch_execz .LBB4_4630
; %bb.4621:                             ;   in Loop: Header=BB4_4405 Depth=2
	v_bfrev_b32_e32 v0, 1
	s_mov_b32 s7, exec_lo
	v_cmpx_ne_u32_e32 0x80, v52
	s_cbranch_execz .LBB4_4629
; %bb.4622:                             ;   in Loop: Header=BB4_4405 Depth=2
	v_and_b32_e32 v0, 0x7c000000, v22
	v_bfe_u32 v102, v22, 24, 2
	s_delay_alu instid0(VALU_DEP_2) | instskip(SKIP_1) | instid1(SALU_CYCLE_1)
	v_cmp_ne_u32_e32 vcc_lo, 0x7c000000, v0
                                        ; implicit-def: $vgpr0
	s_and_saveexec_b32 s14, vcc_lo
	s_xor_b32 s14, exec_lo, s14
	s_cbranch_execz .LBB4_4626
; %bb.4623:                             ;   in Loop: Header=BB4_4405 Depth=2
	v_bfe_u32 v0, v22, 26, 5
	s_mov_b32 s41, exec_lo
	s_delay_alu instid0(VALU_DEP_1)
	v_cmpx_eq_u32_e32 0, v0
; %bb.4624:                             ;   in Loop: Header=BB4_4405 Depth=2
	v_clz_i32_u32_e32 v0, v102
	s_delay_alu instid0(VALU_DEP_1) | instskip(NEXT) | instid1(VALU_DEP_1)
	v_min_u32_e32 v0, 32, v0
	v_subrev_nc_u32_e32 v102, 29, v0
	s_delay_alu instid0(VALU_DEP_1) | instskip(NEXT) | instid1(VALU_DEP_1)
	v_lshlrev_b64_e32 v[102:103], v102, v[52:53]
	v_dual_sub_nc_u32 v0, 30, v0 :: v_dual_bitop2_b32 v102, 3, v102 bitop3:0x40
; %bb.4625:                             ;   in Loop: Header=BB4_4405 Depth=2
	s_or_b32 exec_lo, exec_lo, s41
	v_and_b32_e32 v52, 0x80000000, v22
	s_delay_alu instid0(VALU_DEP_1) | instskip(NEXT) | instid1(VALU_DEP_1)
	v_lshl_add_u32 v0, v0, 23, v52
	v_lshl_or_b32 v0, v102, 21, v0
                                        ; implicit-def: $vgpr102
	s_delay_alu instid0(VALU_DEP_1)
	v_add_nc_u32_e32 v0, 0x38000000, v0
.LBB4_4626:                             ;   in Loop: Header=BB4_4405 Depth=2
	s_and_not1_saveexec_b32 s14, s14
; %bb.4627:                             ;   in Loop: Header=BB4_4405 Depth=2
	v_cmp_lt_i32_e32 vcc_lo, -1, v22
	v_cndmask_b32_e32 v0, 0xff800000, v109, vcc_lo
	v_cmp_eq_u32_e32 vcc_lo, 0, v102
	s_delay_alu instid0(VALU_DEP_2)
	v_cndmask_b32_e32 v0, 0x7f800001, v0, vcc_lo
; %bb.4628:                             ;   in Loop: Header=BB4_4405 Depth=2
	s_or_b32 exec_lo, exec_lo, s14
.LBB4_4629:                             ;   in Loop: Header=BB4_4405 Depth=2
	s_delay_alu instid0(SALU_CYCLE_1)
	s_or_b32 exec_lo, exec_lo, s7
.LBB4_4630:                             ;   in Loop: Header=BB4_4405 Depth=2
	s_delay_alu instid0(SALU_CYCLE_1) | instskip(NEXT) | instid1(SALU_CYCLE_1)
	s_or_b32 exec_lo, exec_lo, s13
	s_mov_b32 s7, exec_lo
	v_cmpx_lt_u32_e32 0xffffff, v18
	s_cbranch_execz .LBB4_4640
; %bb.4631:                             ;   in Loop: Header=BB4_4405 Depth=2
	v_bfrev_b32_e32 v3, 1
	s_mov_b32 s13, exec_lo
	v_cmpx_ne_u32_e32 0x80, v30
	s_cbranch_execz .LBB4_4639
; %bb.4632:                             ;   in Loop: Header=BB4_4405 Depth=2
	v_and_b32_e32 v3, 0x7c000000, v18
	v_bfe_u32 v52, v18, 24, 2
	s_delay_alu instid0(VALU_DEP_2) | instskip(SKIP_1) | instid1(SALU_CYCLE_1)
	v_cmp_ne_u32_e32 vcc_lo, 0x7c000000, v3
                                        ; implicit-def: $vgpr3
	s_and_saveexec_b32 s14, vcc_lo
	s_xor_b32 s14, exec_lo, s14
	s_cbranch_execz .LBB4_4636
; %bb.4633:                             ;   in Loop: Header=BB4_4405 Depth=2
	v_bfe_u32 v3, v18, 26, 5
	s_mov_b32 s41, exec_lo
	s_delay_alu instid0(VALU_DEP_1)
	v_cmpx_eq_u32_e32 0, v3
; %bb.4634:                             ;   in Loop: Header=BB4_4405 Depth=2
	v_clz_i32_u32_e32 v3, v52
	s_delay_alu instid0(VALU_DEP_1) | instskip(NEXT) | instid1(VALU_DEP_1)
	v_min_u32_e32 v3, 32, v3
	v_subrev_nc_u32_e32 v52, 29, v3
	s_delay_alu instid0(VALU_DEP_1) | instskip(NEXT) | instid1(VALU_DEP_1)
	v_lshlrev_b64_e32 v[102:103], v52, v[30:31]
	v_dual_sub_nc_u32 v3, 30, v3 :: v_dual_bitop2_b32 v52, 3, v102 bitop3:0x40
; %bb.4635:                             ;   in Loop: Header=BB4_4405 Depth=2
	s_or_b32 exec_lo, exec_lo, s41
	v_and_b32_e32 v30, 0x80000000, v18
	s_delay_alu instid0(VALU_DEP_1) | instskip(NEXT) | instid1(VALU_DEP_1)
	v_lshl_add_u32 v3, v3, 23, v30
	v_lshl_or_b32 v3, v52, 21, v3
                                        ; implicit-def: $vgpr52
	s_delay_alu instid0(VALU_DEP_1)
	v_add_nc_u32_e32 v3, 0x38000000, v3
.LBB4_4636:                             ;   in Loop: Header=BB4_4405 Depth=2
	s_and_not1_saveexec_b32 s14, s14
; %bb.4637:                             ;   in Loop: Header=BB4_4405 Depth=2
	v_cmp_lt_i32_e32 vcc_lo, -1, v18
	v_cndmask_b32_e32 v3, 0xff800000, v109, vcc_lo
	v_cmp_eq_u32_e32 vcc_lo, 0, v52
	s_delay_alu instid0(VALU_DEP_2)
	v_cndmask_b32_e32 v3, 0x7f800001, v3, vcc_lo
; %bb.4638:                             ;   in Loop: Header=BB4_4405 Depth=2
	s_or_b32 exec_lo, exec_lo, s14
.LBB4_4639:                             ;   in Loop: Header=BB4_4405 Depth=2
	s_delay_alu instid0(SALU_CYCLE_1)
	s_or_b32 exec_lo, exec_lo, s13
.LBB4_4640:                             ;   in Loop: Header=BB4_4405 Depth=2
	s_delay_alu instid0(SALU_CYCLE_1) | instskip(NEXT) | instid1(VALU_DEP_1)
	s_or_b32 exec_lo, exec_lo, s7
	v_dual_max_num_f32 v3, v3, v3 :: v_dual_max_num_f32 v0, v0, v0
	s_delay_alu instid0(VALU_DEP_1)
	v_min_num_f32_e32 v3, v0, v3
.LBB4_4641:                             ;   in Loop: Header=BB4_4405 Depth=2
	s_delay_alu instid0(VALU_DEP_1) | instskip(SKIP_3) | instid1(VALU_DEP_2)
	v_and_b32_e32 v102, 0x7f800000, v3
	v_dual_mov_b32 v103, v53 :: v_dual_lshrrev_b32 v0, 24, v3
	v_and_b32_e32 v52, 0x7fffff, v3
                                        ; implicit-def: $vgpr40
	s_mov_b32 s7, exec_lo
	v_cmpx_ne_u64_e32 0x7f800000, v[102:103]
	s_xor_b32 s13, exec_lo, s7
	s_cbranch_execz .LBB4_4655
; %bb.4642:                             ;   in Loop: Header=BB4_4405 Depth=2
	v_and_b32_e32 v102, 0x7fffffff, v3
	v_mov_b32_e32 v103, v53
	v_and_b32_e32 v0, 0x80, v0
                                        ; implicit-def: $vgpr40
	s_mov_b32 s7, exec_lo
	s_delay_alu instid0(VALU_DEP_2)
	v_cmpx_gt_u64_e32 0x47600001, v[102:103]
	s_xor_b32 s14, exec_lo, s7
	s_cbranch_execz .LBB4_4652
; %bb.4643:                             ;   in Loop: Header=BB4_4405 Depth=2
	v_mov_b32_e32 v40, 0
	s_mov_b32 s41, exec_lo
	v_cmpx_ne_u32_e32 0, v3
	s_cbranch_execz .LBB4_4651
; %bb.4644:                             ;   in Loop: Header=BB4_4405 Depth=2
	v_bfe_u32 v3, v3, 23, 8
	v_or_b32_e32 v112, 0x800000, v52
	s_delay_alu instid0(VALU_DEP_2) | instskip(SKIP_1) | instid1(VALU_DEP_2)
	v_sub_nc_u32_e32 v30, 0x71, v3
	v_cmp_gt_u32_e32 vcc_lo, 0x72, v3
	v_cndmask_b32_e32 v30, 0, v30, vcc_lo
	v_cmp_eq_u32_e32 vcc_lo, 0, v3
	v_cndmask_b32_e32 v52, v112, v52, vcc_lo
	s_delay_alu instid0(VALU_DEP_3) | instskip(NEXT) | instid1(VALU_DEP_1)
	v_cndmask_b32_e64 v30, v30, 0x70, vcc_lo
	v_dual_add_nc_u32 v102, 21, v30 :: v_dual_add_nc_u32 v113, 20, v30
	s_delay_alu instid0(VALU_DEP_1) | instskip(NEXT) | instid1(VALU_DEP_2)
	v_lshlrev_b64_e64 v[102:103], v102, -1
	v_lshlrev_b64_e64 v[112:113], v113, 1
	s_delay_alu instid0(VALU_DEP_2) | instskip(NEXT) | instid1(VALU_DEP_3)
	v_bfi_b32 v115, v103, 0, 0
	v_bfi_b32 v114, v102, 0, v52
	v_lshrrev_b64 v[102:103], v30, v[52:53]
	s_delay_alu instid0(VALU_DEP_2) | instskip(NEXT) | instid1(VALU_DEP_2)
	v_cmp_eq_u64_e64 s7, v[114:115], v[112:113]
	v_mov_b64_e32 v[112:113], v[102:103]
	s_and_saveexec_b32 s42, s7
; %bb.4645:                             ;   in Loop: Header=BB4_4405 Depth=2
	v_bfe_u32 v52, v102, 21, 1
	s_delay_alu instid0(VALU_DEP_1) | instskip(NEXT) | instid1(VALU_DEP_1)
	v_add_nc_u64_e32 v[112:113], v[102:103], v[52:53]
	v_add_nc_u64_e32 v[112:113], -1, v[112:113]
; %bb.4646:                             ;   in Loop: Header=BB4_4405 Depth=2
	s_or_b32 exec_lo, exec_lo, s42
	v_add_nc_u32_e32 v3, 0xffffff81, v3
	v_lshrrev_b32_e32 v52, 23, v102
	s_mov_b32 s7, exec_lo
	s_delay_alu instid0(VALU_DEP_2) | instskip(NEXT) | instid1(VALU_DEP_1)
	v_cndmask_b32_e64 v3, v3, 0xffffff82, vcc_lo
	v_add3_u32 v30, v30, v3, v52
	v_and_b32_e32 v3, 0x1fffff, v112
	s_delay_alu instid0(VALU_DEP_2) | instskip(NEXT) | instid1(VALU_DEP_2)
	v_add_nc_u32_e32 v112, 14, v30
	v_add_nc_u32_e32 v52, v3, v102
                                        ; implicit-def: $vgpr102_vgpr103
                                        ; implicit-def: $vgpr3
	s_delay_alu instid0(VALU_DEP_2)
	v_cmpx_ne_u32_e32 0, v112
	s_xor_b32 s7, exec_lo, s7
; %bb.4647:                             ;   in Loop: Header=BB4_4405 Depth=2
	s_delay_alu instid0(VALU_DEP_2) | instskip(SKIP_2) | instid1(VALU_DEP_2)
	v_cmp_lt_u64_e32 vcc_lo, 0xffffff, v[52:53]
	v_add_nc_u32_e32 v3, 15, v30
	v_cndmask_b32_e64 v30, 0, 1, vcc_lo
	v_cndmask_b32_e32 v3, v112, v3, vcc_lo
	s_delay_alu instid0(VALU_DEP_2)
	v_lshrrev_b64 v[102:103], v30, v[52:53]
; %bb.4648:                             ;   in Loop: Header=BB4_4405 Depth=2
	s_and_not1_saveexec_b32 s7, s7
; %bb.4649:                             ;   in Loop: Header=BB4_4405 Depth=2
	v_mov_b64_e32 v[102:103], v[52:53]
	v_bfe_u32 v3, v52, 23, 1
; %bb.4650:                             ;   in Loop: Header=BB4_4405 Depth=2
	s_or_b32 exec_lo, exec_lo, s7
	s_delay_alu instid0(VALU_DEP_2) | instskip(NEXT) | instid1(VALU_DEP_2)
	v_lshrrev_b64 v[102:103], 21, v[102:103]
	v_cmp_gt_i32_e32 vcc_lo, 32, v3
	v_min_i32_e32 v30, 31, v3
	v_cmp_eq_u32_e64 s7, 0, v3
	s_delay_alu instid0(VALU_DEP_4) | instskip(NEXT) | instid1(VALU_DEP_3)
	v_cndmask_b32_e32 v102, 3, v102, vcc_lo
	v_dual_cndmask_b32 v103, 0, v103 :: v_dual_lshlrev_b32 v30, 2, v30
	s_delay_alu instid0(VALU_DEP_1) | instskip(NEXT) | instid1(VALU_DEP_2)
	v_and_b32_e32 v30, 0xfc, v30
	v_cmp_eq_u64_e32 vcc_lo, 0, v[102:103]
	s_delay_alu instid0(VALU_DEP_2)
	v_and_or_b32 v3, v102, 3, v30
	s_and_b32 s7, s7, vcc_lo
	s_delay_alu instid0(VALU_DEP_1) | instid1(SALU_CYCLE_1)
	v_cndmask_b32_e64 v3, v3, 0, s7
	s_delay_alu instid0(VALU_DEP_1)
	v_or_b32_e32 v40, v3, v0
.LBB4_4651:                             ;   in Loop: Header=BB4_4405 Depth=2
	s_or_b32 exec_lo, exec_lo, s41
                                        ; implicit-def: $vgpr0
.LBB4_4652:                             ;   in Loop: Header=BB4_4405 Depth=2
	s_and_not1_saveexec_b32 s7, s14
; %bb.4653:                             ;   in Loop: Header=BB4_4405 Depth=2
	v_or_b32_e32 v40, 0x7b, v0
; %bb.4654:                             ;   in Loop: Header=BB4_4405 Depth=2
	s_or_b32 exec_lo, exec_lo, s7
                                        ; implicit-def: $vgpr3
                                        ; implicit-def: $vgpr0
.LBB4_4655:                             ;   in Loop: Header=BB4_4405 Depth=2
	s_and_not1_saveexec_b32 s7, s13
	s_cbranch_execz .LBB4_4661
; %bb.4656:                             ;   in Loop: Header=BB4_4405 Depth=2
	s_mov_b32 s13, exec_lo
                                        ; implicit-def: $vgpr40
	v_cmpx_ne_u64_e32 0, v[52:53]
	s_xor_b32 s13, exec_lo, s13
; %bb.4657:                             ;   in Loop: Header=BB4_4405 Depth=2
	v_or_b32_e32 v40, 0x7f, v0
                                        ; implicit-def: $vgpr3
; %bb.4658:                             ;   in Loop: Header=BB4_4405 Depth=2
	s_and_not1_saveexec_b32 s13, s13
; %bb.4659:                             ;   in Loop: Header=BB4_4405 Depth=2
	v_cmp_lt_i32_e32 vcc_lo, -1, v3
	v_cndmask_b32_e32 v40, 0xfc, v110, vcc_lo
; %bb.4660:                             ;   in Loop: Header=BB4_4405 Depth=2
	s_or_b32 exec_lo, exec_lo, s13
.LBB4_4661:                             ;   in Loop: Header=BB4_4405 Depth=2
	s_delay_alu instid0(SALU_CYCLE_1) | instskip(SKIP_4) | instid1(VALU_DEP_3)
	s_or_b32 exec_lo, exec_lo, s7
	v_and_b32_e32 v0, 0xff, v23
	v_dual_mov_b32 v52, v23 :: v_dual_mov_b32 v102, v19
	v_mov_b32_e32 v103, v53
	s_and_b32 vcc_lo, exec_lo, s12
	v_cmp_ne_u16_e64 s7, 0, v0
	s_mov_b32 s13, -1
                                        ; implicit-def: $vgpr3
	s_cbranch_vccz .LBB4_4683
; %bb.4662:                             ;   in Loop: Header=BB4_4405 Depth=2
	v_dual_mov_b32 v30, 0 :: v_dual_mov_b32 v3, 0
	s_and_saveexec_b32 s13, s7
	s_cbranch_execz .LBB4_4672
; %bb.4663:                             ;   in Loop: Header=BB4_4405 Depth=2
	v_bfrev_b32_e32 v3, 1
	s_mov_b32 s14, exec_lo
	v_cmpx_ne_u16_e32 0x80, v0
	s_cbranch_execz .LBB4_4671
; %bb.4664:                             ;   in Loop: Header=BB4_4405 Depth=2
	v_and_b32_e32 v3, 0x7c, v23
	v_and_b32_e32 v112, 3, v23
	s_delay_alu instid0(VALU_DEP_2) | instskip(SKIP_1) | instid1(SALU_CYCLE_1)
	v_cmp_ne_u32_e32 vcc_lo, 0x7c, v3
                                        ; implicit-def: $vgpr3
	s_and_saveexec_b32 s41, vcc_lo
	s_xor_b32 s41, exec_lo, s41
	s_cbranch_execz .LBB4_4668
; %bb.4665:                             ;   in Loop: Header=BB4_4405 Depth=2
	v_bfe_u32 v3, v23, 2, 5
	s_mov_b32 s42, exec_lo
	s_delay_alu instid0(VALU_DEP_1)
	v_cmpx_eq_u32_e32 0, v3
; %bb.4666:                             ;   in Loop: Header=BB4_4405 Depth=2
	v_clz_i32_u32_e32 v3, v112
	s_delay_alu instid0(VALU_DEP_1) | instskip(NEXT) | instid1(VALU_DEP_1)
	v_min_u32_e32 v3, 32, v3
	v_subrev_nc_u32_e32 v112, 29, v3
	s_delay_alu instid0(VALU_DEP_1) | instskip(NEXT) | instid1(VALU_DEP_1)
	v_lshlrev_b64_e32 v[112:113], v112, v[52:53]
	v_dual_sub_nc_u32 v3, 30, v3 :: v_dual_bitop2_b32 v112, 3, v112 bitop3:0x40
; %bb.4667:                             ;   in Loop: Header=BB4_4405 Depth=2
	s_or_b32 exec_lo, exec_lo, s42
	v_lshlrev_b32_e32 v113, 24, v23
	s_delay_alu instid0(VALU_DEP_1) | instskip(NEXT) | instid1(VALU_DEP_1)
	v_and_b32_e32 v113, 0x80000000, v113
	v_lshl_add_u32 v3, v3, 23, v113
	s_delay_alu instid0(VALU_DEP_1) | instskip(NEXT) | instid1(VALU_DEP_1)
	v_lshl_or_b32 v3, v112, 21, v3
                                        ; implicit-def: $vgpr112
	v_add_nc_u32_e32 v3, 0x38000000, v3
.LBB4_4668:                             ;   in Loop: Header=BB4_4405 Depth=2
	s_and_not1_saveexec_b32 s41, s41
; %bb.4669:                             ;   in Loop: Header=BB4_4405 Depth=2
	v_bfe_i32 v3, v23, 0, 8
	s_delay_alu instid0(VALU_DEP_1) | instskip(SKIP_2) | instid1(VALU_DEP_2)
	v_cmp_lt_i16_e32 vcc_lo, -1, v3
	v_cndmask_b32_e32 v3, 0xff800000, v109, vcc_lo
	v_cmp_eq_u32_e32 vcc_lo, 0, v112
	v_cndmask_b32_e32 v3, 0x7f800001, v3, vcc_lo
; %bb.4670:                             ;   in Loop: Header=BB4_4405 Depth=2
	s_or_b32 exec_lo, exec_lo, s41
.LBB4_4671:                             ;   in Loop: Header=BB4_4405 Depth=2
	s_delay_alu instid0(SALU_CYCLE_1)
	s_or_b32 exec_lo, exec_lo, s14
.LBB4_4672:                             ;   in Loop: Header=BB4_4405 Depth=2
	s_delay_alu instid0(SALU_CYCLE_1) | instskip(SKIP_2) | instid1(VALU_DEP_1)
	s_or_b32 exec_lo, exec_lo, s13
	v_and_b32_e32 v112, 0xff, v19
	s_mov_b32 s13, exec_lo
	v_cmpx_ne_u16_e32 0, v112
	s_cbranch_execz .LBB4_4682
; %bb.4673:                             ;   in Loop: Header=BB4_4405 Depth=2
	v_bfrev_b32_e32 v30, 1
	s_mov_b32 s14, exec_lo
	v_cmpx_ne_u16_e32 0x80, v112
	s_cbranch_execz .LBB4_4681
; %bb.4674:                             ;   in Loop: Header=BB4_4405 Depth=2
	v_and_b32_e32 v30, 0x7c, v19
	v_and_b32_e32 v112, 3, v19
	s_delay_alu instid0(VALU_DEP_2) | instskip(SKIP_1) | instid1(SALU_CYCLE_1)
	v_cmp_ne_u32_e32 vcc_lo, 0x7c, v30
                                        ; implicit-def: $vgpr30
	s_and_saveexec_b32 s41, vcc_lo
	s_xor_b32 s41, exec_lo, s41
	s_cbranch_execz .LBB4_4678
; %bb.4675:                             ;   in Loop: Header=BB4_4405 Depth=2
	v_bfe_u32 v30, v19, 2, 5
	s_mov_b32 s42, exec_lo
	s_delay_alu instid0(VALU_DEP_1)
	v_cmpx_eq_u32_e32 0, v30
; %bb.4676:                             ;   in Loop: Header=BB4_4405 Depth=2
	v_clz_i32_u32_e32 v30, v112
	s_delay_alu instid0(VALU_DEP_1) | instskip(NEXT) | instid1(VALU_DEP_1)
	v_min_u32_e32 v30, 32, v30
	v_subrev_nc_u32_e32 v112, 29, v30
	s_delay_alu instid0(VALU_DEP_1) | instskip(NEXT) | instid1(VALU_DEP_1)
	v_lshlrev_b64_e32 v[112:113], v112, v[102:103]
	v_dual_sub_nc_u32 v30, 30, v30 :: v_dual_bitop2_b32 v112, 3, v112 bitop3:0x40
; %bb.4677:                             ;   in Loop: Header=BB4_4405 Depth=2
	s_or_b32 exec_lo, exec_lo, s42
	v_lshlrev_b32_e32 v113, 24, v19
	s_delay_alu instid0(VALU_DEP_1) | instskip(NEXT) | instid1(VALU_DEP_1)
	v_and_b32_e32 v113, 0x80000000, v113
	v_lshl_add_u32 v30, v30, 23, v113
	s_delay_alu instid0(VALU_DEP_1) | instskip(NEXT) | instid1(VALU_DEP_1)
	v_lshl_or_b32 v30, v112, 21, v30
                                        ; implicit-def: $vgpr112
	v_add_nc_u32_e32 v30, 0x38000000, v30
.LBB4_4678:                             ;   in Loop: Header=BB4_4405 Depth=2
	s_and_not1_saveexec_b32 s41, s41
; %bb.4679:                             ;   in Loop: Header=BB4_4405 Depth=2
	v_bfe_i32 v30, v19, 0, 8
	s_delay_alu instid0(VALU_DEP_1) | instskip(SKIP_2) | instid1(VALU_DEP_2)
	v_cmp_lt_i16_e32 vcc_lo, -1, v30
	v_cndmask_b32_e32 v30, 0xff800000, v109, vcc_lo
	v_cmp_eq_u32_e32 vcc_lo, 0, v112
	v_cndmask_b32_e32 v30, 0x7f800001, v30, vcc_lo
; %bb.4680:                             ;   in Loop: Header=BB4_4405 Depth=2
	s_or_b32 exec_lo, exec_lo, s41
.LBB4_4681:                             ;   in Loop: Header=BB4_4405 Depth=2
	s_delay_alu instid0(SALU_CYCLE_1)
	s_or_b32 exec_lo, exec_lo, s14
.LBB4_4682:                             ;   in Loop: Header=BB4_4405 Depth=2
	s_delay_alu instid0(SALU_CYCLE_1) | instskip(NEXT) | instid1(VALU_DEP_1)
	s_or_b32 exec_lo, exec_lo, s13
	v_dual_max_num_f32 v30, v30, v30 :: v_dual_max_num_f32 v3, v3, v3
	s_mov_b32 s13, 0
	s_delay_alu instid0(VALU_DEP_1)
	v_max_num_f32_e32 v3, v3, v30
.LBB4_4683:                             ;   in Loop: Header=BB4_4405 Depth=2
	s_and_b32 vcc_lo, exec_lo, s13
	s_cbranch_vccz .LBB4_4705
; %bb.4684:                             ;   in Loop: Header=BB4_4405 Depth=2
	v_dual_mov_b32 v30, 0 :: v_dual_mov_b32 v3, 0
	s_and_saveexec_b32 s13, s7
	s_cbranch_execz .LBB4_4694
; %bb.4685:                             ;   in Loop: Header=BB4_4405 Depth=2
	v_bfrev_b32_e32 v3, 1
	s_mov_b32 s7, exec_lo
	v_cmpx_ne_u16_e32 0x80, v0
	s_cbranch_execz .LBB4_4693
; %bb.4686:                             ;   in Loop: Header=BB4_4405 Depth=2
	v_and_b32_e32 v3, 0x7c, v23
	v_and_b32_e32 v0, 3, v23
	s_delay_alu instid0(VALU_DEP_2) | instskip(SKIP_1) | instid1(SALU_CYCLE_1)
	v_cmp_ne_u32_e32 vcc_lo, 0x7c, v3
                                        ; implicit-def: $vgpr3
	s_and_saveexec_b32 s14, vcc_lo
	s_xor_b32 s14, exec_lo, s14
	s_cbranch_execz .LBB4_4690
; %bb.4687:                             ;   in Loop: Header=BB4_4405 Depth=2
	v_bfe_u32 v3, v23, 2, 5
	s_mov_b32 s41, exec_lo
	s_delay_alu instid0(VALU_DEP_1)
	v_cmpx_eq_u32_e32 0, v3
; %bb.4688:                             ;   in Loop: Header=BB4_4405 Depth=2
	v_clz_i32_u32_e32 v0, v0
	s_delay_alu instid0(VALU_DEP_1) | instskip(NEXT) | instid1(VALU_DEP_1)
	v_min_u32_e32 v0, 32, v0
	v_subrev_nc_u32_e32 v3, 29, v0
	s_delay_alu instid0(VALU_DEP_1) | instskip(SKIP_1) | instid1(VALU_DEP_2)
	v_lshlrev_b64_e32 v[112:113], v3, v[52:53]
	v_sub_nc_u32_e32 v3, 30, v0
	v_and_b32_e32 v0, 3, v112
; %bb.4689:                             ;   in Loop: Header=BB4_4405 Depth=2
	s_or_b32 exec_lo, exec_lo, s41
	v_lshlrev_b32_e32 v112, 24, v23
	s_delay_alu instid0(VALU_DEP_1) | instskip(NEXT) | instid1(VALU_DEP_1)
	v_and_b32_e32 v112, 0x80000000, v112
	v_lshl_add_u32 v3, v3, 23, v112
	s_delay_alu instid0(VALU_DEP_1) | instskip(NEXT) | instid1(VALU_DEP_1)
	v_lshl_or_b32 v0, v0, 21, v3
	v_add_nc_u32_e32 v3, 0x38000000, v0
                                        ; implicit-def: $vgpr0
.LBB4_4690:                             ;   in Loop: Header=BB4_4405 Depth=2
	s_and_not1_saveexec_b32 s14, s14
; %bb.4691:                             ;   in Loop: Header=BB4_4405 Depth=2
	v_bfe_i32 v3, v23, 0, 8
	s_delay_alu instid0(VALU_DEP_1) | instskip(SKIP_2) | instid1(VALU_DEP_2)
	v_cmp_lt_i16_e32 vcc_lo, -1, v3
	v_cndmask_b32_e32 v3, 0xff800000, v109, vcc_lo
	v_cmp_eq_u32_e32 vcc_lo, 0, v0
	v_cndmask_b32_e32 v3, 0x7f800001, v3, vcc_lo
; %bb.4692:                             ;   in Loop: Header=BB4_4405 Depth=2
	s_or_b32 exec_lo, exec_lo, s14
.LBB4_4693:                             ;   in Loop: Header=BB4_4405 Depth=2
	s_delay_alu instid0(SALU_CYCLE_1)
	s_or_b32 exec_lo, exec_lo, s7
.LBB4_4694:                             ;   in Loop: Header=BB4_4405 Depth=2
	s_delay_alu instid0(SALU_CYCLE_1) | instskip(SKIP_2) | instid1(VALU_DEP_1)
	s_or_b32 exec_lo, exec_lo, s13
	v_and_b32_e32 v0, 0xff, v19
	s_mov_b32 s7, exec_lo
	v_cmpx_ne_u16_e32 0, v0
	s_cbranch_execz .LBB4_4704
; %bb.4695:                             ;   in Loop: Header=BB4_4405 Depth=2
	v_bfrev_b32_e32 v30, 1
	s_mov_b32 s13, exec_lo
	v_cmpx_ne_u16_e32 0x80, v0
	s_cbranch_execz .LBB4_4703
; %bb.4696:                             ;   in Loop: Header=BB4_4405 Depth=2
	v_and_b32_e32 v30, 0x7c, v19
	v_and_b32_e32 v0, 3, v19
	s_delay_alu instid0(VALU_DEP_2) | instskip(SKIP_1) | instid1(SALU_CYCLE_1)
	v_cmp_ne_u32_e32 vcc_lo, 0x7c, v30
                                        ; implicit-def: $vgpr30
	s_and_saveexec_b32 s14, vcc_lo
	s_xor_b32 s14, exec_lo, s14
	s_cbranch_execz .LBB4_4700
; %bb.4697:                             ;   in Loop: Header=BB4_4405 Depth=2
	v_bfe_u32 v30, v19, 2, 5
	s_mov_b32 s41, exec_lo
	s_delay_alu instid0(VALU_DEP_1)
	v_cmpx_eq_u32_e32 0, v30
; %bb.4698:                             ;   in Loop: Header=BB4_4405 Depth=2
	v_clz_i32_u32_e32 v0, v0
	s_delay_alu instid0(VALU_DEP_1) | instskip(NEXT) | instid1(VALU_DEP_1)
	v_min_u32_e32 v0, 32, v0
	v_subrev_nc_u32_e32 v30, 29, v0
	s_delay_alu instid0(VALU_DEP_1) | instskip(SKIP_1) | instid1(VALU_DEP_2)
	v_lshlrev_b64_e32 v[112:113], v30, v[102:103]
	v_sub_nc_u32_e32 v30, 30, v0
	v_and_b32_e32 v0, 3, v112
; %bb.4699:                             ;   in Loop: Header=BB4_4405 Depth=2
	s_or_b32 exec_lo, exec_lo, s41
	v_lshlrev_b32_e32 v103, 24, v19
	s_delay_alu instid0(VALU_DEP_1) | instskip(NEXT) | instid1(VALU_DEP_1)
	v_and_b32_e32 v103, 0x80000000, v103
	v_lshl_add_u32 v30, v30, 23, v103
	s_delay_alu instid0(VALU_DEP_1) | instskip(NEXT) | instid1(VALU_DEP_1)
	v_lshl_or_b32 v0, v0, 21, v30
	v_add_nc_u32_e32 v30, 0x38000000, v0
                                        ; implicit-def: $vgpr0
.LBB4_4700:                             ;   in Loop: Header=BB4_4405 Depth=2
	s_and_not1_saveexec_b32 s14, s14
; %bb.4701:                             ;   in Loop: Header=BB4_4405 Depth=2
	v_bfe_i32 v30, v19, 0, 8
	s_delay_alu instid0(VALU_DEP_1) | instskip(SKIP_2) | instid1(VALU_DEP_2)
	v_cmp_lt_i16_e32 vcc_lo, -1, v30
	v_cndmask_b32_e32 v30, 0xff800000, v109, vcc_lo
	v_cmp_eq_u32_e32 vcc_lo, 0, v0
	v_cndmask_b32_e32 v30, 0x7f800001, v30, vcc_lo
; %bb.4702:                             ;   in Loop: Header=BB4_4405 Depth=2
	s_or_b32 exec_lo, exec_lo, s14
.LBB4_4703:                             ;   in Loop: Header=BB4_4405 Depth=2
	s_delay_alu instid0(SALU_CYCLE_1)
	s_or_b32 exec_lo, exec_lo, s13
.LBB4_4704:                             ;   in Loop: Header=BB4_4405 Depth=2
	s_delay_alu instid0(SALU_CYCLE_1) | instskip(NEXT) | instid1(VALU_DEP_1)
	s_or_b32 exec_lo, exec_lo, s7
	v_dual_max_num_f32 v0, v30, v30 :: v_dual_max_num_f32 v3, v3, v3
	s_delay_alu instid0(VALU_DEP_1)
	v_min_num_f32_e32 v3, v3, v0
.LBB4_4705:                             ;   in Loop: Header=BB4_4405 Depth=2
	s_delay_alu instid0(VALU_DEP_1) | instskip(SKIP_4) | instid1(VALU_DEP_3)
	v_and_b32_e32 v114, 0x7f800000, v3
	v_dual_mov_b32 v115, v53 :: v_dual_mov_b32 v113, v53
	v_and_b32_e32 v112, 0x7fffff, v3
	v_lshrrev_b32_e32 v0, 24, v3
                                        ; implicit-def: $vgpr41
	s_mov_b32 s7, exec_lo
	v_cmpx_ne_u64_e32 0x7f800000, v[114:115]
	s_xor_b32 s13, exec_lo, s7
	s_cbranch_execz .LBB4_4719
; %bb.4706:                             ;   in Loop: Header=BB4_4405 Depth=2
	v_and_b32_e32 v114, 0x7fffffff, v3
	v_mov_b32_e32 v115, v53
	v_and_b32_e32 v0, 0x80, v0
                                        ; implicit-def: $vgpr41
	s_mov_b32 s7, exec_lo
	s_delay_alu instid0(VALU_DEP_2)
	v_cmpx_gt_u64_e32 0x47600001, v[114:115]
	s_xor_b32 s14, exec_lo, s7
	s_cbranch_execz .LBB4_4716
; %bb.4707:                             ;   in Loop: Header=BB4_4405 Depth=2
	v_mov_b32_e32 v41, 0
	s_mov_b32 s41, exec_lo
	v_cmpx_ne_u32_e32 0, v3
	s_cbranch_execz .LBB4_4715
; %bb.4708:                             ;   in Loop: Header=BB4_4405 Depth=2
	v_bfe_u32 v3, v3, 23, 8
	v_or_b32_e32 v41, 0x800000, v112
	s_delay_alu instid0(VALU_DEP_2) | instskip(SKIP_1) | instid1(VALU_DEP_2)
	v_sub_nc_u32_e32 v30, 0x71, v3
	v_cmp_gt_u32_e32 vcc_lo, 0x72, v3
	v_cndmask_b32_e32 v30, 0, v30, vcc_lo
	v_cmp_eq_u32_e32 vcc_lo, 0, v3
	v_cndmask_b32_e32 v112, v41, v112, vcc_lo
	s_delay_alu instid0(VALU_DEP_3) | instskip(NEXT) | instid1(VALU_DEP_1)
	v_cndmask_b32_e64 v30, v30, 0x70, vcc_lo
	v_add_nc_u32_e32 v103, 21, v30
	s_delay_alu instid0(VALU_DEP_1) | instskip(SKIP_1) | instid1(VALU_DEP_1)
	v_lshlrev_b64_e64 v[114:115], v103, -1
	v_add_nc_u32_e32 v103, 20, v30
	v_lshlrev_b64_e64 v[42:43], v103, 1
	s_delay_alu instid0(VALU_DEP_3) | instskip(SKIP_2) | instid1(VALU_DEP_1)
	v_bfi_b32 v114, v114, 0, v112
	v_lshrrev_b64 v[112:113], v30, v[112:113]
	v_bfi_b32 v115, v115, 0, 0
	v_cmp_eq_u64_e64 s7, v[114:115], v[42:43]
	s_delay_alu instid0(VALU_DEP_3)
	v_mov_b64_e32 v[114:115], v[112:113]
	s_and_saveexec_b32 s42, s7
; %bb.4709:                             ;   in Loop: Header=BB4_4405 Depth=2
	v_bfe_u32 v114, v112, 21, 1
	v_mov_b32_e32 v115, v53
	s_delay_alu instid0(VALU_DEP_1) | instskip(NEXT) | instid1(VALU_DEP_1)
	v_add_nc_u64_e32 v[114:115], v[112:113], v[114:115]
	v_add_nc_u64_e32 v[114:115], -1, v[114:115]
; %bb.4710:                             ;   in Loop: Header=BB4_4405 Depth=2
	s_or_b32 exec_lo, exec_lo, s42
	v_add_nc_u32_e32 v3, 0xffffff81, v3
	v_lshrrev_b32_e32 v103, 23, v112
	s_mov_b32 s7, exec_lo
	v_mov_b32_e32 v113, v53
	s_delay_alu instid0(VALU_DEP_3) | instskip(NEXT) | instid1(VALU_DEP_1)
	v_cndmask_b32_e64 v3, v3, 0xffffff82, vcc_lo
	v_add3_u32 v30, v30, v3, v103
	v_and_b32_e32 v3, 0x1fffff, v114
	s_delay_alu instid0(VALU_DEP_1) | instskip(NEXT) | instid1(VALU_DEP_1)
	v_dual_add_nc_u32 v103, 14, v30 :: v_dual_add_nc_u32 v112, v3, v112
                                        ; implicit-def: $vgpr3
	v_cmpx_ne_u32_e32 0, v103
	s_xor_b32 s7, exec_lo, s7
; %bb.4711:                             ;   in Loop: Header=BB4_4405 Depth=2
	s_delay_alu instid0(VALU_DEP_2) | instskip(SKIP_2) | instid1(VALU_DEP_2)
	v_cmp_lt_u64_e32 vcc_lo, 0xffffff, v[112:113]
	v_add_nc_u32_e32 v3, 15, v30
	v_cndmask_b32_e64 v30, 0, 1, vcc_lo
	v_cndmask_b32_e32 v3, v103, v3, vcc_lo
	s_delay_alu instid0(VALU_DEP_2)
	v_lshrrev_b64 v[112:113], v30, v[112:113]
; %bb.4712:                             ;   in Loop: Header=BB4_4405 Depth=2
	s_and_not1_saveexec_b32 s7, s7
; %bb.4713:                             ;   in Loop: Header=BB4_4405 Depth=2
	s_delay_alu instid0(VALU_DEP_1)
	v_bfe_u32 v3, v112, 23, 1
; %bb.4714:                             ;   in Loop: Header=BB4_4405 Depth=2
	s_or_b32 exec_lo, exec_lo, s7
	s_delay_alu instid0(VALU_DEP_2) | instskip(NEXT) | instid1(VALU_DEP_2)
	v_lshrrev_b64 v[112:113], 21, v[112:113]
	v_cmp_gt_i32_e32 vcc_lo, 32, v3
	v_min_i32_e32 v30, 31, v3
	v_cmp_eq_u32_e64 s7, 0, v3
	s_delay_alu instid0(VALU_DEP_2) | instskip(SKIP_1) | instid1(VALU_DEP_2)
	v_dual_cndmask_b32 v113, 0, v113 :: v_dual_lshlrev_b32 v30, 2, v30
	v_cndmask_b32_e32 v112, 3, v112, vcc_lo
	v_and_b32_e32 v30, 0xfc, v30
	s_delay_alu instid0(VALU_DEP_2) | instskip(NEXT) | instid1(VALU_DEP_2)
	v_cmp_eq_u64_e32 vcc_lo, 0, v[112:113]
	v_and_or_b32 v3, v112, 3, v30
	s_and_b32 s7, s7, vcc_lo
	s_delay_alu instid0(VALU_DEP_1) | instid1(SALU_CYCLE_1)
	v_cndmask_b32_e64 v3, v3, 0, s7
	s_delay_alu instid0(VALU_DEP_1)
	v_or_b32_e32 v41, v3, v0
.LBB4_4715:                             ;   in Loop: Header=BB4_4405 Depth=2
	s_or_b32 exec_lo, exec_lo, s41
                                        ; implicit-def: $vgpr0
.LBB4_4716:                             ;   in Loop: Header=BB4_4405 Depth=2
	s_and_not1_saveexec_b32 s7, s14
; %bb.4717:                             ;   in Loop: Header=BB4_4405 Depth=2
	v_or_b32_e32 v41, 0x7b, v0
; %bb.4718:                             ;   in Loop: Header=BB4_4405 Depth=2
	s_or_b32 exec_lo, exec_lo, s7
                                        ; implicit-def: $vgpr3
                                        ; implicit-def: $vgpr112_vgpr113
                                        ; implicit-def: $vgpr0
.LBB4_4719:                             ;   in Loop: Header=BB4_4405 Depth=2
	s_and_not1_saveexec_b32 s7, s13
	s_cbranch_execz .LBB4_4725
; %bb.4720:                             ;   in Loop: Header=BB4_4405 Depth=2
	s_mov_b32 s13, exec_lo
                                        ; implicit-def: $vgpr41
	v_cmpx_ne_u64_e32 0, v[112:113]
	s_xor_b32 s13, exec_lo, s13
; %bb.4721:                             ;   in Loop: Header=BB4_4405 Depth=2
	v_or_b32_e32 v41, 0x7f, v0
                                        ; implicit-def: $vgpr3
; %bb.4722:                             ;   in Loop: Header=BB4_4405 Depth=2
	s_and_not1_saveexec_b32 s13, s13
; %bb.4723:                             ;   in Loop: Header=BB4_4405 Depth=2
	v_cmp_lt_i32_e32 vcc_lo, -1, v3
	v_cndmask_b32_e32 v41, 0xfc, v110, vcc_lo
; %bb.4724:                             ;   in Loop: Header=BB4_4405 Depth=2
	s_or_b32 exec_lo, exec_lo, s13
.LBB4_4725:                             ;   in Loop: Header=BB4_4405 Depth=2
	s_delay_alu instid0(SALU_CYCLE_1) | instskip(SKIP_4) | instid1(VALU_DEP_2)
	s_or_b32 exec_lo, exec_lo, s7
	v_lshrrev_b16 v114, 8, v52
	v_lshrrev_b16 v112, 8, v102
	s_and_b32 vcc_lo, exec_lo, s12
	s_mov_b32 s13, -1
                                        ; implicit-def: $vgpr3
	v_and_b32_e32 v0, 0xffff, v114
	v_cmp_ne_u16_e64 s7, 0, v114
	s_cbranch_vccz .LBB4_4747
; %bb.4726:                             ;   in Loop: Header=BB4_4405 Depth=2
	v_dual_mov_b32 v30, 0 :: v_dual_mov_b32 v3, 0
	s_and_saveexec_b32 s13, s7
	s_cbranch_execz .LBB4_4736
; %bb.4727:                             ;   in Loop: Header=BB4_4405 Depth=2
	v_bfrev_b32_e32 v3, 1
	s_mov_b32 s14, exec_lo
	v_cmpx_ne_u16_e32 0x80, v114
	s_cbranch_execz .LBB4_4735
; %bb.4728:                             ;   in Loop: Header=BB4_4405 Depth=2
	v_and_b32_e32 v3, 0x7c, v0
	v_and_b32_e32 v103, 3, v0
	s_delay_alu instid0(VALU_DEP_2) | instskip(SKIP_1) | instid1(SALU_CYCLE_1)
	v_cmp_ne_u32_e32 vcc_lo, 0x7c, v3
                                        ; implicit-def: $vgpr3
	s_and_saveexec_b32 s41, vcc_lo
	s_xor_b32 s41, exec_lo, s41
	s_cbranch_execz .LBB4_4732
; %bb.4729:                             ;   in Loop: Header=BB4_4405 Depth=2
	v_bfe_u32 v3, v0, 2, 5
	s_mov_b32 s42, exec_lo
	s_delay_alu instid0(VALU_DEP_1)
	v_cmpx_eq_u32_e32 0, v3
	s_cbranch_execz .LBB4_4731
; %bb.4730:                             ;   in Loop: Header=BB4_4405 Depth=2
	v_clz_i32_u32_e32 v3, v103
	s_delay_alu instid0(VALU_DEP_1) | instskip(SKIP_1) | instid1(VALU_DEP_2)
	v_min_u32_e32 v3, 32, v3
	v_mov_b32_e32 v115, v53
	v_subrev_nc_u32_e32 v103, 29, v3
	v_sub_nc_u32_e32 v3, 30, v3
	s_delay_alu instid0(VALU_DEP_2) | instskip(NEXT) | instid1(VALU_DEP_1)
	v_lshlrev_b64_e32 v[42:43], v103, v[114:115]
	v_and_b32_e32 v103, 3, v42
.LBB4_4731:                             ;   in Loop: Header=BB4_4405 Depth=2
	s_or_b32 exec_lo, exec_lo, s42
	v_lshlrev_b32_e32 v113, 16, v52
	s_delay_alu instid0(VALU_DEP_1) | instskip(NEXT) | instid1(VALU_DEP_1)
	v_and_b32_e32 v113, 0x80000000, v113
	v_lshl_add_u32 v3, v3, 23, v113
	s_delay_alu instid0(VALU_DEP_1) | instskip(NEXT) | instid1(VALU_DEP_1)
	v_lshl_or_b32 v3, v103, 21, v3
                                        ; implicit-def: $vgpr103
	v_add_nc_u32_e32 v3, 0x38000000, v3
.LBB4_4732:                             ;   in Loop: Header=BB4_4405 Depth=2
	s_and_not1_saveexec_b32 s41, s41
; %bb.4733:                             ;   in Loop: Header=BB4_4405 Depth=2
	v_cmp_lt_i16_e32 vcc_lo, -1, v52
	v_cndmask_b32_e32 v3, 0xff800000, v109, vcc_lo
	v_cmp_eq_u32_e32 vcc_lo, 0, v103
	s_delay_alu instid0(VALU_DEP_2)
	v_cndmask_b32_e32 v3, 0x7f800001, v3, vcc_lo
; %bb.4734:                             ;   in Loop: Header=BB4_4405 Depth=2
	s_or_b32 exec_lo, exec_lo, s41
.LBB4_4735:                             ;   in Loop: Header=BB4_4405 Depth=2
	s_delay_alu instid0(SALU_CYCLE_1)
	s_or_b32 exec_lo, exec_lo, s14
.LBB4_4736:                             ;   in Loop: Header=BB4_4405 Depth=2
	s_delay_alu instid0(SALU_CYCLE_1) | instskip(NEXT) | instid1(SALU_CYCLE_1)
	s_or_b32 exec_lo, exec_lo, s13
	s_mov_b32 s13, exec_lo
	v_cmpx_ne_u16_e32 0, v112
	s_cbranch_execz .LBB4_4746
; %bb.4737:                             ;   in Loop: Header=BB4_4405 Depth=2
	v_bfrev_b32_e32 v30, 1
	s_mov_b32 s14, exec_lo
	v_cmpx_ne_u16_e32 0x80, v112
	s_cbranch_execz .LBB4_4745
; %bb.4738:                             ;   in Loop: Header=BB4_4405 Depth=2
	v_and_b32_e32 v113, 0xffff, v112
	s_delay_alu instid0(VALU_DEP_1) | instskip(SKIP_1) | instid1(VALU_DEP_2)
	v_and_b32_e32 v30, 0x7c, v113
	v_and_b32_e32 v103, 3, v113
	v_cmp_ne_u32_e32 vcc_lo, 0x7c, v30
                                        ; implicit-def: $vgpr30
	s_and_saveexec_b32 s41, vcc_lo
	s_delay_alu instid0(SALU_CYCLE_1)
	s_xor_b32 s41, exec_lo, s41
	s_cbranch_execz .LBB4_4742
; %bb.4739:                             ;   in Loop: Header=BB4_4405 Depth=2
	v_bfe_u32 v30, v113, 2, 5
	s_mov_b32 s42, exec_lo
	s_delay_alu instid0(VALU_DEP_1)
	v_cmpx_eq_u32_e32 0, v30
	s_cbranch_execz .LBB4_4741
; %bb.4740:                             ;   in Loop: Header=BB4_4405 Depth=2
	v_clz_i32_u32_e32 v30, v103
	s_delay_alu instid0(VALU_DEP_1) | instskip(SKIP_1) | instid1(VALU_DEP_2)
	v_min_u32_e32 v30, 32, v30
	v_mov_b32_e32 v113, v53
	v_subrev_nc_u32_e32 v103, 29, v30
	v_sub_nc_u32_e32 v30, 30, v30
	s_delay_alu instid0(VALU_DEP_2) | instskip(NEXT) | instid1(VALU_DEP_1)
	v_lshlrev_b64_e32 v[42:43], v103, v[112:113]
	v_and_b32_e32 v103, 3, v42
.LBB4_4741:                             ;   in Loop: Header=BB4_4405 Depth=2
	s_or_b32 exec_lo, exec_lo, s42
	v_lshlrev_b32_e32 v113, 16, v102
	s_delay_alu instid0(VALU_DEP_1) | instskip(NEXT) | instid1(VALU_DEP_1)
	v_and_b32_e32 v113, 0x80000000, v113
	v_lshl_add_u32 v30, v30, 23, v113
	s_delay_alu instid0(VALU_DEP_1) | instskip(NEXT) | instid1(VALU_DEP_1)
	v_lshl_or_b32 v30, v103, 21, v30
                                        ; implicit-def: $vgpr103
	v_add_nc_u32_e32 v30, 0x38000000, v30
.LBB4_4742:                             ;   in Loop: Header=BB4_4405 Depth=2
	s_and_not1_saveexec_b32 s41, s41
; %bb.4743:                             ;   in Loop: Header=BB4_4405 Depth=2
	v_cmp_lt_i16_e32 vcc_lo, -1, v102
	v_cndmask_b32_e32 v30, 0xff800000, v109, vcc_lo
	v_cmp_eq_u32_e32 vcc_lo, 0, v103
	s_delay_alu instid0(VALU_DEP_2)
	v_cndmask_b32_e32 v30, 0x7f800001, v30, vcc_lo
; %bb.4744:                             ;   in Loop: Header=BB4_4405 Depth=2
	s_or_b32 exec_lo, exec_lo, s41
.LBB4_4745:                             ;   in Loop: Header=BB4_4405 Depth=2
	s_delay_alu instid0(SALU_CYCLE_1)
	s_or_b32 exec_lo, exec_lo, s14
.LBB4_4746:                             ;   in Loop: Header=BB4_4405 Depth=2
	s_delay_alu instid0(SALU_CYCLE_1) | instskip(NEXT) | instid1(VALU_DEP_1)
	s_or_b32 exec_lo, exec_lo, s13
	v_dual_max_num_f32 v30, v30, v30 :: v_dual_max_num_f32 v3, v3, v3
	s_mov_b32 s13, 0
	s_delay_alu instid0(VALU_DEP_1)
	v_max_num_f32_e32 v3, v3, v30
.LBB4_4747:                             ;   in Loop: Header=BB4_4405 Depth=2
	s_and_b32 vcc_lo, exec_lo, s13
	s_cbranch_vccz .LBB4_4769
; %bb.4748:                             ;   in Loop: Header=BB4_4405 Depth=2
	v_dual_mov_b32 v30, 0 :: v_dual_mov_b32 v3, 0
	s_and_saveexec_b32 s13, s7
	s_cbranch_execz .LBB4_4758
; %bb.4749:                             ;   in Loop: Header=BB4_4405 Depth=2
	v_bfrev_b32_e32 v3, 1
	s_mov_b32 s7, exec_lo
	v_cmpx_ne_u16_e32 0x80, v114
	s_cbranch_execz .LBB4_4757
; %bb.4750:                             ;   in Loop: Header=BB4_4405 Depth=2
	v_and_b32_e32 v3, 0x7c, v0
	v_and_b32_e32 v103, 3, v0
	s_delay_alu instid0(VALU_DEP_2) | instskip(SKIP_1) | instid1(SALU_CYCLE_1)
	v_cmp_ne_u32_e32 vcc_lo, 0x7c, v3
                                        ; implicit-def: $vgpr3
	s_and_saveexec_b32 s14, vcc_lo
	s_xor_b32 s14, exec_lo, s14
	s_cbranch_execz .LBB4_4754
; %bb.4751:                             ;   in Loop: Header=BB4_4405 Depth=2
	v_bfe_u32 v0, v0, 2, 5
	s_mov_b32 s41, exec_lo
	s_delay_alu instid0(VALU_DEP_1)
	v_cmpx_eq_u32_e32 0, v0
	s_cbranch_execz .LBB4_4753
; %bb.4752:                             ;   in Loop: Header=BB4_4405 Depth=2
	v_clz_i32_u32_e32 v0, v103
	s_delay_alu instid0(VALU_DEP_1) | instskip(SKIP_1) | instid1(VALU_DEP_2)
	v_min_u32_e32 v0, 32, v0
	v_mov_b32_e32 v115, v53
	v_subrev_nc_u32_e32 v3, 29, v0
	v_sub_nc_u32_e32 v0, 30, v0
	s_delay_alu instid0(VALU_DEP_2) | instskip(NEXT) | instid1(VALU_DEP_1)
	v_lshlrev_b64_e32 v[114:115], v3, v[114:115]
	v_and_b32_e32 v103, 3, v114
.LBB4_4753:                             ;   in Loop: Header=BB4_4405 Depth=2
	s_or_b32 exec_lo, exec_lo, s41
	v_lshlrev_b32_e32 v3, 16, v52
	s_delay_alu instid0(VALU_DEP_1) | instskip(NEXT) | instid1(VALU_DEP_1)
	v_and_b32_e32 v3, 0x80000000, v3
	v_lshl_add_u32 v0, v0, 23, v3
	s_delay_alu instid0(VALU_DEP_1) | instskip(NEXT) | instid1(VALU_DEP_1)
	v_lshl_or_b32 v0, v103, 21, v0
                                        ; implicit-def: $vgpr103
	v_add_nc_u32_e32 v3, 0x38000000, v0
.LBB4_4754:                             ;   in Loop: Header=BB4_4405 Depth=2
	s_and_not1_saveexec_b32 s14, s14
; %bb.4755:                             ;   in Loop: Header=BB4_4405 Depth=2
	v_cmp_lt_i16_e32 vcc_lo, -1, v52
	v_cndmask_b32_e32 v0, 0xff800000, v109, vcc_lo
	v_cmp_eq_u32_e32 vcc_lo, 0, v103
	s_delay_alu instid0(VALU_DEP_2)
	v_cndmask_b32_e32 v3, 0x7f800001, v0, vcc_lo
; %bb.4756:                             ;   in Loop: Header=BB4_4405 Depth=2
	s_or_b32 exec_lo, exec_lo, s14
.LBB4_4757:                             ;   in Loop: Header=BB4_4405 Depth=2
	s_delay_alu instid0(SALU_CYCLE_1)
	s_or_b32 exec_lo, exec_lo, s7
.LBB4_4758:                             ;   in Loop: Header=BB4_4405 Depth=2
	s_delay_alu instid0(SALU_CYCLE_1) | instskip(NEXT) | instid1(SALU_CYCLE_1)
	s_or_b32 exec_lo, exec_lo, s13
	s_mov_b32 s7, exec_lo
	v_cmpx_ne_u16_e32 0, v112
	s_cbranch_execz .LBB4_4768
; %bb.4759:                             ;   in Loop: Header=BB4_4405 Depth=2
	v_bfrev_b32_e32 v30, 1
	s_mov_b32 s13, exec_lo
	v_cmpx_ne_u16_e32 0x80, v112
	s_cbranch_execz .LBB4_4767
; %bb.4760:                             ;   in Loop: Header=BB4_4405 Depth=2
	v_and_b32_e32 v52, 0xffff, v112
	s_delay_alu instid0(VALU_DEP_1) | instskip(SKIP_1) | instid1(VALU_DEP_2)
	v_and_b32_e32 v30, 0x7c, v52
	v_and_b32_e32 v0, 3, v52
	v_cmp_ne_u32_e32 vcc_lo, 0x7c, v30
                                        ; implicit-def: $vgpr30
	s_and_saveexec_b32 s14, vcc_lo
	s_delay_alu instid0(SALU_CYCLE_1)
	s_xor_b32 s14, exec_lo, s14
	s_cbranch_execz .LBB4_4764
; %bb.4761:                             ;   in Loop: Header=BB4_4405 Depth=2
	v_bfe_u32 v30, v52, 2, 5
	s_mov_b32 s41, exec_lo
	s_delay_alu instid0(VALU_DEP_1)
	v_cmpx_eq_u32_e32 0, v30
	s_cbranch_execz .LBB4_4763
; %bb.4762:                             ;   in Loop: Header=BB4_4405 Depth=2
	v_clz_i32_u32_e32 v0, v0
	s_delay_alu instid0(VALU_DEP_1) | instskip(SKIP_1) | instid1(VALU_DEP_2)
	v_min_u32_e32 v0, 32, v0
	v_mov_b32_e32 v113, v53
	v_subrev_nc_u32_e32 v30, 29, v0
	s_delay_alu instid0(VALU_DEP_1) | instskip(SKIP_1) | instid1(VALU_DEP_2)
	v_lshlrev_b64_e32 v[112:113], v30, v[112:113]
	v_sub_nc_u32_e32 v30, 30, v0
	v_and_b32_e32 v0, 3, v112
.LBB4_4763:                             ;   in Loop: Header=BB4_4405 Depth=2
	s_or_b32 exec_lo, exec_lo, s41
	v_lshlrev_b32_e32 v52, 16, v102
                                        ; implicit-def: $vgpr102_vgpr103
	s_delay_alu instid0(VALU_DEP_1) | instskip(NEXT) | instid1(VALU_DEP_1)
	v_and_b32_e32 v52, 0x80000000, v52
	v_lshl_add_u32 v30, v30, 23, v52
	s_delay_alu instid0(VALU_DEP_1) | instskip(NEXT) | instid1(VALU_DEP_1)
	v_lshl_or_b32 v0, v0, 21, v30
	v_add_nc_u32_e32 v30, 0x38000000, v0
                                        ; implicit-def: $vgpr0
.LBB4_4764:                             ;   in Loop: Header=BB4_4405 Depth=2
	s_and_not1_saveexec_b32 s14, s14
; %bb.4765:                             ;   in Loop: Header=BB4_4405 Depth=2
	v_cmp_lt_i16_e32 vcc_lo, -1, v102
	v_cndmask_b32_e32 v30, 0xff800000, v109, vcc_lo
	v_cmp_eq_u32_e32 vcc_lo, 0, v0
	s_delay_alu instid0(VALU_DEP_2)
	v_cndmask_b32_e32 v30, 0x7f800001, v30, vcc_lo
; %bb.4766:                             ;   in Loop: Header=BB4_4405 Depth=2
	s_or_b32 exec_lo, exec_lo, s14
.LBB4_4767:                             ;   in Loop: Header=BB4_4405 Depth=2
	s_delay_alu instid0(SALU_CYCLE_1)
	s_or_b32 exec_lo, exec_lo, s13
.LBB4_4768:                             ;   in Loop: Header=BB4_4405 Depth=2
	s_delay_alu instid0(SALU_CYCLE_1) | instskip(NEXT) | instid1(VALU_DEP_1)
	s_or_b32 exec_lo, exec_lo, s7
	v_dual_max_num_f32 v0, v30, v30 :: v_dual_max_num_f32 v3, v3, v3
	s_delay_alu instid0(VALU_DEP_1)
	v_min_num_f32_e32 v3, v3, v0
.LBB4_4769:                             ;   in Loop: Header=BB4_4405 Depth=2
	s_delay_alu instid0(VALU_DEP_1) | instskip(SKIP_3) | instid1(VALU_DEP_2)
	v_and_b32_e32 v102, 0x7f800000, v3
	v_dual_mov_b32 v103, v53 :: v_dual_lshrrev_b32 v0, 24, v3
	v_and_b32_e32 v52, 0x7fffff, v3
                                        ; implicit-def: $vgpr114
	s_mov_b32 s7, exec_lo
	v_cmpx_ne_u64_e32 0x7f800000, v[102:103]
	s_xor_b32 s13, exec_lo, s7
	s_cbranch_execz .LBB4_4783
; %bb.4770:                             ;   in Loop: Header=BB4_4405 Depth=2
	v_and_b32_e32 v102, 0x7fffffff, v3
	v_mov_b32_e32 v103, v53
	v_and_b32_e32 v0, 0x80, v0
                                        ; implicit-def: $vgpr114
	s_mov_b32 s7, exec_lo
	s_delay_alu instid0(VALU_DEP_2)
	v_cmpx_gt_u64_e32 0x47600001, v[102:103]
	s_xor_b32 s14, exec_lo, s7
	s_cbranch_execz .LBB4_4780
; %bb.4771:                             ;   in Loop: Header=BB4_4405 Depth=2
	v_mov_b32_e32 v114, 0
	s_mov_b32 s41, exec_lo
	v_cmpx_ne_u32_e32 0, v3
	s_cbranch_execz .LBB4_4779
; %bb.4772:                             ;   in Loop: Header=BB4_4405 Depth=2
	v_bfe_u32 v3, v3, 23, 8
	v_or_b32_e32 v112, 0x800000, v52
	s_delay_alu instid0(VALU_DEP_2) | instskip(SKIP_1) | instid1(VALU_DEP_2)
	v_sub_nc_u32_e32 v30, 0x71, v3
	v_cmp_gt_u32_e32 vcc_lo, 0x72, v3
	v_cndmask_b32_e32 v30, 0, v30, vcc_lo
	v_cmp_eq_u32_e32 vcc_lo, 0, v3
	v_cndmask_b32_e32 v52, v112, v52, vcc_lo
	s_delay_alu instid0(VALU_DEP_3) | instskip(NEXT) | instid1(VALU_DEP_1)
	v_cndmask_b32_e64 v30, v30, 0x70, vcc_lo
	v_dual_add_nc_u32 v102, 21, v30 :: v_dual_add_nc_u32 v113, 20, v30
	s_delay_alu instid0(VALU_DEP_1) | instskip(NEXT) | instid1(VALU_DEP_2)
	v_lshlrev_b64_e64 v[102:103], v102, -1
	v_lshlrev_b64_e64 v[112:113], v113, 1
	s_delay_alu instid0(VALU_DEP_2) | instskip(NEXT) | instid1(VALU_DEP_3)
	v_bfi_b32 v115, v103, 0, 0
	v_bfi_b32 v114, v102, 0, v52
	v_lshrrev_b64 v[102:103], v30, v[52:53]
	s_delay_alu instid0(VALU_DEP_2) | instskip(NEXT) | instid1(VALU_DEP_2)
	v_cmp_eq_u64_e64 s7, v[114:115], v[112:113]
	v_mov_b64_e32 v[112:113], v[102:103]
	s_and_saveexec_b32 s42, s7
; %bb.4773:                             ;   in Loop: Header=BB4_4405 Depth=2
	v_bfe_u32 v52, v102, 21, 1
	s_delay_alu instid0(VALU_DEP_1) | instskip(NEXT) | instid1(VALU_DEP_1)
	v_add_nc_u64_e32 v[112:113], v[102:103], v[52:53]
	v_add_nc_u64_e32 v[112:113], -1, v[112:113]
; %bb.4774:                             ;   in Loop: Header=BB4_4405 Depth=2
	s_or_b32 exec_lo, exec_lo, s42
	v_add_nc_u32_e32 v3, 0xffffff81, v3
	v_lshrrev_b32_e32 v52, 23, v102
	s_mov_b32 s7, exec_lo
	s_delay_alu instid0(VALU_DEP_2) | instskip(NEXT) | instid1(VALU_DEP_1)
	v_cndmask_b32_e64 v3, v3, 0xffffff82, vcc_lo
	v_add3_u32 v30, v30, v3, v52
	v_and_b32_e32 v3, 0x1fffff, v112
	s_delay_alu instid0(VALU_DEP_2) | instskip(NEXT) | instid1(VALU_DEP_2)
	v_add_nc_u32_e32 v112, 14, v30
	v_add_nc_u32_e32 v52, v3, v102
                                        ; implicit-def: $vgpr102_vgpr103
                                        ; implicit-def: $vgpr3
	s_delay_alu instid0(VALU_DEP_2)
	v_cmpx_ne_u32_e32 0, v112
	s_xor_b32 s7, exec_lo, s7
; %bb.4775:                             ;   in Loop: Header=BB4_4405 Depth=2
	s_delay_alu instid0(VALU_DEP_2) | instskip(SKIP_2) | instid1(VALU_DEP_2)
	v_cmp_lt_u64_e32 vcc_lo, 0xffffff, v[52:53]
	v_add_nc_u32_e32 v3, 15, v30
	v_cndmask_b32_e64 v30, 0, 1, vcc_lo
	v_cndmask_b32_e32 v3, v112, v3, vcc_lo
	s_delay_alu instid0(VALU_DEP_2)
	v_lshrrev_b64 v[102:103], v30, v[52:53]
; %bb.4776:                             ;   in Loop: Header=BB4_4405 Depth=2
	s_and_not1_saveexec_b32 s7, s7
; %bb.4777:                             ;   in Loop: Header=BB4_4405 Depth=2
	v_mov_b64_e32 v[102:103], v[52:53]
	v_bfe_u32 v3, v52, 23, 1
; %bb.4778:                             ;   in Loop: Header=BB4_4405 Depth=2
	s_or_b32 exec_lo, exec_lo, s7
	s_delay_alu instid0(VALU_DEP_2) | instskip(NEXT) | instid1(VALU_DEP_2)
	v_lshrrev_b64 v[102:103], 21, v[102:103]
	v_cmp_gt_i32_e32 vcc_lo, 32, v3
	v_min_i32_e32 v30, 31, v3
	v_cmp_eq_u32_e64 s7, 0, v3
	s_delay_alu instid0(VALU_DEP_4) | instskip(NEXT) | instid1(VALU_DEP_3)
	v_cndmask_b32_e32 v102, 3, v102, vcc_lo
	v_dual_cndmask_b32 v103, 0, v103 :: v_dual_lshlrev_b32 v30, 2, v30
	s_delay_alu instid0(VALU_DEP_1) | instskip(NEXT) | instid1(VALU_DEP_2)
	v_and_b32_e32 v30, 0xfc, v30
	v_cmp_eq_u64_e32 vcc_lo, 0, v[102:103]
	s_delay_alu instid0(VALU_DEP_2)
	v_and_or_b32 v3, v102, 3, v30
	s_and_b32 s7, s7, vcc_lo
	s_delay_alu instid0(VALU_DEP_1) | instid1(SALU_CYCLE_1)
	v_cndmask_b32_e64 v3, v3, 0, s7
	s_delay_alu instid0(VALU_DEP_1)
	v_or_b32_e32 v114, v3, v0
.LBB4_4779:                             ;   in Loop: Header=BB4_4405 Depth=2
	s_or_b32 exec_lo, exec_lo, s41
                                        ; implicit-def: $vgpr0
.LBB4_4780:                             ;   in Loop: Header=BB4_4405 Depth=2
	s_and_not1_saveexec_b32 s7, s14
; %bb.4781:                             ;   in Loop: Header=BB4_4405 Depth=2
	v_or_b32_e32 v114, 0x7b, v0
; %bb.4782:                             ;   in Loop: Header=BB4_4405 Depth=2
	s_or_b32 exec_lo, exec_lo, s7
                                        ; implicit-def: $vgpr3
                                        ; implicit-def: $vgpr0
.LBB4_4783:                             ;   in Loop: Header=BB4_4405 Depth=2
	s_and_not1_saveexec_b32 s7, s13
	s_cbranch_execz .LBB4_4789
; %bb.4784:                             ;   in Loop: Header=BB4_4405 Depth=2
	s_mov_b32 s13, exec_lo
                                        ; implicit-def: $vgpr114
	v_cmpx_ne_u64_e32 0, v[52:53]
	s_xor_b32 s13, exec_lo, s13
; %bb.4785:                             ;   in Loop: Header=BB4_4405 Depth=2
	v_or_b32_e32 v114, 0x7f, v0
                                        ; implicit-def: $vgpr3
; %bb.4786:                             ;   in Loop: Header=BB4_4405 Depth=2
	s_and_not1_saveexec_b32 s13, s13
; %bb.4787:                             ;   in Loop: Header=BB4_4405 Depth=2
	v_cmp_lt_i32_e32 vcc_lo, -1, v3
	v_cndmask_b32_e32 v114, 0xfc, v110, vcc_lo
; %bb.4788:                             ;   in Loop: Header=BB4_4405 Depth=2
	s_or_b32 exec_lo, exec_lo, s13
.LBB4_4789:                             ;   in Loop: Header=BB4_4405 Depth=2
	s_delay_alu instid0(SALU_CYCLE_1) | instskip(SKIP_4) | instid1(VALU_DEP_2)
	s_or_b32 exec_lo, exec_lo, s7
	v_lshrrev_b32_e32 v52, 16, v23
	v_lshrrev_b32_e32 v30, 16, v19
	s_and_b32 vcc_lo, exec_lo, s12
	s_mov_b32 s13, -1
                                        ; implicit-def: $vgpr3
	v_and_b32_e32 v0, 0xff, v52
	s_delay_alu instid0(VALU_DEP_1)
	v_cmp_ne_u16_e64 s7, 0, v0
	s_cbranch_vccz .LBB4_4811
; %bb.4790:                             ;   in Loop: Header=BB4_4405 Depth=2
	v_dual_mov_b32 v102, 0 :: v_dual_mov_b32 v3, 0
	s_and_saveexec_b32 s13, s7
	s_cbranch_execz .LBB4_4800
; %bb.4791:                             ;   in Loop: Header=BB4_4405 Depth=2
	v_bfrev_b32_e32 v3, 1
	s_mov_b32 s14, exec_lo
	v_cmpx_ne_u16_e32 0x80, v0
	s_cbranch_execz .LBB4_4799
; %bb.4792:                             ;   in Loop: Header=BB4_4405 Depth=2
	v_and_b32_e32 v3, 0x7c0000, v23
	v_bfe_u32 v103, v23, 16, 2
	s_delay_alu instid0(VALU_DEP_2) | instskip(SKIP_1) | instid1(SALU_CYCLE_1)
	v_cmp_ne_u32_e32 vcc_lo, 0x7c0000, v3
                                        ; implicit-def: $vgpr3
	s_and_saveexec_b32 s41, vcc_lo
	s_xor_b32 s41, exec_lo, s41
	s_cbranch_execz .LBB4_4796
; %bb.4793:                             ;   in Loop: Header=BB4_4405 Depth=2
	v_bfe_u32 v3, v23, 18, 5
	s_mov_b32 s42, exec_lo
	s_delay_alu instid0(VALU_DEP_1)
	v_cmpx_eq_u32_e32 0, v3
; %bb.4794:                             ;   in Loop: Header=BB4_4405 Depth=2
	v_clz_i32_u32_e32 v3, v103
	s_delay_alu instid0(VALU_DEP_1) | instskip(NEXT) | instid1(VALU_DEP_1)
	v_min_u32_e32 v3, 32, v3
	v_subrev_nc_u32_e32 v103, 29, v3
	s_delay_alu instid0(VALU_DEP_1) | instskip(NEXT) | instid1(VALU_DEP_1)
	v_lshlrev_b64_e32 v[112:113], v103, v[52:53]
	v_dual_sub_nc_u32 v3, 30, v3 :: v_dual_bitop2_b32 v103, 3, v112 bitop3:0x40
; %bb.4795:                             ;   in Loop: Header=BB4_4405 Depth=2
	s_or_b32 exec_lo, exec_lo, s42
	v_lshlrev_b32_e32 v112, 24, v52
	s_delay_alu instid0(VALU_DEP_1) | instskip(NEXT) | instid1(VALU_DEP_1)
	v_and_b32_e32 v112, 0x80000000, v112
	v_lshl_add_u32 v3, v3, 23, v112
	s_delay_alu instid0(VALU_DEP_1) | instskip(NEXT) | instid1(VALU_DEP_1)
	v_lshl_or_b32 v3, v103, 21, v3
                                        ; implicit-def: $vgpr103
	v_add_nc_u32_e32 v3, 0x38000000, v3
.LBB4_4796:                             ;   in Loop: Header=BB4_4405 Depth=2
	s_and_not1_saveexec_b32 s41, s41
; %bb.4797:                             ;   in Loop: Header=BB4_4405 Depth=2
	v_bfe_i32 v3, v52, 0, 8
	s_delay_alu instid0(VALU_DEP_1) | instskip(SKIP_2) | instid1(VALU_DEP_2)
	v_cmp_lt_i16_e32 vcc_lo, -1, v3
	v_cndmask_b32_e32 v3, 0xff800000, v109, vcc_lo
	v_cmp_eq_u32_e32 vcc_lo, 0, v103
	v_cndmask_b32_e32 v3, 0x7f800001, v3, vcc_lo
; %bb.4798:                             ;   in Loop: Header=BB4_4405 Depth=2
	s_or_b32 exec_lo, exec_lo, s41
.LBB4_4799:                             ;   in Loop: Header=BB4_4405 Depth=2
	s_delay_alu instid0(SALU_CYCLE_1)
	s_or_b32 exec_lo, exec_lo, s14
.LBB4_4800:                             ;   in Loop: Header=BB4_4405 Depth=2
	s_delay_alu instid0(SALU_CYCLE_1) | instskip(SKIP_2) | instid1(VALU_DEP_1)
	s_or_b32 exec_lo, exec_lo, s13
	v_and_b32_e32 v103, 0xff, v30
	s_mov_b32 s13, exec_lo
	v_cmpx_ne_u16_e32 0, v103
	s_cbranch_execz .LBB4_4810
; %bb.4801:                             ;   in Loop: Header=BB4_4405 Depth=2
	v_bfrev_b32_e32 v102, 1
	s_mov_b32 s14, exec_lo
	v_cmpx_ne_u16_e32 0x80, v103
	s_cbranch_execz .LBB4_4809
; %bb.4802:                             ;   in Loop: Header=BB4_4405 Depth=2
	v_and_b32_e32 v102, 0x7c0000, v19
	v_bfe_u32 v103, v19, 16, 2
	s_delay_alu instid0(VALU_DEP_2) | instskip(SKIP_1) | instid1(SALU_CYCLE_1)
	v_cmp_ne_u32_e32 vcc_lo, 0x7c0000, v102
                                        ; implicit-def: $vgpr102
	s_and_saveexec_b32 s41, vcc_lo
	s_xor_b32 s41, exec_lo, s41
	s_cbranch_execz .LBB4_4806
; %bb.4803:                             ;   in Loop: Header=BB4_4405 Depth=2
	v_bfe_u32 v102, v19, 18, 5
	s_mov_b32 s42, exec_lo
	s_delay_alu instid0(VALU_DEP_1)
	v_cmpx_eq_u32_e32 0, v102
; %bb.4804:                             ;   in Loop: Header=BB4_4405 Depth=2
	v_clz_i32_u32_e32 v102, v103
	s_delay_alu instid0(VALU_DEP_1) | instskip(NEXT) | instid1(VALU_DEP_1)
	v_min_u32_e32 v102, 32, v102
	v_subrev_nc_u32_e32 v103, 29, v102
	s_delay_alu instid0(VALU_DEP_1) | instskip(NEXT) | instid1(VALU_DEP_1)
	v_lshlrev_b64_e32 v[112:113], v103, v[30:31]
	v_dual_sub_nc_u32 v102, 30, v102 :: v_dual_bitop2_b32 v103, 3, v112 bitop3:0x40
; %bb.4805:                             ;   in Loop: Header=BB4_4405 Depth=2
	s_or_b32 exec_lo, exec_lo, s42
	v_lshlrev_b32_e32 v112, 24, v30
	s_delay_alu instid0(VALU_DEP_1) | instskip(NEXT) | instid1(VALU_DEP_1)
	v_and_b32_e32 v112, 0x80000000, v112
	v_lshl_add_u32 v102, v102, 23, v112
	s_delay_alu instid0(VALU_DEP_1) | instskip(NEXT) | instid1(VALU_DEP_1)
	v_lshl_or_b32 v102, v103, 21, v102
                                        ; implicit-def: $vgpr103
	v_add_nc_u32_e32 v102, 0x38000000, v102
.LBB4_4806:                             ;   in Loop: Header=BB4_4405 Depth=2
	s_and_not1_saveexec_b32 s41, s41
; %bb.4807:                             ;   in Loop: Header=BB4_4405 Depth=2
	v_bfe_i32 v102, v30, 0, 8
	s_delay_alu instid0(VALU_DEP_1) | instskip(SKIP_2) | instid1(VALU_DEP_2)
	v_cmp_lt_i16_e32 vcc_lo, -1, v102
	v_cndmask_b32_e32 v102, 0xff800000, v109, vcc_lo
	v_cmp_eq_u32_e32 vcc_lo, 0, v103
	v_cndmask_b32_e32 v102, 0x7f800001, v102, vcc_lo
; %bb.4808:                             ;   in Loop: Header=BB4_4405 Depth=2
	s_or_b32 exec_lo, exec_lo, s41
.LBB4_4809:                             ;   in Loop: Header=BB4_4405 Depth=2
	s_delay_alu instid0(SALU_CYCLE_1)
	s_or_b32 exec_lo, exec_lo, s14
.LBB4_4810:                             ;   in Loop: Header=BB4_4405 Depth=2
	s_delay_alu instid0(SALU_CYCLE_1) | instskip(NEXT) | instid1(VALU_DEP_1)
	s_or_b32 exec_lo, exec_lo, s13
	v_dual_max_num_f32 v102, v102, v102 :: v_dual_max_num_f32 v3, v3, v3
	s_mov_b32 s13, 0
	s_delay_alu instid0(VALU_DEP_1)
	v_max_num_f32_e32 v3, v3, v102
.LBB4_4811:                             ;   in Loop: Header=BB4_4405 Depth=2
	s_and_b32 vcc_lo, exec_lo, s13
	s_cbranch_vccz .LBB4_4833
; %bb.4812:                             ;   in Loop: Header=BB4_4405 Depth=2
	v_dual_mov_b32 v102, 0 :: v_dual_mov_b32 v3, 0
	s_and_saveexec_b32 s13, s7
	s_cbranch_execz .LBB4_4822
; %bb.4813:                             ;   in Loop: Header=BB4_4405 Depth=2
	v_bfrev_b32_e32 v3, 1
	s_mov_b32 s7, exec_lo
	v_cmpx_ne_u16_e32 0x80, v0
	s_cbranch_execz .LBB4_4821
; %bb.4814:                             ;   in Loop: Header=BB4_4405 Depth=2
	v_and_b32_e32 v3, 0x7c0000, v23
	v_bfe_u32 v0, v23, 16, 2
	s_delay_alu instid0(VALU_DEP_2) | instskip(SKIP_1) | instid1(SALU_CYCLE_1)
	v_cmp_ne_u32_e32 vcc_lo, 0x7c0000, v3
                                        ; implicit-def: $vgpr3
	s_and_saveexec_b32 s14, vcc_lo
	s_xor_b32 s14, exec_lo, s14
	s_cbranch_execz .LBB4_4818
; %bb.4815:                             ;   in Loop: Header=BB4_4405 Depth=2
	v_bfe_u32 v3, v23, 18, 5
	s_mov_b32 s41, exec_lo
	s_delay_alu instid0(VALU_DEP_1)
	v_cmpx_eq_u32_e32 0, v3
; %bb.4816:                             ;   in Loop: Header=BB4_4405 Depth=2
	v_clz_i32_u32_e32 v0, v0
	s_delay_alu instid0(VALU_DEP_1) | instskip(NEXT) | instid1(VALU_DEP_1)
	v_min_u32_e32 v0, 32, v0
	v_subrev_nc_u32_e32 v3, 29, v0
	s_delay_alu instid0(VALU_DEP_1) | instskip(SKIP_1) | instid1(VALU_DEP_2)
	v_lshlrev_b64_e32 v[112:113], v3, v[52:53]
	v_sub_nc_u32_e32 v3, 30, v0
	v_and_b32_e32 v0, 3, v112
; %bb.4817:                             ;   in Loop: Header=BB4_4405 Depth=2
	s_or_b32 exec_lo, exec_lo, s41
	v_lshlrev_b32_e32 v52, 24, v52
	s_delay_alu instid0(VALU_DEP_1) | instskip(NEXT) | instid1(VALU_DEP_1)
	v_and_b32_e32 v52, 0x80000000, v52
	v_lshl_add_u32 v3, v3, 23, v52
                                        ; implicit-def: $vgpr52
	s_delay_alu instid0(VALU_DEP_1) | instskip(NEXT) | instid1(VALU_DEP_1)
	v_lshl_or_b32 v0, v0, 21, v3
	v_add_nc_u32_e32 v3, 0x38000000, v0
                                        ; implicit-def: $vgpr0
.LBB4_4818:                             ;   in Loop: Header=BB4_4405 Depth=2
	s_and_not1_saveexec_b32 s14, s14
; %bb.4819:                             ;   in Loop: Header=BB4_4405 Depth=2
	v_bfe_i32 v3, v52, 0, 8
	s_delay_alu instid0(VALU_DEP_1) | instskip(SKIP_2) | instid1(VALU_DEP_2)
	v_cmp_lt_i16_e32 vcc_lo, -1, v3
	v_cndmask_b32_e32 v3, 0xff800000, v109, vcc_lo
	v_cmp_eq_u32_e32 vcc_lo, 0, v0
	v_cndmask_b32_e32 v3, 0x7f800001, v3, vcc_lo
; %bb.4820:                             ;   in Loop: Header=BB4_4405 Depth=2
	s_or_b32 exec_lo, exec_lo, s14
.LBB4_4821:                             ;   in Loop: Header=BB4_4405 Depth=2
	s_delay_alu instid0(SALU_CYCLE_1)
	s_or_b32 exec_lo, exec_lo, s7
.LBB4_4822:                             ;   in Loop: Header=BB4_4405 Depth=2
	s_delay_alu instid0(SALU_CYCLE_1) | instskip(SKIP_2) | instid1(VALU_DEP_1)
	s_or_b32 exec_lo, exec_lo, s13
	v_and_b32_e32 v0, 0xff, v30
	s_mov_b32 s7, exec_lo
	v_cmpx_ne_u16_e32 0, v0
	s_cbranch_execz .LBB4_4832
; %bb.4823:                             ;   in Loop: Header=BB4_4405 Depth=2
	v_bfrev_b32_e32 v102, 1
	s_mov_b32 s13, exec_lo
	v_cmpx_ne_u16_e32 0x80, v0
	s_cbranch_execz .LBB4_4831
; %bb.4824:                             ;   in Loop: Header=BB4_4405 Depth=2
	v_and_b32_e32 v52, 0x7c0000, v19
	v_bfe_u32 v0, v19, 16, 2
	s_mov_b32 s14, exec_lo
                                        ; implicit-def: $vgpr102
	s_delay_alu instid0(VALU_DEP_2)
	v_cmpx_ne_u32_e32 0x7c0000, v52
	s_xor_b32 s14, exec_lo, s14
	s_cbranch_execz .LBB4_4828
; %bb.4825:                             ;   in Loop: Header=BB4_4405 Depth=2
	v_bfe_u32 v52, v19, 18, 5
	s_mov_b32 s41, exec_lo
	s_delay_alu instid0(VALU_DEP_1)
	v_cmpx_eq_u32_e32 0, v52
; %bb.4826:                             ;   in Loop: Header=BB4_4405 Depth=2
	v_clz_i32_u32_e32 v0, v0
	s_delay_alu instid0(VALU_DEP_1) | instskip(NEXT) | instid1(VALU_DEP_1)
	v_min_u32_e32 v0, 32, v0
	v_subrev_nc_u32_e32 v52, 29, v0
	s_delay_alu instid0(VALU_DEP_1) | instskip(NEXT) | instid1(VALU_DEP_1)
	v_lshlrev_b64_e32 v[102:103], v52, v[30:31]
	v_dual_sub_nc_u32 v52, 30, v0 :: v_dual_bitop2_b32 v0, 3, v102 bitop3:0x40
; %bb.4827:                             ;   in Loop: Header=BB4_4405 Depth=2
	s_or_b32 exec_lo, exec_lo, s41
	v_lshlrev_b32_e32 v30, 24, v30
	s_delay_alu instid0(VALU_DEP_1) | instskip(NEXT) | instid1(VALU_DEP_1)
	v_and_b32_e32 v30, 0x80000000, v30
	v_lshl_add_u32 v30, v52, 23, v30
	s_delay_alu instid0(VALU_DEP_1) | instskip(NEXT) | instid1(VALU_DEP_1)
	v_lshl_or_b32 v0, v0, 21, v30
                                        ; implicit-def: $vgpr30
	v_add_nc_u32_e32 v102, 0x38000000, v0
                                        ; implicit-def: $vgpr0
.LBB4_4828:                             ;   in Loop: Header=BB4_4405 Depth=2
	s_and_not1_saveexec_b32 s14, s14
; %bb.4829:                             ;   in Loop: Header=BB4_4405 Depth=2
	v_bfe_i32 v30, v30, 0, 8
	s_delay_alu instid0(VALU_DEP_1) | instskip(SKIP_2) | instid1(VALU_DEP_2)
	v_cmp_lt_i16_e32 vcc_lo, -1, v30
	v_cndmask_b32_e32 v30, 0xff800000, v109, vcc_lo
	v_cmp_eq_u32_e32 vcc_lo, 0, v0
	v_cndmask_b32_e32 v102, 0x7f800001, v30, vcc_lo
; %bb.4830:                             ;   in Loop: Header=BB4_4405 Depth=2
	s_or_b32 exec_lo, exec_lo, s14
.LBB4_4831:                             ;   in Loop: Header=BB4_4405 Depth=2
	s_delay_alu instid0(SALU_CYCLE_1)
	s_or_b32 exec_lo, exec_lo, s13
.LBB4_4832:                             ;   in Loop: Header=BB4_4405 Depth=2
	s_delay_alu instid0(SALU_CYCLE_1) | instskip(NEXT) | instid1(VALU_DEP_1)
	s_or_b32 exec_lo, exec_lo, s7
	v_dual_max_num_f32 v0, v102, v102 :: v_dual_max_num_f32 v3, v3, v3
	s_delay_alu instid0(VALU_DEP_1)
	v_min_num_f32_e32 v3, v3, v0
.LBB4_4833:                             ;   in Loop: Header=BB4_4405 Depth=2
	s_delay_alu instid0(VALU_DEP_1) | instskip(SKIP_3) | instid1(VALU_DEP_2)
	v_and_b32_e32 v102, 0x7f800000, v3
	v_dual_mov_b32 v103, v53 :: v_dual_lshrrev_b32 v0, 24, v3
	v_and_b32_e32 v52, 0x7fffff, v3
                                        ; implicit-def: $vgpr112
	s_mov_b32 s7, exec_lo
	v_cmpx_ne_u64_e32 0x7f800000, v[102:103]
	s_xor_b32 s13, exec_lo, s7
	s_cbranch_execz .LBB4_4847
; %bb.4834:                             ;   in Loop: Header=BB4_4405 Depth=2
	v_and_b32_e32 v102, 0x7fffffff, v3
	v_mov_b32_e32 v103, v53
	v_and_b32_e32 v0, 0x80, v0
                                        ; implicit-def: $vgpr112
	s_mov_b32 s7, exec_lo
	s_delay_alu instid0(VALU_DEP_2)
	v_cmpx_gt_u64_e32 0x47600001, v[102:103]
	s_xor_b32 s14, exec_lo, s7
	s_cbranch_execz .LBB4_4844
; %bb.4835:                             ;   in Loop: Header=BB4_4405 Depth=2
	v_mov_b32_e32 v112, 0
	s_mov_b32 s41, exec_lo
	v_cmpx_ne_u32_e32 0, v3
	s_cbranch_execz .LBB4_4843
; %bb.4836:                             ;   in Loop: Header=BB4_4405 Depth=2
	v_bfe_u32 v3, v3, 23, 8
	v_or_b32_e32 v112, 0x800000, v52
	s_delay_alu instid0(VALU_DEP_2) | instskip(SKIP_1) | instid1(VALU_DEP_2)
	v_sub_nc_u32_e32 v30, 0x71, v3
	v_cmp_gt_u32_e32 vcc_lo, 0x72, v3
	v_cndmask_b32_e32 v30, 0, v30, vcc_lo
	v_cmp_eq_u32_e32 vcc_lo, 0, v3
	v_cndmask_b32_e32 v52, v112, v52, vcc_lo
	s_delay_alu instid0(VALU_DEP_3) | instskip(NEXT) | instid1(VALU_DEP_1)
	v_cndmask_b32_e64 v30, v30, 0x70, vcc_lo
	v_dual_add_nc_u32 v102, 21, v30 :: v_dual_add_nc_u32 v113, 20, v30
	s_delay_alu instid0(VALU_DEP_1) | instskip(NEXT) | instid1(VALU_DEP_2)
	v_lshlrev_b64_e64 v[102:103], v102, -1
	v_lshlrev_b64_e64 v[112:113], v113, 1
	s_delay_alu instid0(VALU_DEP_2) | instskip(NEXT) | instid1(VALU_DEP_3)
	v_bfi_b32 v43, v103, 0, 0
	v_bfi_b32 v42, v102, 0, v52
	v_lshrrev_b64 v[102:103], v30, v[52:53]
	s_delay_alu instid0(VALU_DEP_2) | instskip(NEXT) | instid1(VALU_DEP_2)
	v_cmp_eq_u64_e64 s7, v[42:43], v[112:113]
	v_mov_b64_e32 v[112:113], v[102:103]
	s_and_saveexec_b32 s42, s7
; %bb.4837:                             ;   in Loop: Header=BB4_4405 Depth=2
	v_bfe_u32 v52, v102, 21, 1
	s_delay_alu instid0(VALU_DEP_1) | instskip(NEXT) | instid1(VALU_DEP_1)
	v_add_nc_u64_e32 v[112:113], v[102:103], v[52:53]
	v_add_nc_u64_e32 v[112:113], -1, v[112:113]
; %bb.4838:                             ;   in Loop: Header=BB4_4405 Depth=2
	s_or_b32 exec_lo, exec_lo, s42
	v_add_nc_u32_e32 v3, 0xffffff81, v3
	v_lshrrev_b32_e32 v52, 23, v102
	s_mov_b32 s7, exec_lo
	s_delay_alu instid0(VALU_DEP_2) | instskip(NEXT) | instid1(VALU_DEP_1)
	v_cndmask_b32_e64 v3, v3, 0xffffff82, vcc_lo
	v_add3_u32 v30, v30, v3, v52
	v_and_b32_e32 v3, 0x1fffff, v112
	s_delay_alu instid0(VALU_DEP_2) | instskip(NEXT) | instid1(VALU_DEP_2)
	v_add_nc_u32_e32 v112, 14, v30
	v_add_nc_u32_e32 v52, v3, v102
                                        ; implicit-def: $vgpr102_vgpr103
                                        ; implicit-def: $vgpr3
	s_delay_alu instid0(VALU_DEP_2)
	v_cmpx_ne_u32_e32 0, v112
	s_xor_b32 s7, exec_lo, s7
; %bb.4839:                             ;   in Loop: Header=BB4_4405 Depth=2
	s_delay_alu instid0(VALU_DEP_2) | instskip(SKIP_2) | instid1(VALU_DEP_2)
	v_cmp_lt_u64_e32 vcc_lo, 0xffffff, v[52:53]
	v_add_nc_u32_e32 v3, 15, v30
	v_cndmask_b32_e64 v30, 0, 1, vcc_lo
	v_cndmask_b32_e32 v3, v112, v3, vcc_lo
	s_delay_alu instid0(VALU_DEP_2)
	v_lshrrev_b64 v[102:103], v30, v[52:53]
; %bb.4840:                             ;   in Loop: Header=BB4_4405 Depth=2
	s_and_not1_saveexec_b32 s7, s7
; %bb.4841:                             ;   in Loop: Header=BB4_4405 Depth=2
	v_mov_b64_e32 v[102:103], v[52:53]
	v_bfe_u32 v3, v52, 23, 1
; %bb.4842:                             ;   in Loop: Header=BB4_4405 Depth=2
	s_or_b32 exec_lo, exec_lo, s7
	s_delay_alu instid0(VALU_DEP_2) | instskip(NEXT) | instid1(VALU_DEP_2)
	v_lshrrev_b64 v[102:103], 21, v[102:103]
	v_cmp_gt_i32_e32 vcc_lo, 32, v3
	v_min_i32_e32 v30, 31, v3
	v_cmp_eq_u32_e64 s7, 0, v3
	s_delay_alu instid0(VALU_DEP_4) | instskip(NEXT) | instid1(VALU_DEP_3)
	v_cndmask_b32_e32 v102, 3, v102, vcc_lo
	v_dual_cndmask_b32 v103, 0, v103 :: v_dual_lshlrev_b32 v30, 2, v30
	s_delay_alu instid0(VALU_DEP_1) | instskip(NEXT) | instid1(VALU_DEP_2)
	v_and_b32_e32 v30, 0xfc, v30
	v_cmp_eq_u64_e32 vcc_lo, 0, v[102:103]
	s_delay_alu instid0(VALU_DEP_2)
	v_and_or_b32 v3, v102, 3, v30
	s_and_b32 s7, s7, vcc_lo
	s_delay_alu instid0(VALU_DEP_1) | instid1(SALU_CYCLE_1)
	v_cndmask_b32_e64 v3, v3, 0, s7
	s_delay_alu instid0(VALU_DEP_1)
	v_or_b32_e32 v112, v3, v0
.LBB4_4843:                             ;   in Loop: Header=BB4_4405 Depth=2
	s_or_b32 exec_lo, exec_lo, s41
                                        ; implicit-def: $vgpr0
.LBB4_4844:                             ;   in Loop: Header=BB4_4405 Depth=2
	s_and_not1_saveexec_b32 s7, s14
; %bb.4845:                             ;   in Loop: Header=BB4_4405 Depth=2
	v_or_b32_e32 v112, 0x7b, v0
; %bb.4846:                             ;   in Loop: Header=BB4_4405 Depth=2
	s_or_b32 exec_lo, exec_lo, s7
                                        ; implicit-def: $vgpr3
                                        ; implicit-def: $vgpr0
.LBB4_4847:                             ;   in Loop: Header=BB4_4405 Depth=2
	s_and_not1_saveexec_b32 s7, s13
	s_cbranch_execz .LBB4_4853
; %bb.4848:                             ;   in Loop: Header=BB4_4405 Depth=2
	s_mov_b32 s13, exec_lo
                                        ; implicit-def: $vgpr112
	v_cmpx_ne_u64_e32 0, v[52:53]
	s_xor_b32 s13, exec_lo, s13
; %bb.4849:                             ;   in Loop: Header=BB4_4405 Depth=2
	v_or_b32_e32 v112, 0x7f, v0
                                        ; implicit-def: $vgpr3
; %bb.4850:                             ;   in Loop: Header=BB4_4405 Depth=2
	s_and_not1_saveexec_b32 s13, s13
; %bb.4851:                             ;   in Loop: Header=BB4_4405 Depth=2
	v_cmp_lt_i32_e32 vcc_lo, -1, v3
	v_cndmask_b32_e32 v112, 0xfc, v110, vcc_lo
; %bb.4852:                             ;   in Loop: Header=BB4_4405 Depth=2
	s_or_b32 exec_lo, exec_lo, s13
.LBB4_4853:                             ;   in Loop: Header=BB4_4405 Depth=2
	s_delay_alu instid0(SALU_CYCLE_1)
	s_or_b32 exec_lo, exec_lo, s7
	v_cmp_lt_u64_e64 s7, s[16:17], v[22:23]
	v_lshrrev_b32_e32 v52, 24, v23
	v_lshrrev_b32_e32 v30, 24, v19
	s_and_b32 vcc_lo, exec_lo, s12
	s_mov_b32 s13, -1
                                        ; implicit-def: $vgpr3
	s_cbranch_vccz .LBB4_4875
; %bb.4854:                             ;   in Loop: Header=BB4_4405 Depth=2
	v_dual_mov_b32 v3, 0 :: v_dual_mov_b32 v0, 0
	s_and_saveexec_b32 s13, s7
	s_cbranch_execz .LBB4_4864
; %bb.4855:                             ;   in Loop: Header=BB4_4405 Depth=2
	v_bfrev_b32_e32 v0, 1
	s_mov_b32 s14, exec_lo
	v_cmpx_ne_u32_e32 0x80, v52
	s_cbranch_execz .LBB4_4863
; %bb.4856:                             ;   in Loop: Header=BB4_4405 Depth=2
	v_and_b32_e32 v0, 0x7c000000, v23
	v_bfe_u32 v102, v23, 24, 2
	s_delay_alu instid0(VALU_DEP_2) | instskip(SKIP_1) | instid1(SALU_CYCLE_1)
	v_cmp_ne_u32_e32 vcc_lo, 0x7c000000, v0
                                        ; implicit-def: $vgpr0
	s_and_saveexec_b32 s41, vcc_lo
	s_xor_b32 s41, exec_lo, s41
	s_cbranch_execz .LBB4_4860
; %bb.4857:                             ;   in Loop: Header=BB4_4405 Depth=2
	v_bfe_u32 v0, v23, 26, 5
	s_mov_b32 s42, exec_lo
	s_delay_alu instid0(VALU_DEP_1)
	v_cmpx_eq_u32_e32 0, v0
; %bb.4858:                             ;   in Loop: Header=BB4_4405 Depth=2
	v_clz_i32_u32_e32 v0, v102
	s_delay_alu instid0(VALU_DEP_1) | instskip(NEXT) | instid1(VALU_DEP_1)
	v_min_u32_e32 v0, 32, v0
	v_subrev_nc_u32_e32 v102, 29, v0
	s_delay_alu instid0(VALU_DEP_1) | instskip(NEXT) | instid1(VALU_DEP_1)
	v_lshlrev_b64_e32 v[102:103], v102, v[52:53]
	v_dual_sub_nc_u32 v0, 30, v0 :: v_dual_bitop2_b32 v102, 3, v102 bitop3:0x40
; %bb.4859:                             ;   in Loop: Header=BB4_4405 Depth=2
	s_or_b32 exec_lo, exec_lo, s42
	v_and_b32_e32 v103, 0x80000000, v23
	s_delay_alu instid0(VALU_DEP_1) | instskip(NEXT) | instid1(VALU_DEP_1)
	v_lshl_add_u32 v0, v0, 23, v103
	v_lshl_or_b32 v0, v102, 21, v0
                                        ; implicit-def: $vgpr102
	s_delay_alu instid0(VALU_DEP_1)
	v_add_nc_u32_e32 v0, 0x38000000, v0
.LBB4_4860:                             ;   in Loop: Header=BB4_4405 Depth=2
	s_and_not1_saveexec_b32 s41, s41
; %bb.4861:                             ;   in Loop: Header=BB4_4405 Depth=2
	v_cmp_lt_i64_e32 vcc_lo, -1, v[22:23]
	v_cndmask_b32_e32 v0, 0xff800000, v109, vcc_lo
	v_cmp_eq_u32_e32 vcc_lo, 0, v102
	s_delay_alu instid0(VALU_DEP_2)
	v_cndmask_b32_e32 v0, 0x7f800001, v0, vcc_lo
; %bb.4862:                             ;   in Loop: Header=BB4_4405 Depth=2
	s_or_b32 exec_lo, exec_lo, s41
.LBB4_4863:                             ;   in Loop: Header=BB4_4405 Depth=2
	s_delay_alu instid0(SALU_CYCLE_1)
	s_or_b32 exec_lo, exec_lo, s14
.LBB4_4864:                             ;   in Loop: Header=BB4_4405 Depth=2
	s_delay_alu instid0(SALU_CYCLE_1) | instskip(NEXT) | instid1(SALU_CYCLE_1)
	s_or_b32 exec_lo, exec_lo, s13
	s_mov_b32 s13, exec_lo
	v_cmpx_lt_u64_e64 s[16:17], v[18:19]
	s_cbranch_execz .LBB4_4874
; %bb.4865:                             ;   in Loop: Header=BB4_4405 Depth=2
	v_bfrev_b32_e32 v3, 1
	s_mov_b32 s14, exec_lo
	v_cmpx_ne_u32_e32 0x80, v30
	s_cbranch_execz .LBB4_4873
; %bb.4866:                             ;   in Loop: Header=BB4_4405 Depth=2
	v_and_b32_e32 v3, 0x7c000000, v19
	v_bfe_u32 v102, v19, 24, 2
	s_delay_alu instid0(VALU_DEP_2) | instskip(SKIP_1) | instid1(SALU_CYCLE_1)
	v_cmp_ne_u32_e32 vcc_lo, 0x7c000000, v3
                                        ; implicit-def: $vgpr3
	s_and_saveexec_b32 s41, vcc_lo
	s_xor_b32 s41, exec_lo, s41
	s_cbranch_execz .LBB4_4870
; %bb.4867:                             ;   in Loop: Header=BB4_4405 Depth=2
	v_bfe_u32 v3, v19, 26, 5
	s_mov_b32 s42, exec_lo
	s_delay_alu instid0(VALU_DEP_1)
	v_cmpx_eq_u32_e32 0, v3
; %bb.4868:                             ;   in Loop: Header=BB4_4405 Depth=2
	v_clz_i32_u32_e32 v3, v102
	s_delay_alu instid0(VALU_DEP_1) | instskip(NEXT) | instid1(VALU_DEP_1)
	v_min_u32_e32 v3, 32, v3
	v_subrev_nc_u32_e32 v102, 29, v3
	s_delay_alu instid0(VALU_DEP_1) | instskip(NEXT) | instid1(VALU_DEP_1)
	v_lshlrev_b64_e32 v[102:103], v102, v[30:31]
	v_dual_sub_nc_u32 v3, 30, v3 :: v_dual_bitop2_b32 v102, 3, v102 bitop3:0x40
; %bb.4869:                             ;   in Loop: Header=BB4_4405 Depth=2
	s_or_b32 exec_lo, exec_lo, s42
	v_and_b32_e32 v103, 0x80000000, v19
	s_delay_alu instid0(VALU_DEP_1) | instskip(NEXT) | instid1(VALU_DEP_1)
	v_lshl_add_u32 v3, v3, 23, v103
	v_lshl_or_b32 v3, v102, 21, v3
                                        ; implicit-def: $vgpr102
	s_delay_alu instid0(VALU_DEP_1)
	v_add_nc_u32_e32 v3, 0x38000000, v3
.LBB4_4870:                             ;   in Loop: Header=BB4_4405 Depth=2
	s_and_not1_saveexec_b32 s41, s41
; %bb.4871:                             ;   in Loop: Header=BB4_4405 Depth=2
	v_cmp_lt_i64_e32 vcc_lo, -1, v[18:19]
	v_cndmask_b32_e32 v3, 0xff800000, v109, vcc_lo
	v_cmp_eq_u32_e32 vcc_lo, 0, v102
	s_delay_alu instid0(VALU_DEP_2)
	v_cndmask_b32_e32 v3, 0x7f800001, v3, vcc_lo
; %bb.4872:                             ;   in Loop: Header=BB4_4405 Depth=2
	s_or_b32 exec_lo, exec_lo, s41
.LBB4_4873:                             ;   in Loop: Header=BB4_4405 Depth=2
	s_delay_alu instid0(SALU_CYCLE_1)
	s_or_b32 exec_lo, exec_lo, s14
.LBB4_4874:                             ;   in Loop: Header=BB4_4405 Depth=2
	s_delay_alu instid0(SALU_CYCLE_1) | instskip(NEXT) | instid1(VALU_DEP_1)
	s_or_b32 exec_lo, exec_lo, s13
	v_dual_max_num_f32 v3, v3, v3 :: v_dual_max_num_f32 v0, v0, v0
	s_mov_b32 s13, 0
	s_delay_alu instid0(VALU_DEP_1)
	v_max_num_f32_e32 v3, v0, v3
.LBB4_4875:                             ;   in Loop: Header=BB4_4405 Depth=2
	s_and_b32 vcc_lo, exec_lo, s13
	s_cbranch_vccz .LBB4_4897
; %bb.4876:                             ;   in Loop: Header=BB4_4405 Depth=2
	v_dual_mov_b32 v3, 0 :: v_dual_mov_b32 v0, 0
	s_and_saveexec_b32 s13, s7
	s_cbranch_execz .LBB4_4886
; %bb.4877:                             ;   in Loop: Header=BB4_4405 Depth=2
	v_bfrev_b32_e32 v0, 1
	s_mov_b32 s7, exec_lo
	v_cmpx_ne_u32_e32 0x80, v52
	s_cbranch_execz .LBB4_4885
; %bb.4878:                             ;   in Loop: Header=BB4_4405 Depth=2
	v_and_b32_e32 v0, 0x7c000000, v23
	v_bfe_u32 v102, v23, 24, 2
	s_delay_alu instid0(VALU_DEP_2) | instskip(SKIP_1) | instid1(SALU_CYCLE_1)
	v_cmp_ne_u32_e32 vcc_lo, 0x7c000000, v0
                                        ; implicit-def: $vgpr0
	s_and_saveexec_b32 s14, vcc_lo
	s_xor_b32 s14, exec_lo, s14
	s_cbranch_execz .LBB4_4882
; %bb.4879:                             ;   in Loop: Header=BB4_4405 Depth=2
	v_bfe_u32 v0, v23, 26, 5
	s_mov_b32 s41, exec_lo
	s_delay_alu instid0(VALU_DEP_1)
	v_cmpx_eq_u32_e32 0, v0
; %bb.4880:                             ;   in Loop: Header=BB4_4405 Depth=2
	v_clz_i32_u32_e32 v0, v102
	s_delay_alu instid0(VALU_DEP_1) | instskip(NEXT) | instid1(VALU_DEP_1)
	v_min_u32_e32 v0, 32, v0
	v_subrev_nc_u32_e32 v102, 29, v0
	s_delay_alu instid0(VALU_DEP_1) | instskip(NEXT) | instid1(VALU_DEP_1)
	v_lshlrev_b64_e32 v[102:103], v102, v[52:53]
	v_dual_sub_nc_u32 v0, 30, v0 :: v_dual_bitop2_b32 v102, 3, v102 bitop3:0x40
; %bb.4881:                             ;   in Loop: Header=BB4_4405 Depth=2
	s_or_b32 exec_lo, exec_lo, s41
	v_and_b32_e32 v52, 0x80000000, v23
	s_delay_alu instid0(VALU_DEP_1) | instskip(NEXT) | instid1(VALU_DEP_1)
	v_lshl_add_u32 v0, v0, 23, v52
	v_lshl_or_b32 v0, v102, 21, v0
                                        ; implicit-def: $vgpr102
	s_delay_alu instid0(VALU_DEP_1)
	v_add_nc_u32_e32 v0, 0x38000000, v0
.LBB4_4882:                             ;   in Loop: Header=BB4_4405 Depth=2
	s_and_not1_saveexec_b32 s14, s14
; %bb.4883:                             ;   in Loop: Header=BB4_4405 Depth=2
	v_cmp_lt_i64_e32 vcc_lo, -1, v[22:23]
	v_cndmask_b32_e32 v0, 0xff800000, v109, vcc_lo
	v_cmp_eq_u32_e32 vcc_lo, 0, v102
	s_delay_alu instid0(VALU_DEP_2)
	v_cndmask_b32_e32 v0, 0x7f800001, v0, vcc_lo
; %bb.4884:                             ;   in Loop: Header=BB4_4405 Depth=2
	s_or_b32 exec_lo, exec_lo, s14
.LBB4_4885:                             ;   in Loop: Header=BB4_4405 Depth=2
	s_delay_alu instid0(SALU_CYCLE_1)
	s_or_b32 exec_lo, exec_lo, s7
.LBB4_4886:                             ;   in Loop: Header=BB4_4405 Depth=2
	s_delay_alu instid0(SALU_CYCLE_1) | instskip(NEXT) | instid1(SALU_CYCLE_1)
	s_or_b32 exec_lo, exec_lo, s13
	s_mov_b32 s7, exec_lo
	v_cmpx_lt_u64_e64 s[16:17], v[18:19]
	s_cbranch_execz .LBB4_4896
; %bb.4887:                             ;   in Loop: Header=BB4_4405 Depth=2
	v_bfrev_b32_e32 v3, 1
	s_mov_b32 s13, exec_lo
	v_cmpx_ne_u32_e32 0x80, v30
	s_cbranch_execz .LBB4_4895
; %bb.4888:                             ;   in Loop: Header=BB4_4405 Depth=2
	v_and_b32_e32 v3, 0x7c000000, v19
	v_bfe_u32 v22, v19, 24, 2
	s_delay_alu instid0(VALU_DEP_2) | instskip(SKIP_1) | instid1(SALU_CYCLE_1)
	v_cmp_ne_u32_e32 vcc_lo, 0x7c000000, v3
                                        ; implicit-def: $vgpr3
	s_and_saveexec_b32 s14, vcc_lo
	s_xor_b32 s14, exec_lo, s14
	s_cbranch_execz .LBB4_4892
; %bb.4889:                             ;   in Loop: Header=BB4_4405 Depth=2
	v_bfe_u32 v3, v19, 26, 5
	s_mov_b32 s41, exec_lo
	s_delay_alu instid0(VALU_DEP_1)
	v_cmpx_eq_u32_e32 0, v3
; %bb.4890:                             ;   in Loop: Header=BB4_4405 Depth=2
	v_clz_i32_u32_e32 v3, v22
	s_delay_alu instid0(VALU_DEP_1) | instskip(NEXT) | instid1(VALU_DEP_1)
	v_min_u32_e32 v3, 32, v3
	v_subrev_nc_u32_e32 v22, 29, v3
	s_delay_alu instid0(VALU_DEP_1) | instskip(NEXT) | instid1(VALU_DEP_1)
	v_lshlrev_b64_e32 v[22:23], v22, v[30:31]
	v_dual_sub_nc_u32 v3, 30, v3 :: v_dual_bitop2_b32 v22, 3, v22 bitop3:0x40
; %bb.4891:                             ;   in Loop: Header=BB4_4405 Depth=2
	s_or_b32 exec_lo, exec_lo, s41
	v_and_b32_e32 v23, 0x80000000, v19
	s_delay_alu instid0(VALU_DEP_1) | instskip(NEXT) | instid1(VALU_DEP_1)
	v_lshl_add_u32 v3, v3, 23, v23
	v_lshl_or_b32 v3, v22, 21, v3
                                        ; implicit-def: $vgpr22
	s_delay_alu instid0(VALU_DEP_1)
	v_add_nc_u32_e32 v3, 0x38000000, v3
.LBB4_4892:                             ;   in Loop: Header=BB4_4405 Depth=2
	s_and_not1_saveexec_b32 s14, s14
; %bb.4893:                             ;   in Loop: Header=BB4_4405 Depth=2
	v_cmp_lt_i64_e32 vcc_lo, -1, v[18:19]
	v_cndmask_b32_e32 v3, 0xff800000, v109, vcc_lo
	v_cmp_eq_u32_e32 vcc_lo, 0, v22
	s_delay_alu instid0(VALU_DEP_2)
	v_cndmask_b32_e32 v3, 0x7f800001, v3, vcc_lo
; %bb.4894:                             ;   in Loop: Header=BB4_4405 Depth=2
	s_or_b32 exec_lo, exec_lo, s14
.LBB4_4895:                             ;   in Loop: Header=BB4_4405 Depth=2
	s_delay_alu instid0(SALU_CYCLE_1)
	s_or_b32 exec_lo, exec_lo, s13
.LBB4_4896:                             ;   in Loop: Header=BB4_4405 Depth=2
	s_delay_alu instid0(SALU_CYCLE_1) | instskip(NEXT) | instid1(VALU_DEP_1)
	s_or_b32 exec_lo, exec_lo, s7
	v_dual_max_num_f32 v3, v3, v3 :: v_dual_max_num_f32 v0, v0, v0
	s_delay_alu instid0(VALU_DEP_1)
	v_min_num_f32_e32 v3, v0, v3
.LBB4_4897:                             ;   in Loop: Header=BB4_4405 Depth=2
	s_delay_alu instid0(VALU_DEP_1) | instskip(SKIP_3) | instid1(VALU_DEP_2)
	v_and_b32_e32 v18, 0x7f800000, v3
	v_dual_mov_b32 v19, v53 :: v_dual_lshrrev_b32 v0, 24, v3
	v_and_b32_e32 v52, 0x7fffff, v3
                                        ; implicit-def: $vgpr30
	s_mov_b32 s7, exec_lo
	v_cmpx_ne_u64_e32 0x7f800000, v[18:19]
	s_xor_b32 s13, exec_lo, s7
	s_cbranch_execz .LBB4_4911
; %bb.4898:                             ;   in Loop: Header=BB4_4405 Depth=2
	v_and_b32_e32 v18, 0x7fffffff, v3
	v_mov_b32_e32 v19, v53
	v_and_b32_e32 v0, 0x80, v0
                                        ; implicit-def: $vgpr30
	s_mov_b32 s7, exec_lo
	s_delay_alu instid0(VALU_DEP_2)
	v_cmpx_gt_u64_e32 0x47600001, v[18:19]
	s_xor_b32 s14, exec_lo, s7
	s_cbranch_execz .LBB4_4908
; %bb.4899:                             ;   in Loop: Header=BB4_4405 Depth=2
	v_mov_b32_e32 v30, 0
	s_mov_b32 s41, exec_lo
	v_cmpx_ne_u32_e32 0, v3
	s_cbranch_execz .LBB4_4907
; %bb.4900:                             ;   in Loop: Header=BB4_4405 Depth=2
	v_bfe_u32 v3, v3, 23, 8
	v_or_b32_e32 v22, 0x800000, v52
	s_delay_alu instid0(VALU_DEP_2) | instskip(SKIP_1) | instid1(VALU_DEP_2)
	v_sub_nc_u32_e32 v18, 0x71, v3
	v_cmp_gt_u32_e32 vcc_lo, 0x72, v3
	v_cndmask_b32_e32 v18, 0, v18, vcc_lo
	v_cmp_eq_u32_e32 vcc_lo, 0, v3
	v_cndmask_b32_e32 v52, v22, v52, vcc_lo
	s_delay_alu instid0(VALU_DEP_3) | instskip(NEXT) | instid1(VALU_DEP_1)
	v_cndmask_b32_e64 v30, v18, 0x70, vcc_lo
	v_dual_add_nc_u32 v18, 21, v30 :: v_dual_add_nc_u32 v23, 20, v30
	s_delay_alu instid0(VALU_DEP_1) | instskip(NEXT) | instid1(VALU_DEP_2)
	v_lshlrev_b64_e64 v[18:19], v18, -1
	v_lshlrev_b64_e64 v[22:23], v23, 1
	s_delay_alu instid0(VALU_DEP_2) | instskip(NEXT) | instid1(VALU_DEP_3)
	v_bfi_b32 v103, v19, 0, 0
	v_bfi_b32 v102, v18, 0, v52
	v_lshrrev_b64 v[18:19], v30, v[52:53]
	s_delay_alu instid0(VALU_DEP_2) | instskip(NEXT) | instid1(VALU_DEP_2)
	v_cmp_eq_u64_e64 s7, v[102:103], v[22:23]
	v_mov_b64_e32 v[22:23], v[18:19]
	s_and_saveexec_b32 s42, s7
; %bb.4901:                             ;   in Loop: Header=BB4_4405 Depth=2
	v_bfe_u32 v52, v18, 21, 1
	s_delay_alu instid0(VALU_DEP_1) | instskip(NEXT) | instid1(VALU_DEP_1)
	v_add_nc_u64_e32 v[22:23], v[18:19], v[52:53]
	v_add_nc_u64_e32 v[22:23], -1, v[22:23]
; %bb.4902:                             ;   in Loop: Header=BB4_4405 Depth=2
	s_or_b32 exec_lo, exec_lo, s42
	v_add_nc_u32_e32 v3, 0xffffff81, v3
	v_lshrrev_b32_e32 v19, 23, v18
	s_mov_b32 s7, exec_lo
	s_delay_alu instid0(VALU_DEP_2) | instskip(NEXT) | instid1(VALU_DEP_1)
	v_cndmask_b32_e64 v3, v3, 0xffffff82, vcc_lo
	v_add3_u32 v23, v30, v3, v19
	v_and_b32_e32 v3, 0x1fffff, v22
	s_delay_alu instid0(VALU_DEP_1) | instskip(NEXT) | instid1(VALU_DEP_1)
	v_dual_add_nc_u32 v22, 14, v23 :: v_dual_add_nc_u32 v52, v3, v18
                                        ; implicit-def: $vgpr18_vgpr19
                                        ; implicit-def: $vgpr3
	v_cmpx_ne_u32_e32 0, v22
	s_xor_b32 s7, exec_lo, s7
; %bb.4903:                             ;   in Loop: Header=BB4_4405 Depth=2
	s_delay_alu instid0(VALU_DEP_2) | instskip(SKIP_2) | instid1(VALU_DEP_2)
	v_cmp_lt_u64_e32 vcc_lo, 0xffffff, v[52:53]
	v_add_nc_u32_e32 v3, 15, v23
	v_cndmask_b32_e64 v18, 0, 1, vcc_lo
	v_cndmask_b32_e32 v3, v22, v3, vcc_lo
	s_delay_alu instid0(VALU_DEP_2)
	v_lshrrev_b64 v[18:19], v18, v[52:53]
; %bb.4904:                             ;   in Loop: Header=BB4_4405 Depth=2
	s_and_not1_saveexec_b32 s7, s7
; %bb.4905:                             ;   in Loop: Header=BB4_4405 Depth=2
	v_mov_b64_e32 v[18:19], v[52:53]
	v_bfe_u32 v3, v52, 23, 1
; %bb.4906:                             ;   in Loop: Header=BB4_4405 Depth=2
	s_or_b32 exec_lo, exec_lo, s7
	s_delay_alu instid0(VALU_DEP_2) | instskip(NEXT) | instid1(VALU_DEP_2)
	v_lshrrev_b64 v[18:19], 21, v[18:19]
	v_cmp_gt_i32_e32 vcc_lo, 32, v3
	v_min_i32_e32 v22, 31, v3
	v_cmp_eq_u32_e64 s7, 0, v3
	s_delay_alu instid0(VALU_DEP_4) | instskip(NEXT) | instid1(VALU_DEP_3)
	v_cndmask_b32_e32 v18, 3, v18, vcc_lo
	v_dual_cndmask_b32 v19, 0, v19 :: v_dual_lshlrev_b32 v22, 2, v22
	s_delay_alu instid0(VALU_DEP_1) | instskip(NEXT) | instid1(VALU_DEP_2)
	v_and_b32_e32 v22, 0xfc, v22
	v_cmp_eq_u64_e32 vcc_lo, 0, v[18:19]
	s_delay_alu instid0(VALU_DEP_2)
	v_and_or_b32 v3, v18, 3, v22
	s_and_b32 s7, s7, vcc_lo
	s_delay_alu instid0(VALU_DEP_1) | instid1(SALU_CYCLE_1)
	v_cndmask_b32_e64 v3, v3, 0, s7
	s_delay_alu instid0(VALU_DEP_1)
	v_or_b32_e32 v30, v3, v0
.LBB4_4907:                             ;   in Loop: Header=BB4_4405 Depth=2
	s_or_b32 exec_lo, exec_lo, s41
                                        ; implicit-def: $vgpr0
.LBB4_4908:                             ;   in Loop: Header=BB4_4405 Depth=2
	s_and_not1_saveexec_b32 s7, s14
; %bb.4909:                             ;   in Loop: Header=BB4_4405 Depth=2
	v_or_b32_e32 v30, 0x7b, v0
; %bb.4910:                             ;   in Loop: Header=BB4_4405 Depth=2
	s_or_b32 exec_lo, exec_lo, s7
                                        ; implicit-def: $vgpr3
                                        ; implicit-def: $vgpr0
.LBB4_4911:                             ;   in Loop: Header=BB4_4405 Depth=2
	s_and_not1_saveexec_b32 s7, s13
	s_cbranch_execz .LBB4_4917
; %bb.4912:                             ;   in Loop: Header=BB4_4405 Depth=2
	s_mov_b32 s13, exec_lo
                                        ; implicit-def: $vgpr30
	v_cmpx_ne_u64_e32 0, v[52:53]
	s_xor_b32 s13, exec_lo, s13
; %bb.4913:                             ;   in Loop: Header=BB4_4405 Depth=2
	v_or_b32_e32 v30, 0x7f, v0
                                        ; implicit-def: $vgpr3
; %bb.4914:                             ;   in Loop: Header=BB4_4405 Depth=2
	s_and_not1_saveexec_b32 s13, s13
; %bb.4915:                             ;   in Loop: Header=BB4_4405 Depth=2
	v_cmp_lt_i32_e32 vcc_lo, -1, v3
	v_cndmask_b32_e32 v30, 0xfc, v110, vcc_lo
; %bb.4916:                             ;   in Loop: Header=BB4_4405 Depth=2
	s_or_b32 exec_lo, exec_lo, s13
.LBB4_4917:                             ;   in Loop: Header=BB4_4405 Depth=2
	s_delay_alu instid0(SALU_CYCLE_1)
	s_or_b32 exec_lo, exec_lo, s7
	v_and_b32_e32 v18, 0xff, v24
	v_bfe_i32 v3, v24, 0, 8
	v_bfe_i32 v0, v20, 0, 8
	s_and_b32 vcc_lo, exec_lo, s12
	s_mov_b32 s13, -1
	v_cmp_ne_u16_e64 s7, 0, v18
                                        ; implicit-def: $vgpr18
	s_cbranch_vccz .LBB4_4939
; %bb.4918:                             ;   in Loop: Header=BB4_4405 Depth=2
	v_dual_mov_b32 v19, 0 :: v_dual_mov_b32 v18, 0
	s_and_saveexec_b32 s13, s7
	s_cbranch_execz .LBB4_4928
; %bb.4919:                             ;   in Loop: Header=BB4_4405 Depth=2
	v_bfrev_b32_e32 v18, 1
	s_mov_b32 s14, exec_lo
	v_cmpx_ne_u16_e32 0xff80, v3
	s_cbranch_execz .LBB4_4927
; %bb.4920:                             ;   in Loop: Header=BB4_4405 Depth=2
	v_and_b32_e32 v18, 0x7c, v24
	v_and_b32_e32 v22, 3, v24
	s_delay_alu instid0(VALU_DEP_2) | instskip(SKIP_1) | instid1(SALU_CYCLE_1)
	v_cmp_ne_u32_e32 vcc_lo, 0x7c, v18
                                        ; implicit-def: $vgpr18
	s_and_saveexec_b32 s41, vcc_lo
	s_xor_b32 s41, exec_lo, s41
	s_cbranch_execz .LBB4_4924
; %bb.4921:                             ;   in Loop: Header=BB4_4405 Depth=2
	v_bfe_u32 v18, v24, 2, 5
	s_mov_b32 s42, exec_lo
	s_delay_alu instid0(VALU_DEP_1)
	v_cmpx_eq_u32_e32 0, v18
; %bb.4922:                             ;   in Loop: Header=BB4_4405 Depth=2
	v_clz_i32_u32_e32 v18, v22
	s_delay_alu instid0(VALU_DEP_1) | instskip(NEXT) | instid1(VALU_DEP_1)
	v_min_u32_e32 v18, 32, v18
	v_subrev_nc_u32_e32 v22, 29, v18
	v_sub_nc_u32_e32 v18, 30, v18
	s_delay_alu instid0(VALU_DEP_2) | instskip(NEXT) | instid1(VALU_DEP_1)
	v_lshlrev_b64_e32 v[22:23], v22, v[24:25]
	v_and_b32_e32 v22, 3, v22
; %bb.4923:                             ;   in Loop: Header=BB4_4405 Depth=2
	s_or_b32 exec_lo, exec_lo, s42
	v_lshlrev_b32_e32 v23, 24, v24
	s_delay_alu instid0(VALU_DEP_1) | instskip(NEXT) | instid1(VALU_DEP_1)
	v_and_b32_e32 v23, 0x80000000, v23
	v_lshl_add_u32 v18, v18, 23, v23
	s_delay_alu instid0(VALU_DEP_1) | instskip(NEXT) | instid1(VALU_DEP_1)
	v_lshl_or_b32 v18, v22, 21, v18
                                        ; implicit-def: $vgpr22
	v_add_nc_u32_e32 v18, 0x38000000, v18
.LBB4_4924:                             ;   in Loop: Header=BB4_4405 Depth=2
	s_and_not1_saveexec_b32 s41, s41
; %bb.4925:                             ;   in Loop: Header=BB4_4405 Depth=2
	v_cmp_lt_i16_e32 vcc_lo, -1, v3
	v_cndmask_b32_e32 v18, 0xff800000, v109, vcc_lo
	v_cmp_eq_u32_e32 vcc_lo, 0, v22
	s_delay_alu instid0(VALU_DEP_2)
	v_cndmask_b32_e32 v18, 0x7f800001, v18, vcc_lo
; %bb.4926:                             ;   in Loop: Header=BB4_4405 Depth=2
	s_or_b32 exec_lo, exec_lo, s41
.LBB4_4927:                             ;   in Loop: Header=BB4_4405 Depth=2
	s_delay_alu instid0(SALU_CYCLE_1)
	s_or_b32 exec_lo, exec_lo, s14
.LBB4_4928:                             ;   in Loop: Header=BB4_4405 Depth=2
	s_delay_alu instid0(SALU_CYCLE_1) | instskip(NEXT) | instid1(SALU_CYCLE_1)
	s_or_b32 exec_lo, exec_lo, s13
	s_mov_b32 s13, exec_lo
	v_cmpx_ne_u16_e32 0, v0
	s_cbranch_execz .LBB4_4938
; %bb.4929:                             ;   in Loop: Header=BB4_4405 Depth=2
	v_bfrev_b32_e32 v19, 1
	s_mov_b32 s14, exec_lo
	v_cmpx_ne_u16_e32 0xff80, v0
	s_cbranch_execz .LBB4_4937
; %bb.4930:                             ;   in Loop: Header=BB4_4405 Depth=2
	v_and_b32_e32 v19, 0x7c, v20
	v_and_b32_e32 v22, 3, v20
	s_delay_alu instid0(VALU_DEP_2) | instskip(SKIP_1) | instid1(SALU_CYCLE_1)
	v_cmp_ne_u32_e32 vcc_lo, 0x7c, v19
                                        ; implicit-def: $vgpr19
	s_and_saveexec_b32 s41, vcc_lo
	s_xor_b32 s41, exec_lo, s41
	s_cbranch_execz .LBB4_4934
; %bb.4931:                             ;   in Loop: Header=BB4_4405 Depth=2
	v_bfe_u32 v19, v20, 2, 5
	s_mov_b32 s42, exec_lo
	s_delay_alu instid0(VALU_DEP_1)
	v_cmpx_eq_u32_e32 0, v19
; %bb.4932:                             ;   in Loop: Header=BB4_4405 Depth=2
	v_clz_i32_u32_e32 v19, v22
	s_delay_alu instid0(VALU_DEP_1) | instskip(NEXT) | instid1(VALU_DEP_1)
	v_min_u32_e32 v19, 32, v19
	v_subrev_nc_u32_e32 v22, 29, v19
	s_delay_alu instid0(VALU_DEP_1) | instskip(NEXT) | instid1(VALU_DEP_1)
	v_lshlrev_b64_e32 v[22:23], v22, v[20:21]
	v_dual_sub_nc_u32 v19, 30, v19 :: v_dual_bitop2_b32 v22, 3, v22 bitop3:0x40
; %bb.4933:                             ;   in Loop: Header=BB4_4405 Depth=2
	s_or_b32 exec_lo, exec_lo, s42
	v_lshlrev_b32_e32 v23, 24, v20
	s_delay_alu instid0(VALU_DEP_1) | instskip(NEXT) | instid1(VALU_DEP_1)
	v_and_b32_e32 v23, 0x80000000, v23
	v_lshl_add_u32 v19, v19, 23, v23
	s_delay_alu instid0(VALU_DEP_1) | instskip(NEXT) | instid1(VALU_DEP_1)
	v_lshl_or_b32 v19, v22, 21, v19
                                        ; implicit-def: $vgpr22
	v_add_nc_u32_e32 v19, 0x38000000, v19
.LBB4_4934:                             ;   in Loop: Header=BB4_4405 Depth=2
	s_and_not1_saveexec_b32 s41, s41
; %bb.4935:                             ;   in Loop: Header=BB4_4405 Depth=2
	v_cmp_lt_i16_e32 vcc_lo, -1, v0
	v_cndmask_b32_e32 v19, 0xff800000, v109, vcc_lo
	v_cmp_eq_u32_e32 vcc_lo, 0, v22
	s_delay_alu instid0(VALU_DEP_2)
	v_cndmask_b32_e32 v19, 0x7f800001, v19, vcc_lo
; %bb.4936:                             ;   in Loop: Header=BB4_4405 Depth=2
	s_or_b32 exec_lo, exec_lo, s41
.LBB4_4937:                             ;   in Loop: Header=BB4_4405 Depth=2
	s_delay_alu instid0(SALU_CYCLE_1)
	s_or_b32 exec_lo, exec_lo, s14
.LBB4_4938:                             ;   in Loop: Header=BB4_4405 Depth=2
	s_delay_alu instid0(SALU_CYCLE_1) | instskip(NEXT) | instid1(VALU_DEP_1)
	s_or_b32 exec_lo, exec_lo, s13
	v_dual_max_num_f32 v19, v19, v19 :: v_dual_max_num_f32 v18, v18, v18
	s_mov_b32 s13, 0
	s_delay_alu instid0(VALU_DEP_1)
	v_max_num_f32_e32 v18, v18, v19
.LBB4_4939:                             ;   in Loop: Header=BB4_4405 Depth=2
	s_and_b32 vcc_lo, exec_lo, s13
	s_cbranch_vccz .LBB4_4961
; %bb.4940:                             ;   in Loop: Header=BB4_4405 Depth=2
	v_dual_mov_b32 v19, 0 :: v_dual_mov_b32 v18, 0
	s_and_saveexec_b32 s13, s7
	s_cbranch_execz .LBB4_4950
; %bb.4941:                             ;   in Loop: Header=BB4_4405 Depth=2
	v_bfrev_b32_e32 v18, 1
	s_mov_b32 s7, exec_lo
	v_cmpx_ne_u16_e32 0xff80, v3
	s_cbranch_execz .LBB4_4949
; %bb.4942:                             ;   in Loop: Header=BB4_4405 Depth=2
	v_and_b32_e32 v18, 0x7c, v24
	v_and_b32_e32 v22, 3, v24
	s_delay_alu instid0(VALU_DEP_2) | instskip(SKIP_1) | instid1(SALU_CYCLE_1)
	v_cmp_ne_u32_e32 vcc_lo, 0x7c, v18
                                        ; implicit-def: $vgpr18
	s_and_saveexec_b32 s14, vcc_lo
	s_xor_b32 s14, exec_lo, s14
	s_cbranch_execz .LBB4_4946
; %bb.4943:                             ;   in Loop: Header=BB4_4405 Depth=2
	v_bfe_u32 v3, v24, 2, 5
	s_mov_b32 s41, exec_lo
	s_delay_alu instid0(VALU_DEP_1)
	v_cmpx_eq_u32_e32 0, v3
; %bb.4944:                             ;   in Loop: Header=BB4_4405 Depth=2
	v_clz_i32_u32_e32 v3, v22
	s_delay_alu instid0(VALU_DEP_1) | instskip(NEXT) | instid1(VALU_DEP_1)
	v_min_u32_e32 v3, 32, v3
	v_subrev_nc_u32_e32 v18, 29, v3
	s_delay_alu instid0(VALU_DEP_1) | instskip(NEXT) | instid1(VALU_DEP_1)
	v_lshlrev_b64_e32 v[22:23], v18, v[24:25]
	v_dual_sub_nc_u32 v3, 30, v3 :: v_dual_bitop2_b32 v22, 3, v22 bitop3:0x40
; %bb.4945:                             ;   in Loop: Header=BB4_4405 Depth=2
	s_or_b32 exec_lo, exec_lo, s41
	v_lshlrev_b32_e32 v18, 24, v24
	s_delay_alu instid0(VALU_DEP_1) | instskip(NEXT) | instid1(VALU_DEP_1)
	v_and_b32_e32 v18, 0x80000000, v18
	v_lshl_add_u32 v3, v3, 23, v18
	s_delay_alu instid0(VALU_DEP_1) | instskip(NEXT) | instid1(VALU_DEP_1)
	v_lshl_or_b32 v3, v22, 21, v3
                                        ; implicit-def: $vgpr22
	v_add_nc_u32_e32 v18, 0x38000000, v3
                                        ; implicit-def: $vgpr3
.LBB4_4946:                             ;   in Loop: Header=BB4_4405 Depth=2
	s_and_not1_saveexec_b32 s14, s14
; %bb.4947:                             ;   in Loop: Header=BB4_4405 Depth=2
	v_cmp_lt_i16_e32 vcc_lo, -1, v3
	v_cndmask_b32_e32 v3, 0xff800000, v109, vcc_lo
	v_cmp_eq_u32_e32 vcc_lo, 0, v22
	s_delay_alu instid0(VALU_DEP_2)
	v_cndmask_b32_e32 v18, 0x7f800001, v3, vcc_lo
; %bb.4948:                             ;   in Loop: Header=BB4_4405 Depth=2
	s_or_b32 exec_lo, exec_lo, s14
.LBB4_4949:                             ;   in Loop: Header=BB4_4405 Depth=2
	s_delay_alu instid0(SALU_CYCLE_1)
	s_or_b32 exec_lo, exec_lo, s7
.LBB4_4950:                             ;   in Loop: Header=BB4_4405 Depth=2
	s_delay_alu instid0(SALU_CYCLE_1) | instskip(NEXT) | instid1(SALU_CYCLE_1)
	s_or_b32 exec_lo, exec_lo, s13
	s_mov_b32 s7, exec_lo
	v_cmpx_ne_u16_e32 0, v0
	s_cbranch_execz .LBB4_4960
; %bb.4951:                             ;   in Loop: Header=BB4_4405 Depth=2
	v_bfrev_b32_e32 v19, 1
	s_mov_b32 s13, exec_lo
	v_cmpx_ne_u16_e32 0xff80, v0
	s_cbranch_execz .LBB4_4959
; %bb.4952:                             ;   in Loop: Header=BB4_4405 Depth=2
	v_and_b32_e32 v19, 0x7c, v20
	v_and_b32_e32 v3, 3, v20
	s_delay_alu instid0(VALU_DEP_2) | instskip(SKIP_1) | instid1(SALU_CYCLE_1)
	v_cmp_ne_u32_e32 vcc_lo, 0x7c, v19
                                        ; implicit-def: $vgpr19
	s_and_saveexec_b32 s14, vcc_lo
	s_xor_b32 s14, exec_lo, s14
	s_cbranch_execz .LBB4_4956
; %bb.4953:                             ;   in Loop: Header=BB4_4405 Depth=2
	v_bfe_u32 v0, v20, 2, 5
	s_mov_b32 s41, exec_lo
	s_delay_alu instid0(VALU_DEP_1)
	v_cmpx_eq_u32_e32 0, v0
; %bb.4954:                             ;   in Loop: Header=BB4_4405 Depth=2
	v_clz_i32_u32_e32 v0, v3
	s_delay_alu instid0(VALU_DEP_1) | instskip(NEXT) | instid1(VALU_DEP_1)
	v_min_u32_e32 v0, 32, v0
	v_subrev_nc_u32_e32 v3, 29, v0
	s_delay_alu instid0(VALU_DEP_1) | instskip(NEXT) | instid1(VALU_DEP_1)
	v_lshlrev_b64_e32 v[22:23], v3, v[20:21]
	v_dual_sub_nc_u32 v0, 30, v0 :: v_dual_bitop2_b32 v3, 3, v22 bitop3:0x40
; %bb.4955:                             ;   in Loop: Header=BB4_4405 Depth=2
	s_or_b32 exec_lo, exec_lo, s41
	v_lshlrev_b32_e32 v19, 24, v20
	s_delay_alu instid0(VALU_DEP_1) | instskip(NEXT) | instid1(VALU_DEP_1)
	v_and_b32_e32 v19, 0x80000000, v19
	v_lshl_add_u32 v0, v0, 23, v19
	s_delay_alu instid0(VALU_DEP_1) | instskip(NEXT) | instid1(VALU_DEP_1)
	v_lshl_or_b32 v0, v3, 21, v0
                                        ; implicit-def: $vgpr3
	v_add_nc_u32_e32 v19, 0x38000000, v0
                                        ; implicit-def: $vgpr0
.LBB4_4956:                             ;   in Loop: Header=BB4_4405 Depth=2
	s_and_not1_saveexec_b32 s14, s14
; %bb.4957:                             ;   in Loop: Header=BB4_4405 Depth=2
	v_cmp_lt_i16_e32 vcc_lo, -1, v0
	v_cndmask_b32_e32 v0, 0xff800000, v109, vcc_lo
	v_cmp_eq_u32_e32 vcc_lo, 0, v3
	s_delay_alu instid0(VALU_DEP_2)
	v_cndmask_b32_e32 v19, 0x7f800001, v0, vcc_lo
; %bb.4958:                             ;   in Loop: Header=BB4_4405 Depth=2
	s_or_b32 exec_lo, exec_lo, s14
.LBB4_4959:                             ;   in Loop: Header=BB4_4405 Depth=2
	s_delay_alu instid0(SALU_CYCLE_1)
	s_or_b32 exec_lo, exec_lo, s13
.LBB4_4960:                             ;   in Loop: Header=BB4_4405 Depth=2
	s_delay_alu instid0(SALU_CYCLE_1) | instskip(NEXT) | instid1(VALU_DEP_1)
	s_or_b32 exec_lo, exec_lo, s7
	v_dual_max_num_f32 v0, v19, v19 :: v_dual_max_num_f32 v3, v18, v18
	s_delay_alu instid0(VALU_DEP_1)
	v_min_num_f32_e32 v18, v3, v0
.LBB4_4961:                             ;   in Loop: Header=BB4_4405 Depth=2
	s_delay_alu instid0(VALU_DEP_1) | instskip(SKIP_3) | instid1(VALU_DEP_2)
	v_and_b32_e32 v22, 0x7f800000, v18
	v_dual_mov_b32 v23, v53 :: v_dual_lshrrev_b32 v0, 24, v18
	v_and_b32_e32 v52, 0x7fffff, v18
                                        ; implicit-def: $vgpr113
	s_mov_b32 s7, exec_lo
	v_cmpx_ne_u64_e32 0x7f800000, v[22:23]
	s_xor_b32 s13, exec_lo, s7
	s_cbranch_execz .LBB4_4975
; %bb.4962:                             ;   in Loop: Header=BB4_4405 Depth=2
	v_and_b32_e32 v22, 0x7fffffff, v18
	v_mov_b32_e32 v23, v53
	v_and_b32_e32 v0, 0x80, v0
                                        ; implicit-def: $vgpr113
	s_mov_b32 s7, exec_lo
	s_delay_alu instid0(VALU_DEP_2)
	v_cmpx_gt_u64_e32 0x47600001, v[22:23]
	s_xor_b32 s14, exec_lo, s7
	s_cbranch_execz .LBB4_4972
; %bb.4963:                             ;   in Loop: Header=BB4_4405 Depth=2
	v_mov_b32_e32 v113, 0
	s_mov_b32 s41, exec_lo
	v_cmpx_ne_u32_e32 0, v18
	s_cbranch_execz .LBB4_4971
; %bb.4964:                             ;   in Loop: Header=BB4_4405 Depth=2
	v_bfe_u32 v3, v18, 23, 8
	v_or_b32_e32 v22, 0x800000, v52
	s_delay_alu instid0(VALU_DEP_2) | instskip(SKIP_1) | instid1(VALU_DEP_2)
	v_sub_nc_u32_e32 v18, 0x71, v3
	v_cmp_gt_u32_e32 vcc_lo, 0x72, v3
	v_cndmask_b32_e32 v18, 0, v18, vcc_lo
	v_cmp_eq_u32_e32 vcc_lo, 0, v3
	v_cndmask_b32_e32 v52, v22, v52, vcc_lo
	s_delay_alu instid0(VALU_DEP_3) | instskip(NEXT) | instid1(VALU_DEP_1)
	v_cndmask_b32_e64 v102, v18, 0x70, vcc_lo
	v_dual_add_nc_u32 v18, 21, v102 :: v_dual_add_nc_u32 v23, 20, v102
	s_delay_alu instid0(VALU_DEP_1) | instskip(NEXT) | instid1(VALU_DEP_2)
	v_lshlrev_b64_e64 v[18:19], v18, -1
	v_lshlrev_b64_e64 v[22:23], v23, 1
	s_delay_alu instid0(VALU_DEP_2) | instskip(NEXT) | instid1(VALU_DEP_3)
	v_bfi_b32 v43, v19, 0, 0
	v_bfi_b32 v42, v18, 0, v52
	v_lshrrev_b64 v[18:19], v102, v[52:53]
	s_delay_alu instid0(VALU_DEP_2) | instskip(NEXT) | instid1(VALU_DEP_2)
	v_cmp_eq_u64_e64 s7, v[42:43], v[22:23]
	v_mov_b64_e32 v[22:23], v[18:19]
	s_and_saveexec_b32 s42, s7
; %bb.4965:                             ;   in Loop: Header=BB4_4405 Depth=2
	v_bfe_u32 v52, v18, 21, 1
	s_delay_alu instid0(VALU_DEP_1) | instskip(NEXT) | instid1(VALU_DEP_1)
	v_add_nc_u64_e32 v[22:23], v[18:19], v[52:53]
	v_add_nc_u64_e32 v[22:23], -1, v[22:23]
; %bb.4966:                             ;   in Loop: Header=BB4_4405 Depth=2
	s_or_b32 exec_lo, exec_lo, s42
	v_add_nc_u32_e32 v3, 0xffffff81, v3
	v_lshrrev_b32_e32 v19, 23, v18
	s_mov_b32 s7, exec_lo
	s_delay_alu instid0(VALU_DEP_2) | instskip(NEXT) | instid1(VALU_DEP_1)
	v_cndmask_b32_e64 v3, v3, 0xffffff82, vcc_lo
	v_add3_u32 v23, v102, v3, v19
	v_and_b32_e32 v3, 0x1fffff, v22
	s_delay_alu instid0(VALU_DEP_1) | instskip(NEXT) | instid1(VALU_DEP_1)
	v_dual_add_nc_u32 v22, 14, v23 :: v_dual_add_nc_u32 v52, v3, v18
                                        ; implicit-def: $vgpr18_vgpr19
                                        ; implicit-def: $vgpr3
	v_cmpx_ne_u32_e32 0, v22
	s_xor_b32 s7, exec_lo, s7
; %bb.4967:                             ;   in Loop: Header=BB4_4405 Depth=2
	s_delay_alu instid0(VALU_DEP_2) | instskip(SKIP_2) | instid1(VALU_DEP_2)
	v_cmp_lt_u64_e32 vcc_lo, 0xffffff, v[52:53]
	v_add_nc_u32_e32 v3, 15, v23
	v_cndmask_b32_e64 v18, 0, 1, vcc_lo
	v_cndmask_b32_e32 v3, v22, v3, vcc_lo
	s_delay_alu instid0(VALU_DEP_2)
	v_lshrrev_b64 v[18:19], v18, v[52:53]
; %bb.4968:                             ;   in Loop: Header=BB4_4405 Depth=2
	s_and_not1_saveexec_b32 s7, s7
; %bb.4969:                             ;   in Loop: Header=BB4_4405 Depth=2
	v_mov_b64_e32 v[18:19], v[52:53]
	v_bfe_u32 v3, v52, 23, 1
; %bb.4970:                             ;   in Loop: Header=BB4_4405 Depth=2
	s_or_b32 exec_lo, exec_lo, s7
	s_delay_alu instid0(VALU_DEP_2) | instskip(NEXT) | instid1(VALU_DEP_2)
	v_lshrrev_b64 v[18:19], 21, v[18:19]
	v_cmp_gt_i32_e32 vcc_lo, 32, v3
	v_min_i32_e32 v22, 31, v3
	v_cmp_eq_u32_e64 s7, 0, v3
	s_delay_alu instid0(VALU_DEP_4) | instskip(NEXT) | instid1(VALU_DEP_3)
	v_cndmask_b32_e32 v18, 3, v18, vcc_lo
	v_dual_cndmask_b32 v19, 0, v19 :: v_dual_lshlrev_b32 v22, 2, v22
	s_delay_alu instid0(VALU_DEP_1) | instskip(NEXT) | instid1(VALU_DEP_2)
	v_and_b32_e32 v22, 0xfc, v22
	v_cmp_eq_u64_e32 vcc_lo, 0, v[18:19]
	s_delay_alu instid0(VALU_DEP_2)
	v_and_or_b32 v3, v18, 3, v22
	s_and_b32 s7, s7, vcc_lo
	s_delay_alu instid0(VALU_DEP_1) | instid1(SALU_CYCLE_1)
	v_cndmask_b32_e64 v3, v3, 0, s7
	s_delay_alu instid0(VALU_DEP_1)
	v_or_b32_e32 v113, v3, v0
.LBB4_4971:                             ;   in Loop: Header=BB4_4405 Depth=2
	s_or_b32 exec_lo, exec_lo, s41
                                        ; implicit-def: $vgpr0
.LBB4_4972:                             ;   in Loop: Header=BB4_4405 Depth=2
	s_and_not1_saveexec_b32 s7, s14
; %bb.4973:                             ;   in Loop: Header=BB4_4405 Depth=2
	v_or_b32_e32 v113, 0x7b, v0
; %bb.4974:                             ;   in Loop: Header=BB4_4405 Depth=2
	s_or_b32 exec_lo, exec_lo, s7
                                        ; implicit-def: $vgpr18
                                        ; implicit-def: $vgpr0
.LBB4_4975:                             ;   in Loop: Header=BB4_4405 Depth=2
	s_and_not1_saveexec_b32 s7, s13
	s_cbranch_execz .LBB4_4981
; %bb.4976:                             ;   in Loop: Header=BB4_4405 Depth=2
	s_mov_b32 s13, exec_lo
                                        ; implicit-def: $vgpr113
	v_cmpx_ne_u64_e32 0, v[52:53]
	s_xor_b32 s13, exec_lo, s13
; %bb.4977:                             ;   in Loop: Header=BB4_4405 Depth=2
	v_or_b32_e32 v113, 0x7f, v0
                                        ; implicit-def: $vgpr18
; %bb.4978:                             ;   in Loop: Header=BB4_4405 Depth=2
	s_and_not1_saveexec_b32 s13, s13
; %bb.4979:                             ;   in Loop: Header=BB4_4405 Depth=2
	v_cmp_lt_i32_e32 vcc_lo, -1, v18
	v_cndmask_b32_e32 v113, 0xfc, v110, vcc_lo
; %bb.4980:                             ;   in Loop: Header=BB4_4405 Depth=2
	s_or_b32 exec_lo, exec_lo, s13
.LBB4_4981:                             ;   in Loop: Header=BB4_4405 Depth=2
	s_delay_alu instid0(SALU_CYCLE_1) | instskip(SKIP_4) | instid1(VALU_DEP_2)
	s_or_b32 exec_lo, exec_lo, s7
	v_lshrrev_b16 v52, 8, v24
	v_lshrrev_b16 v18, 8, v20
	s_and_b32 vcc_lo, exec_lo, s12
	s_mov_b32 s13, -1
                                        ; implicit-def: $vgpr3
	v_and_b32_e32 v0, 0xffff, v52
	v_cmp_ne_u16_e64 s7, 0, v52
	s_cbranch_vccz .LBB4_5003
; %bb.4982:                             ;   in Loop: Header=BB4_4405 Depth=2
	v_dual_mov_b32 v19, 0 :: v_dual_mov_b32 v3, 0
	s_and_saveexec_b32 s13, s7
	s_cbranch_execz .LBB4_4992
; %bb.4983:                             ;   in Loop: Header=BB4_4405 Depth=2
	v_bfrev_b32_e32 v3, 1
	s_mov_b32 s14, exec_lo
	v_cmpx_ne_u16_e32 0x80, v52
	s_cbranch_execz .LBB4_4991
; %bb.4984:                             ;   in Loop: Header=BB4_4405 Depth=2
	v_and_b32_e32 v3, 0x7c, v0
	v_and_b32_e32 v22, 3, v0
	s_delay_alu instid0(VALU_DEP_2) | instskip(SKIP_1) | instid1(SALU_CYCLE_1)
	v_cmp_ne_u32_e32 vcc_lo, 0x7c, v3
                                        ; implicit-def: $vgpr3
	s_and_saveexec_b32 s41, vcc_lo
	s_xor_b32 s41, exec_lo, s41
	s_cbranch_execz .LBB4_4988
; %bb.4985:                             ;   in Loop: Header=BB4_4405 Depth=2
	v_bfe_u32 v3, v0, 2, 5
	s_mov_b32 s42, exec_lo
	s_delay_alu instid0(VALU_DEP_1)
	v_cmpx_eq_u32_e32 0, v3
; %bb.4986:                             ;   in Loop: Header=BB4_4405 Depth=2
	v_clz_i32_u32_e32 v3, v22
	s_delay_alu instid0(VALU_DEP_1) | instskip(NEXT) | instid1(VALU_DEP_1)
	v_min_u32_e32 v3, 32, v3
	v_subrev_nc_u32_e32 v22, 29, v3
	s_delay_alu instid0(VALU_DEP_1) | instskip(NEXT) | instid1(VALU_DEP_1)
	v_lshlrev_b64_e32 v[22:23], v22, v[52:53]
	v_dual_sub_nc_u32 v3, 30, v3 :: v_dual_bitop2_b32 v22, 3, v22 bitop3:0x40
; %bb.4987:                             ;   in Loop: Header=BB4_4405 Depth=2
	s_or_b32 exec_lo, exec_lo, s42
	v_lshlrev_b32_e32 v23, 16, v24
	s_delay_alu instid0(VALU_DEP_1) | instskip(NEXT) | instid1(VALU_DEP_1)
	v_and_b32_e32 v23, 0x80000000, v23
	v_lshl_add_u32 v3, v3, 23, v23
	s_delay_alu instid0(VALU_DEP_1) | instskip(NEXT) | instid1(VALU_DEP_1)
	v_lshl_or_b32 v3, v22, 21, v3
                                        ; implicit-def: $vgpr22
	v_add_nc_u32_e32 v3, 0x38000000, v3
.LBB4_4988:                             ;   in Loop: Header=BB4_4405 Depth=2
	s_and_not1_saveexec_b32 s41, s41
; %bb.4989:                             ;   in Loop: Header=BB4_4405 Depth=2
	v_cmp_lt_i16_e32 vcc_lo, -1, v24
	v_cndmask_b32_e32 v3, 0xff800000, v109, vcc_lo
	v_cmp_eq_u32_e32 vcc_lo, 0, v22
	s_delay_alu instid0(VALU_DEP_2)
	v_cndmask_b32_e32 v3, 0x7f800001, v3, vcc_lo
; %bb.4990:                             ;   in Loop: Header=BB4_4405 Depth=2
	s_or_b32 exec_lo, exec_lo, s41
.LBB4_4991:                             ;   in Loop: Header=BB4_4405 Depth=2
	s_delay_alu instid0(SALU_CYCLE_1)
	s_or_b32 exec_lo, exec_lo, s14
.LBB4_4992:                             ;   in Loop: Header=BB4_4405 Depth=2
	s_delay_alu instid0(SALU_CYCLE_1) | instskip(NEXT) | instid1(SALU_CYCLE_1)
	s_or_b32 exec_lo, exec_lo, s13
	s_mov_b32 s13, exec_lo
	v_cmpx_ne_u16_e32 0, v18
	s_cbranch_execz .LBB4_5002
; %bb.4993:                             ;   in Loop: Header=BB4_4405 Depth=2
	v_bfrev_b32_e32 v19, 1
	s_mov_b32 s14, exec_lo
	v_cmpx_ne_u16_e32 0x80, v18
	s_cbranch_execz .LBB4_5001
; %bb.4994:                             ;   in Loop: Header=BB4_4405 Depth=2
	v_and_b32_e32 v23, 0xffff, v18
	s_delay_alu instid0(VALU_DEP_1) | instskip(SKIP_1) | instid1(VALU_DEP_2)
	v_and_b32_e32 v19, 0x7c, v23
	v_and_b32_e32 v22, 3, v23
	v_cmp_ne_u32_e32 vcc_lo, 0x7c, v19
                                        ; implicit-def: $vgpr19
	s_and_saveexec_b32 s41, vcc_lo
	s_delay_alu instid0(SALU_CYCLE_1)
	s_xor_b32 s41, exec_lo, s41
	s_cbranch_execz .LBB4_4998
; %bb.4995:                             ;   in Loop: Header=BB4_4405 Depth=2
	v_bfe_u32 v19, v23, 2, 5
	s_mov_b32 s42, exec_lo
	s_delay_alu instid0(VALU_DEP_1)
	v_cmpx_eq_u32_e32 0, v19
	s_cbranch_execz .LBB4_4997
; %bb.4996:                             ;   in Loop: Header=BB4_4405 Depth=2
	v_clz_i32_u32_e32 v19, v22
	s_delay_alu instid0(VALU_DEP_1) | instskip(SKIP_1) | instid1(VALU_DEP_2)
	v_min_u32_e32 v102, 32, v19
	v_mov_b32_e32 v19, v53
	v_subrev_nc_u32_e32 v22, 29, v102
	s_delay_alu instid0(VALU_DEP_1) | instskip(SKIP_1) | instid1(VALU_DEP_2)
	v_lshlrev_b64_e32 v[22:23], v22, v[18:19]
	v_sub_nc_u32_e32 v19, 30, v102
	v_and_b32_e32 v22, 3, v22
.LBB4_4997:                             ;   in Loop: Header=BB4_4405 Depth=2
	s_or_b32 exec_lo, exec_lo, s42
	v_lshlrev_b32_e32 v23, 16, v20
	s_delay_alu instid0(VALU_DEP_1) | instskip(NEXT) | instid1(VALU_DEP_1)
	v_and_b32_e32 v23, 0x80000000, v23
	v_lshl_add_u32 v19, v19, 23, v23
	s_delay_alu instid0(VALU_DEP_1) | instskip(NEXT) | instid1(VALU_DEP_1)
	v_lshl_or_b32 v19, v22, 21, v19
                                        ; implicit-def: $vgpr22
	v_add_nc_u32_e32 v19, 0x38000000, v19
.LBB4_4998:                             ;   in Loop: Header=BB4_4405 Depth=2
	s_and_not1_saveexec_b32 s41, s41
; %bb.4999:                             ;   in Loop: Header=BB4_4405 Depth=2
	v_cmp_lt_i16_e32 vcc_lo, -1, v20
	v_cndmask_b32_e32 v19, 0xff800000, v109, vcc_lo
	v_cmp_eq_u32_e32 vcc_lo, 0, v22
	s_delay_alu instid0(VALU_DEP_2)
	v_cndmask_b32_e32 v19, 0x7f800001, v19, vcc_lo
; %bb.5000:                             ;   in Loop: Header=BB4_4405 Depth=2
	s_or_b32 exec_lo, exec_lo, s41
.LBB4_5001:                             ;   in Loop: Header=BB4_4405 Depth=2
	s_delay_alu instid0(SALU_CYCLE_1)
	s_or_b32 exec_lo, exec_lo, s14
.LBB4_5002:                             ;   in Loop: Header=BB4_4405 Depth=2
	s_delay_alu instid0(SALU_CYCLE_1) | instskip(NEXT) | instid1(VALU_DEP_1)
	s_or_b32 exec_lo, exec_lo, s13
	v_max_num_f32_e32 v19, v19, v19
	v_max_num_f32_e32 v3, v3, v3
	s_mov_b32 s13, 0
	s_delay_alu instid0(VALU_DEP_1)
	v_max_num_f32_e32 v3, v3, v19
.LBB4_5003:                             ;   in Loop: Header=BB4_4405 Depth=2
	s_and_b32 vcc_lo, exec_lo, s13
	s_cbranch_vccz .LBB4_5025
; %bb.5004:                             ;   in Loop: Header=BB4_4405 Depth=2
	v_dual_mov_b32 v19, 0 :: v_dual_mov_b32 v3, 0
	s_and_saveexec_b32 s13, s7
	s_cbranch_execz .LBB4_5014
; %bb.5005:                             ;   in Loop: Header=BB4_4405 Depth=2
	v_bfrev_b32_e32 v3, 1
	s_mov_b32 s7, exec_lo
	v_cmpx_ne_u16_e32 0x80, v52
	s_cbranch_execz .LBB4_5013
; %bb.5006:                             ;   in Loop: Header=BB4_4405 Depth=2
	v_and_b32_e32 v3, 0x7c, v0
	v_and_b32_e32 v22, 3, v0
	s_delay_alu instid0(VALU_DEP_2) | instskip(SKIP_1) | instid1(SALU_CYCLE_1)
	v_cmp_ne_u32_e32 vcc_lo, 0x7c, v3
                                        ; implicit-def: $vgpr3
	s_and_saveexec_b32 s14, vcc_lo
	s_xor_b32 s14, exec_lo, s14
	s_cbranch_execz .LBB4_5010
; %bb.5007:                             ;   in Loop: Header=BB4_4405 Depth=2
	v_bfe_u32 v0, v0, 2, 5
	s_mov_b32 s41, exec_lo
	s_delay_alu instid0(VALU_DEP_1)
	v_cmpx_eq_u32_e32 0, v0
; %bb.5008:                             ;   in Loop: Header=BB4_4405 Depth=2
	v_clz_i32_u32_e32 v0, v22
	s_delay_alu instid0(VALU_DEP_1) | instskip(NEXT) | instid1(VALU_DEP_1)
	v_min_u32_e32 v0, 32, v0
	v_subrev_nc_u32_e32 v3, 29, v0
	s_delay_alu instid0(VALU_DEP_1) | instskip(NEXT) | instid1(VALU_DEP_1)
	v_lshlrev_b64_e32 v[22:23], v3, v[52:53]
	v_dual_sub_nc_u32 v0, 30, v0 :: v_dual_bitop2_b32 v22, 3, v22 bitop3:0x40
; %bb.5009:                             ;   in Loop: Header=BB4_4405 Depth=2
	s_or_b32 exec_lo, exec_lo, s41
	v_lshlrev_b32_e32 v3, 16, v24
	s_delay_alu instid0(VALU_DEP_1) | instskip(NEXT) | instid1(VALU_DEP_1)
	v_and_b32_e32 v3, 0x80000000, v3
	v_lshl_add_u32 v0, v0, 23, v3
	s_delay_alu instid0(VALU_DEP_1) | instskip(NEXT) | instid1(VALU_DEP_1)
	v_lshl_or_b32 v0, v22, 21, v0
                                        ; implicit-def: $vgpr22
	v_add_nc_u32_e32 v3, 0x38000000, v0
.LBB4_5010:                             ;   in Loop: Header=BB4_4405 Depth=2
	s_and_not1_saveexec_b32 s14, s14
; %bb.5011:                             ;   in Loop: Header=BB4_4405 Depth=2
	v_cmp_lt_i16_e32 vcc_lo, -1, v24
	v_cndmask_b32_e32 v0, 0xff800000, v109, vcc_lo
	v_cmp_eq_u32_e32 vcc_lo, 0, v22
	s_delay_alu instid0(VALU_DEP_2)
	v_cndmask_b32_e32 v3, 0x7f800001, v0, vcc_lo
; %bb.5012:                             ;   in Loop: Header=BB4_4405 Depth=2
	s_or_b32 exec_lo, exec_lo, s14
.LBB4_5013:                             ;   in Loop: Header=BB4_4405 Depth=2
	s_delay_alu instid0(SALU_CYCLE_1)
	s_or_b32 exec_lo, exec_lo, s7
.LBB4_5014:                             ;   in Loop: Header=BB4_4405 Depth=2
	s_delay_alu instid0(SALU_CYCLE_1) | instskip(NEXT) | instid1(SALU_CYCLE_1)
	s_or_b32 exec_lo, exec_lo, s13
	s_mov_b32 s7, exec_lo
	v_cmpx_ne_u16_e32 0, v18
	s_cbranch_execz .LBB4_5024
; %bb.5015:                             ;   in Loop: Header=BB4_4405 Depth=2
	v_bfrev_b32_e32 v19, 1
	s_mov_b32 s13, exec_lo
	v_cmpx_ne_u16_e32 0x80, v18
	s_cbranch_execz .LBB4_5023
; %bb.5016:                             ;   in Loop: Header=BB4_4405 Depth=2
	v_and_b32_e32 v22, 0xffff, v18
	s_delay_alu instid0(VALU_DEP_1) | instskip(SKIP_1) | instid1(VALU_DEP_2)
	v_and_b32_e32 v19, 0x7c, v22
	v_and_b32_e32 v0, 3, v22
	v_cmp_ne_u32_e32 vcc_lo, 0x7c, v19
                                        ; implicit-def: $vgpr19
	s_and_saveexec_b32 s14, vcc_lo
	s_delay_alu instid0(SALU_CYCLE_1)
	s_xor_b32 s14, exec_lo, s14
	s_cbranch_execz .LBB4_5020
; %bb.5017:                             ;   in Loop: Header=BB4_4405 Depth=2
	v_bfe_u32 v19, v22, 2, 5
	s_mov_b32 s41, exec_lo
	s_delay_alu instid0(VALU_DEP_1)
	v_cmpx_eq_u32_e32 0, v19
; %bb.5018:                             ;   in Loop: Header=BB4_4405 Depth=2
	v_clz_i32_u32_e32 v0, v0
	v_mov_b32_e32 v19, v53
	s_delay_alu instid0(VALU_DEP_2) | instskip(NEXT) | instid1(VALU_DEP_1)
	v_min_u32_e32 v0, 32, v0
	v_subrev_nc_u32_e32 v22, 29, v0
	s_delay_alu instid0(VALU_DEP_1) | instskip(NEXT) | instid1(VALU_DEP_1)
	v_lshlrev_b64_e32 v[18:19], v22, v[18:19]
	v_dual_sub_nc_u32 v19, 30, v0 :: v_dual_bitop2_b32 v0, 3, v18 bitop3:0x40
; %bb.5019:                             ;   in Loop: Header=BB4_4405 Depth=2
	s_or_b32 exec_lo, exec_lo, s41
	v_lshlrev_b32_e32 v18, 16, v20
	s_delay_alu instid0(VALU_DEP_1) | instskip(NEXT) | instid1(VALU_DEP_1)
	v_and_b32_e32 v18, 0x80000000, v18
	v_lshl_add_u32 v18, v19, 23, v18
	s_delay_alu instid0(VALU_DEP_1) | instskip(NEXT) | instid1(VALU_DEP_1)
	v_lshl_or_b32 v0, v0, 21, v18
	v_add_nc_u32_e32 v19, 0x38000000, v0
                                        ; implicit-def: $vgpr0
.LBB4_5020:                             ;   in Loop: Header=BB4_4405 Depth=2
	s_and_not1_saveexec_b32 s14, s14
; %bb.5021:                             ;   in Loop: Header=BB4_4405 Depth=2
	v_cmp_lt_i16_e32 vcc_lo, -1, v20
	v_cndmask_b32_e32 v18, 0xff800000, v109, vcc_lo
	v_cmp_eq_u32_e32 vcc_lo, 0, v0
	s_delay_alu instid0(VALU_DEP_2)
	v_cndmask_b32_e32 v19, 0x7f800001, v18, vcc_lo
; %bb.5022:                             ;   in Loop: Header=BB4_4405 Depth=2
	s_or_b32 exec_lo, exec_lo, s14
.LBB4_5023:                             ;   in Loop: Header=BB4_4405 Depth=2
	s_delay_alu instid0(SALU_CYCLE_1)
	s_or_b32 exec_lo, exec_lo, s13
.LBB4_5024:                             ;   in Loop: Header=BB4_4405 Depth=2
	s_delay_alu instid0(SALU_CYCLE_1) | instskip(NEXT) | instid1(VALU_DEP_1)
	s_or_b32 exec_lo, exec_lo, s7
	v_max_num_f32_e32 v0, v19, v19
	v_max_num_f32_e32 v3, v3, v3
	s_delay_alu instid0(VALU_DEP_1)
	v_min_num_f32_e32 v3, v3, v0
.LBB4_5025:                             ;   in Loop: Header=BB4_4405 Depth=2
	s_delay_alu instid0(VALU_DEP_1) | instskip(SKIP_3) | instid1(VALU_DEP_2)
	v_and_b32_e32 v18, 0x7f800000, v3
	v_dual_mov_b32 v19, v53 :: v_dual_lshrrev_b32 v0, 24, v3
	v_and_b32_e32 v52, 0x7fffff, v3
                                        ; implicit-def: $vgpr115
	s_mov_b32 s7, exec_lo
	v_cmpx_ne_u64_e32 0x7f800000, v[18:19]
	s_xor_b32 s13, exec_lo, s7
	s_cbranch_execz .LBB4_5039
; %bb.5026:                             ;   in Loop: Header=BB4_4405 Depth=2
	v_and_b32_e32 v18, 0x7fffffff, v3
	v_mov_b32_e32 v19, v53
	v_and_b32_e32 v0, 0x80, v0
                                        ; implicit-def: $vgpr115
	s_mov_b32 s7, exec_lo
	s_delay_alu instid0(VALU_DEP_2)
	v_cmpx_gt_u64_e32 0x47600001, v[18:19]
	s_xor_b32 s14, exec_lo, s7
	s_cbranch_execz .LBB4_5036
; %bb.5027:                             ;   in Loop: Header=BB4_4405 Depth=2
	v_mov_b32_e32 v115, 0
	s_mov_b32 s41, exec_lo
	v_cmpx_ne_u32_e32 0, v3
	s_cbranch_execz .LBB4_5035
; %bb.5028:                             ;   in Loop: Header=BB4_4405 Depth=2
	v_bfe_u32 v3, v3, 23, 8
	v_or_b32_e32 v22, 0x800000, v52
	s_delay_alu instid0(VALU_DEP_2) | instskip(SKIP_1) | instid1(VALU_DEP_2)
	v_sub_nc_u32_e32 v18, 0x71, v3
	v_cmp_gt_u32_e32 vcc_lo, 0x72, v3
	v_cndmask_b32_e32 v18, 0, v18, vcc_lo
	v_cmp_eq_u32_e32 vcc_lo, 0, v3
	v_cndmask_b32_e32 v52, v22, v52, vcc_lo
	s_delay_alu instid0(VALU_DEP_3) | instskip(NEXT) | instid1(VALU_DEP_1)
	v_cndmask_b32_e64 v102, v18, 0x70, vcc_lo
	v_dual_add_nc_u32 v18, 21, v102 :: v_dual_add_nc_u32 v23, 20, v102
	s_delay_alu instid0(VALU_DEP_1) | instskip(NEXT) | instid1(VALU_DEP_2)
	v_lshlrev_b64_e64 v[18:19], v18, -1
	v_lshlrev_b64_e64 v[22:23], v23, 1
	s_delay_alu instid0(VALU_DEP_2) | instskip(NEXT) | instid1(VALU_DEP_3)
	v_bfi_b32 v43, v19, 0, 0
	v_bfi_b32 v42, v18, 0, v52
	v_lshrrev_b64 v[18:19], v102, v[52:53]
	s_delay_alu instid0(VALU_DEP_2) | instskip(NEXT) | instid1(VALU_DEP_2)
	v_cmp_eq_u64_e64 s7, v[42:43], v[22:23]
	v_mov_b64_e32 v[22:23], v[18:19]
	s_and_saveexec_b32 s42, s7
; %bb.5029:                             ;   in Loop: Header=BB4_4405 Depth=2
	v_bfe_u32 v52, v18, 21, 1
	s_delay_alu instid0(VALU_DEP_1) | instskip(NEXT) | instid1(VALU_DEP_1)
	v_add_nc_u64_e32 v[22:23], v[18:19], v[52:53]
	v_add_nc_u64_e32 v[22:23], -1, v[22:23]
; %bb.5030:                             ;   in Loop: Header=BB4_4405 Depth=2
	s_or_b32 exec_lo, exec_lo, s42
	v_add_nc_u32_e32 v3, 0xffffff81, v3
	v_lshrrev_b32_e32 v19, 23, v18
	s_mov_b32 s7, exec_lo
	s_delay_alu instid0(VALU_DEP_2) | instskip(NEXT) | instid1(VALU_DEP_1)
	v_cndmask_b32_e64 v3, v3, 0xffffff82, vcc_lo
	v_add3_u32 v23, v102, v3, v19
	v_and_b32_e32 v3, 0x1fffff, v22
	s_delay_alu instid0(VALU_DEP_1) | instskip(NEXT) | instid1(VALU_DEP_1)
	v_dual_add_nc_u32 v22, 14, v23 :: v_dual_add_nc_u32 v52, v3, v18
                                        ; implicit-def: $vgpr18_vgpr19
                                        ; implicit-def: $vgpr3
	v_cmpx_ne_u32_e32 0, v22
	s_xor_b32 s7, exec_lo, s7
; %bb.5031:                             ;   in Loop: Header=BB4_4405 Depth=2
	s_delay_alu instid0(VALU_DEP_2) | instskip(SKIP_2) | instid1(VALU_DEP_2)
	v_cmp_lt_u64_e32 vcc_lo, 0xffffff, v[52:53]
	v_add_nc_u32_e32 v3, 15, v23
	v_cndmask_b32_e64 v18, 0, 1, vcc_lo
	v_cndmask_b32_e32 v3, v22, v3, vcc_lo
	s_delay_alu instid0(VALU_DEP_2)
	v_lshrrev_b64 v[18:19], v18, v[52:53]
; %bb.5032:                             ;   in Loop: Header=BB4_4405 Depth=2
	s_and_not1_saveexec_b32 s7, s7
; %bb.5033:                             ;   in Loop: Header=BB4_4405 Depth=2
	v_mov_b64_e32 v[18:19], v[52:53]
	v_bfe_u32 v3, v52, 23, 1
; %bb.5034:                             ;   in Loop: Header=BB4_4405 Depth=2
	s_or_b32 exec_lo, exec_lo, s7
	s_delay_alu instid0(VALU_DEP_2) | instskip(NEXT) | instid1(VALU_DEP_2)
	v_lshrrev_b64 v[18:19], 21, v[18:19]
	v_cmp_gt_i32_e32 vcc_lo, 32, v3
	v_min_i32_e32 v22, 31, v3
	v_cmp_eq_u32_e64 s7, 0, v3
	s_delay_alu instid0(VALU_DEP_4) | instskip(NEXT) | instid1(VALU_DEP_3)
	v_cndmask_b32_e32 v18, 3, v18, vcc_lo
	v_dual_cndmask_b32 v19, 0, v19 :: v_dual_lshlrev_b32 v22, 2, v22
	s_delay_alu instid0(VALU_DEP_1) | instskip(NEXT) | instid1(VALU_DEP_2)
	v_and_b32_e32 v22, 0xfc, v22
	v_cmp_eq_u64_e32 vcc_lo, 0, v[18:19]
	s_delay_alu instid0(VALU_DEP_2)
	v_and_or_b32 v3, v18, 3, v22
	s_and_b32 s7, s7, vcc_lo
	s_delay_alu instid0(VALU_DEP_1) | instid1(SALU_CYCLE_1)
	v_cndmask_b32_e64 v3, v3, 0, s7
	s_delay_alu instid0(VALU_DEP_1)
	v_or_b32_e32 v115, v3, v0
.LBB4_5035:                             ;   in Loop: Header=BB4_4405 Depth=2
	s_or_b32 exec_lo, exec_lo, s41
                                        ; implicit-def: $vgpr0
.LBB4_5036:                             ;   in Loop: Header=BB4_4405 Depth=2
	s_and_not1_saveexec_b32 s7, s14
; %bb.5037:                             ;   in Loop: Header=BB4_4405 Depth=2
	v_or_b32_e32 v115, 0x7b, v0
; %bb.5038:                             ;   in Loop: Header=BB4_4405 Depth=2
	s_or_b32 exec_lo, exec_lo, s7
                                        ; implicit-def: $vgpr3
                                        ; implicit-def: $vgpr0
.LBB4_5039:                             ;   in Loop: Header=BB4_4405 Depth=2
	s_and_not1_saveexec_b32 s7, s13
	s_cbranch_execz .LBB4_5045
; %bb.5040:                             ;   in Loop: Header=BB4_4405 Depth=2
	s_mov_b32 s13, exec_lo
                                        ; implicit-def: $vgpr115
	v_cmpx_ne_u64_e32 0, v[52:53]
	s_xor_b32 s13, exec_lo, s13
; %bb.5041:                             ;   in Loop: Header=BB4_4405 Depth=2
	v_or_b32_e32 v115, 0x7f, v0
                                        ; implicit-def: $vgpr3
; %bb.5042:                             ;   in Loop: Header=BB4_4405 Depth=2
	s_and_not1_saveexec_b32 s13, s13
; %bb.5043:                             ;   in Loop: Header=BB4_4405 Depth=2
	v_cmp_lt_i32_e32 vcc_lo, -1, v3
	v_cndmask_b32_e32 v115, 0xfc, v110, vcc_lo
; %bb.5044:                             ;   in Loop: Header=BB4_4405 Depth=2
	s_or_b32 exec_lo, exec_lo, s13
.LBB4_5045:                             ;   in Loop: Header=BB4_4405 Depth=2
	s_delay_alu instid0(SALU_CYCLE_1) | instskip(SKIP_4) | instid1(VALU_DEP_2)
	s_or_b32 exec_lo, exec_lo, s7
	v_lshrrev_b32_e32 v22, 16, v24
	v_lshrrev_b32_e32 v18, 16, v20
	s_and_b32 vcc_lo, exec_lo, s12
	s_mov_b32 s13, -1
                                        ; implicit-def: $vgpr3
	v_and_b32_e32 v0, 0xff, v22
	s_delay_alu instid0(VALU_DEP_1)
	v_cmp_ne_u16_e64 s7, 0, v0
	s_cbranch_vccz .LBB4_5067
; %bb.5046:                             ;   in Loop: Header=BB4_4405 Depth=2
	v_dual_mov_b32 v19, 0 :: v_dual_mov_b32 v3, 0
	s_and_saveexec_b32 s13, s7
	s_cbranch_execz .LBB4_5056
; %bb.5047:                             ;   in Loop: Header=BB4_4405 Depth=2
	v_bfrev_b32_e32 v3, 1
	s_mov_b32 s14, exec_lo
	v_cmpx_ne_u16_e32 0x80, v0
	s_cbranch_execz .LBB4_5055
; %bb.5048:                             ;   in Loop: Header=BB4_4405 Depth=2
	v_and_b32_e32 v3, 0x7c0000, v24
	v_bfe_u32 v23, v24, 16, 2
	s_delay_alu instid0(VALU_DEP_2) | instskip(SKIP_1) | instid1(SALU_CYCLE_1)
	v_cmp_ne_u32_e32 vcc_lo, 0x7c0000, v3
                                        ; implicit-def: $vgpr3
	s_and_saveexec_b32 s41, vcc_lo
	s_xor_b32 s41, exec_lo, s41
	s_cbranch_execz .LBB4_5052
; %bb.5049:                             ;   in Loop: Header=BB4_4405 Depth=2
	v_bfe_u32 v3, v24, 18, 5
	s_mov_b32 s42, exec_lo
	s_delay_alu instid0(VALU_DEP_1)
	v_cmpx_eq_u32_e32 0, v3
; %bb.5050:                             ;   in Loop: Header=BB4_4405 Depth=2
	v_clz_i32_u32_e32 v3, v23
	s_delay_alu instid0(VALU_DEP_1) | instskip(NEXT) | instid1(VALU_DEP_1)
	v_min_u32_e32 v3, 32, v3
	v_subrev_nc_u32_e32 v23, 29, v3
	s_delay_alu instid0(VALU_DEP_1) | instskip(NEXT) | instid1(VALU_DEP_1)
	v_lshlrev_b64_e32 v[102:103], v23, v[22:23]
	v_dual_sub_nc_u32 v3, 30, v3 :: v_dual_bitop2_b32 v23, 3, v102 bitop3:0x40
; %bb.5051:                             ;   in Loop: Header=BB4_4405 Depth=2
	s_or_b32 exec_lo, exec_lo, s42
	v_lshlrev_b32_e32 v52, 24, v22
	s_delay_alu instid0(VALU_DEP_1) | instskip(NEXT) | instid1(VALU_DEP_1)
	v_and_b32_e32 v52, 0x80000000, v52
	v_lshl_add_u32 v3, v3, 23, v52
	s_delay_alu instid0(VALU_DEP_1) | instskip(NEXT) | instid1(VALU_DEP_1)
	v_lshl_or_b32 v3, v23, 21, v3
                                        ; implicit-def: $vgpr23
	v_add_nc_u32_e32 v3, 0x38000000, v3
.LBB4_5052:                             ;   in Loop: Header=BB4_4405 Depth=2
	s_and_not1_saveexec_b32 s41, s41
; %bb.5053:                             ;   in Loop: Header=BB4_4405 Depth=2
	v_bfe_i32 v3, v22, 0, 8
	s_delay_alu instid0(VALU_DEP_1) | instskip(SKIP_2) | instid1(VALU_DEP_2)
	v_cmp_lt_i16_e32 vcc_lo, -1, v3
	v_cndmask_b32_e32 v3, 0xff800000, v109, vcc_lo
	v_cmp_eq_u32_e32 vcc_lo, 0, v23
	v_cndmask_b32_e32 v3, 0x7f800001, v3, vcc_lo
; %bb.5054:                             ;   in Loop: Header=BB4_4405 Depth=2
	s_or_b32 exec_lo, exec_lo, s41
.LBB4_5055:                             ;   in Loop: Header=BB4_4405 Depth=2
	s_delay_alu instid0(SALU_CYCLE_1)
	s_or_b32 exec_lo, exec_lo, s14
.LBB4_5056:                             ;   in Loop: Header=BB4_4405 Depth=2
	s_delay_alu instid0(SALU_CYCLE_1) | instskip(SKIP_2) | instid1(VALU_DEP_1)
	s_or_b32 exec_lo, exec_lo, s13
	v_and_b32_e32 v23, 0xff, v18
	s_mov_b32 s13, exec_lo
	v_cmpx_ne_u16_e32 0, v23
	s_cbranch_execz .LBB4_5066
; %bb.5057:                             ;   in Loop: Header=BB4_4405 Depth=2
	v_bfrev_b32_e32 v19, 1
	s_mov_b32 s14, exec_lo
	v_cmpx_ne_u16_e32 0x80, v23
	s_cbranch_execz .LBB4_5065
; %bb.5058:                             ;   in Loop: Header=BB4_4405 Depth=2
	v_and_b32_e32 v19, 0x7c0000, v20
	v_bfe_u32 v23, v20, 16, 2
	s_delay_alu instid0(VALU_DEP_2) | instskip(SKIP_1) | instid1(SALU_CYCLE_1)
	v_cmp_ne_u32_e32 vcc_lo, 0x7c0000, v19
                                        ; implicit-def: $vgpr19
	s_and_saveexec_b32 s41, vcc_lo
	s_xor_b32 s41, exec_lo, s41
	s_cbranch_execz .LBB4_5062
; %bb.5059:                             ;   in Loop: Header=BB4_4405 Depth=2
	v_bfe_u32 v19, v20, 18, 5
	s_mov_b32 s42, exec_lo
	s_delay_alu instid0(VALU_DEP_1)
	v_cmpx_eq_u32_e32 0, v19
; %bb.5060:                             ;   in Loop: Header=BB4_4405 Depth=2
	v_clz_i32_u32_e32 v19, v23
	s_delay_alu instid0(VALU_DEP_1) | instskip(NEXT) | instid1(VALU_DEP_1)
	v_min_u32_e32 v19, 32, v19
	v_subrev_nc_u32_e32 v23, 29, v19
	s_delay_alu instid0(VALU_DEP_1) | instskip(NEXT) | instid1(VALU_DEP_1)
	v_lshlrev_b64_e32 v[102:103], v23, v[18:19]
	v_dual_sub_nc_u32 v19, 30, v19 :: v_dual_bitop2_b32 v23, 3, v102 bitop3:0x40
; %bb.5061:                             ;   in Loop: Header=BB4_4405 Depth=2
	s_or_b32 exec_lo, exec_lo, s42
	v_lshlrev_b32_e32 v52, 24, v18
	s_delay_alu instid0(VALU_DEP_1) | instskip(NEXT) | instid1(VALU_DEP_1)
	v_and_b32_e32 v52, 0x80000000, v52
	v_lshl_add_u32 v19, v19, 23, v52
	s_delay_alu instid0(VALU_DEP_1) | instskip(NEXT) | instid1(VALU_DEP_1)
	v_lshl_or_b32 v19, v23, 21, v19
                                        ; implicit-def: $vgpr23
	v_add_nc_u32_e32 v19, 0x38000000, v19
.LBB4_5062:                             ;   in Loop: Header=BB4_4405 Depth=2
	s_and_not1_saveexec_b32 s41, s41
; %bb.5063:                             ;   in Loop: Header=BB4_4405 Depth=2
	v_bfe_i32 v19, v18, 0, 8
	s_delay_alu instid0(VALU_DEP_1) | instskip(SKIP_2) | instid1(VALU_DEP_2)
	v_cmp_lt_i16_e32 vcc_lo, -1, v19
	v_cndmask_b32_e32 v19, 0xff800000, v109, vcc_lo
	v_cmp_eq_u32_e32 vcc_lo, 0, v23
	v_cndmask_b32_e32 v19, 0x7f800001, v19, vcc_lo
; %bb.5064:                             ;   in Loop: Header=BB4_4405 Depth=2
	s_or_b32 exec_lo, exec_lo, s41
.LBB4_5065:                             ;   in Loop: Header=BB4_4405 Depth=2
	s_delay_alu instid0(SALU_CYCLE_1)
	s_or_b32 exec_lo, exec_lo, s14
.LBB4_5066:                             ;   in Loop: Header=BB4_4405 Depth=2
	s_delay_alu instid0(SALU_CYCLE_1) | instskip(NEXT) | instid1(VALU_DEP_1)
	s_or_b32 exec_lo, exec_lo, s13
	v_max_num_f32_e32 v19, v19, v19
	v_max_num_f32_e32 v3, v3, v3
	s_mov_b32 s13, 0
	s_delay_alu instid0(VALU_DEP_1)
	v_max_num_f32_e32 v3, v3, v19
.LBB4_5067:                             ;   in Loop: Header=BB4_4405 Depth=2
	s_and_b32 vcc_lo, exec_lo, s13
	s_cbranch_vccz .LBB4_5089
; %bb.5068:                             ;   in Loop: Header=BB4_4405 Depth=2
	v_dual_mov_b32 v19, 0 :: v_dual_mov_b32 v3, 0
	s_and_saveexec_b32 s13, s7
	s_cbranch_execz .LBB4_5078
; %bb.5069:                             ;   in Loop: Header=BB4_4405 Depth=2
	v_bfrev_b32_e32 v3, 1
	s_mov_b32 s7, exec_lo
	v_cmpx_ne_u16_e32 0x80, v0
	s_cbranch_execz .LBB4_5077
; %bb.5070:                             ;   in Loop: Header=BB4_4405 Depth=2
	v_and_b32_e32 v3, 0x7c0000, v24
	v_bfe_u32 v0, v24, 16, 2
	s_delay_alu instid0(VALU_DEP_2) | instskip(SKIP_1) | instid1(SALU_CYCLE_1)
	v_cmp_ne_u32_e32 vcc_lo, 0x7c0000, v3
                                        ; implicit-def: $vgpr3
	s_and_saveexec_b32 s14, vcc_lo
	s_xor_b32 s14, exec_lo, s14
	s_cbranch_execz .LBB4_5074
; %bb.5071:                             ;   in Loop: Header=BB4_4405 Depth=2
	v_bfe_u32 v3, v24, 18, 5
	s_mov_b32 s41, exec_lo
	s_delay_alu instid0(VALU_DEP_1)
	v_cmpx_eq_u32_e32 0, v3
; %bb.5072:                             ;   in Loop: Header=BB4_4405 Depth=2
	v_clz_i32_u32_e32 v0, v0
	s_delay_alu instid0(VALU_DEP_1) | instskip(NEXT) | instid1(VALU_DEP_1)
	v_min_u32_e32 v0, 32, v0
	v_subrev_nc_u32_e32 v3, 29, v0
	s_delay_alu instid0(VALU_DEP_1) | instskip(NEXT) | instid1(VALU_DEP_1)
	v_lshlrev_b64_e32 v[102:103], v3, v[22:23]
	v_dual_sub_nc_u32 v3, 30, v0 :: v_dual_bitop2_b32 v0, 3, v102 bitop3:0x40
; %bb.5073:                             ;   in Loop: Header=BB4_4405 Depth=2
	s_or_b32 exec_lo, exec_lo, s41
	v_lshlrev_b32_e32 v22, 24, v22
	s_delay_alu instid0(VALU_DEP_1) | instskip(NEXT) | instid1(VALU_DEP_1)
	v_and_b32_e32 v22, 0x80000000, v22
	v_lshl_add_u32 v3, v3, 23, v22
                                        ; implicit-def: $vgpr22
	s_delay_alu instid0(VALU_DEP_1) | instskip(NEXT) | instid1(VALU_DEP_1)
	v_lshl_or_b32 v0, v0, 21, v3
	v_add_nc_u32_e32 v3, 0x38000000, v0
                                        ; implicit-def: $vgpr0
.LBB4_5074:                             ;   in Loop: Header=BB4_4405 Depth=2
	s_and_not1_saveexec_b32 s14, s14
; %bb.5075:                             ;   in Loop: Header=BB4_4405 Depth=2
	v_bfe_i32 v3, v22, 0, 8
	s_delay_alu instid0(VALU_DEP_1) | instskip(SKIP_2) | instid1(VALU_DEP_2)
	v_cmp_lt_i16_e32 vcc_lo, -1, v3
	v_cndmask_b32_e32 v3, 0xff800000, v109, vcc_lo
	v_cmp_eq_u32_e32 vcc_lo, 0, v0
	v_cndmask_b32_e32 v3, 0x7f800001, v3, vcc_lo
; %bb.5076:                             ;   in Loop: Header=BB4_4405 Depth=2
	s_or_b32 exec_lo, exec_lo, s14
.LBB4_5077:                             ;   in Loop: Header=BB4_4405 Depth=2
	s_delay_alu instid0(SALU_CYCLE_1)
	s_or_b32 exec_lo, exec_lo, s7
.LBB4_5078:                             ;   in Loop: Header=BB4_4405 Depth=2
	s_delay_alu instid0(SALU_CYCLE_1) | instskip(SKIP_2) | instid1(VALU_DEP_1)
	s_or_b32 exec_lo, exec_lo, s13
	v_and_b32_e32 v0, 0xff, v18
	s_mov_b32 s7, exec_lo
	v_cmpx_ne_u16_e32 0, v0
	s_cbranch_execz .LBB4_5088
; %bb.5079:                             ;   in Loop: Header=BB4_4405 Depth=2
	v_bfrev_b32_e32 v19, 1
	s_mov_b32 s13, exec_lo
	v_cmpx_ne_u16_e32 0x80, v0
	s_cbranch_execz .LBB4_5087
; %bb.5080:                             ;   in Loop: Header=BB4_4405 Depth=2
	v_and_b32_e32 v19, 0x7c0000, v20
	v_bfe_u32 v0, v20, 16, 2
	s_delay_alu instid0(VALU_DEP_2) | instskip(SKIP_1) | instid1(SALU_CYCLE_1)
	v_cmp_ne_u32_e32 vcc_lo, 0x7c0000, v19
                                        ; implicit-def: $vgpr19
	s_and_saveexec_b32 s14, vcc_lo
	s_xor_b32 s14, exec_lo, s14
	s_cbranch_execz .LBB4_5084
; %bb.5081:                             ;   in Loop: Header=BB4_4405 Depth=2
	v_bfe_u32 v19, v20, 18, 5
	s_mov_b32 s41, exec_lo
	s_delay_alu instid0(VALU_DEP_1)
	v_cmpx_eq_u32_e32 0, v19
; %bb.5082:                             ;   in Loop: Header=BB4_4405 Depth=2
	v_clz_i32_u32_e32 v0, v0
	s_delay_alu instid0(VALU_DEP_1) | instskip(NEXT) | instid1(VALU_DEP_1)
	v_min_u32_e32 v0, 32, v0
	v_subrev_nc_u32_e32 v19, 29, v0
	s_delay_alu instid0(VALU_DEP_1) | instskip(NEXT) | instid1(VALU_DEP_1)
	v_lshlrev_b64_e32 v[22:23], v19, v[18:19]
	v_dual_sub_nc_u32 v19, 30, v0 :: v_dual_bitop2_b32 v0, 3, v22 bitop3:0x40
; %bb.5083:                             ;   in Loop: Header=BB4_4405 Depth=2
	s_or_b32 exec_lo, exec_lo, s41
	v_lshlrev_b32_e32 v18, 24, v18
	s_delay_alu instid0(VALU_DEP_1) | instskip(NEXT) | instid1(VALU_DEP_1)
	v_and_b32_e32 v18, 0x80000000, v18
	v_lshl_add_u32 v18, v19, 23, v18
	s_delay_alu instid0(VALU_DEP_1) | instskip(NEXT) | instid1(VALU_DEP_1)
	v_lshl_or_b32 v0, v0, 21, v18
                                        ; implicit-def: $vgpr18
	v_add_nc_u32_e32 v19, 0x38000000, v0
                                        ; implicit-def: $vgpr0
.LBB4_5084:                             ;   in Loop: Header=BB4_4405 Depth=2
	s_and_not1_saveexec_b32 s14, s14
; %bb.5085:                             ;   in Loop: Header=BB4_4405 Depth=2
	v_bfe_i32 v18, v18, 0, 8
	s_delay_alu instid0(VALU_DEP_1) | instskip(SKIP_2) | instid1(VALU_DEP_2)
	v_cmp_lt_i16_e32 vcc_lo, -1, v18
	v_cndmask_b32_e32 v18, 0xff800000, v109, vcc_lo
	v_cmp_eq_u32_e32 vcc_lo, 0, v0
	v_cndmask_b32_e32 v19, 0x7f800001, v18, vcc_lo
; %bb.5086:                             ;   in Loop: Header=BB4_4405 Depth=2
	s_or_b32 exec_lo, exec_lo, s14
.LBB4_5087:                             ;   in Loop: Header=BB4_4405 Depth=2
	s_delay_alu instid0(SALU_CYCLE_1)
	s_or_b32 exec_lo, exec_lo, s13
.LBB4_5088:                             ;   in Loop: Header=BB4_4405 Depth=2
	s_delay_alu instid0(SALU_CYCLE_1) | instskip(NEXT) | instid1(VALU_DEP_1)
	s_or_b32 exec_lo, exec_lo, s7
	v_max_num_f32_e32 v0, v19, v19
	v_max_num_f32_e32 v3, v3, v3
	s_delay_alu instid0(VALU_DEP_1)
	v_min_num_f32_e32 v3, v3, v0
.LBB4_5089:                             ;   in Loop: Header=BB4_4405 Depth=2
	s_delay_alu instid0(VALU_DEP_1) | instskip(SKIP_3) | instid1(VALU_DEP_2)
	v_and_b32_e32 v18, 0x7f800000, v3
	v_dual_mov_b32 v19, v53 :: v_dual_lshrrev_b32 v0, 24, v3
	v_and_b32_e32 v52, 0x7fffff, v3
                                        ; implicit-def: $vgpr42
	s_mov_b32 s7, exec_lo
	v_cmpx_ne_u64_e32 0x7f800000, v[18:19]
	s_xor_b32 s13, exec_lo, s7
	s_cbranch_execz .LBB4_5103
; %bb.5090:                             ;   in Loop: Header=BB4_4405 Depth=2
	v_and_b32_e32 v18, 0x7fffffff, v3
	v_mov_b32_e32 v19, v53
	v_and_b32_e32 v0, 0x80, v0
                                        ; implicit-def: $vgpr42
	s_mov_b32 s7, exec_lo
	s_delay_alu instid0(VALU_DEP_2)
	v_cmpx_gt_u64_e32 0x47600001, v[18:19]
	s_xor_b32 s14, exec_lo, s7
	s_cbranch_execz .LBB4_5100
; %bb.5091:                             ;   in Loop: Header=BB4_4405 Depth=2
	v_mov_b32_e32 v42, 0
	s_mov_b32 s41, exec_lo
	v_cmpx_ne_u32_e32 0, v3
	s_cbranch_execz .LBB4_5099
; %bb.5092:                             ;   in Loop: Header=BB4_4405 Depth=2
	v_bfe_u32 v3, v3, 23, 8
	v_or_b32_e32 v22, 0x800000, v52
	s_delay_alu instid0(VALU_DEP_2) | instskip(SKIP_1) | instid1(VALU_DEP_2)
	v_sub_nc_u32_e32 v18, 0x71, v3
	v_cmp_gt_u32_e32 vcc_lo, 0x72, v3
	v_cndmask_b32_e32 v18, 0, v18, vcc_lo
	v_cmp_eq_u32_e32 vcc_lo, 0, v3
	v_cndmask_b32_e32 v52, v22, v52, vcc_lo
	s_delay_alu instid0(VALU_DEP_3) | instskip(NEXT) | instid1(VALU_DEP_1)
	v_cndmask_b32_e64 v102, v18, 0x70, vcc_lo
	v_dual_add_nc_u32 v18, 21, v102 :: v_dual_add_nc_u32 v23, 20, v102
	s_delay_alu instid0(VALU_DEP_1) | instskip(NEXT) | instid1(VALU_DEP_2)
	v_lshlrev_b64_e64 v[18:19], v18, -1
	v_lshlrev_b64_e64 v[22:23], v23, 1
	s_delay_alu instid0(VALU_DEP_2) | instskip(NEXT) | instid1(VALU_DEP_3)
	v_bfi_b32 v43, v19, 0, 0
	v_bfi_b32 v42, v18, 0, v52
	v_lshrrev_b64 v[18:19], v102, v[52:53]
	s_delay_alu instid0(VALU_DEP_2) | instskip(NEXT) | instid1(VALU_DEP_2)
	v_cmp_eq_u64_e64 s7, v[42:43], v[22:23]
	v_mov_b64_e32 v[22:23], v[18:19]
	s_and_saveexec_b32 s42, s7
; %bb.5093:                             ;   in Loop: Header=BB4_4405 Depth=2
	v_bfe_u32 v52, v18, 21, 1
	s_delay_alu instid0(VALU_DEP_1) | instskip(NEXT) | instid1(VALU_DEP_1)
	v_add_nc_u64_e32 v[22:23], v[18:19], v[52:53]
	v_add_nc_u64_e32 v[22:23], -1, v[22:23]
; %bb.5094:                             ;   in Loop: Header=BB4_4405 Depth=2
	s_or_b32 exec_lo, exec_lo, s42
	v_add_nc_u32_e32 v3, 0xffffff81, v3
	v_lshrrev_b32_e32 v19, 23, v18
	s_mov_b32 s7, exec_lo
	s_delay_alu instid0(VALU_DEP_2) | instskip(NEXT) | instid1(VALU_DEP_1)
	v_cndmask_b32_e64 v3, v3, 0xffffff82, vcc_lo
	v_add3_u32 v23, v102, v3, v19
	v_and_b32_e32 v3, 0x1fffff, v22
	s_delay_alu instid0(VALU_DEP_1) | instskip(NEXT) | instid1(VALU_DEP_1)
	v_dual_add_nc_u32 v22, 14, v23 :: v_dual_add_nc_u32 v52, v3, v18
                                        ; implicit-def: $vgpr18_vgpr19
                                        ; implicit-def: $vgpr3
	v_cmpx_ne_u32_e32 0, v22
	s_xor_b32 s7, exec_lo, s7
; %bb.5095:                             ;   in Loop: Header=BB4_4405 Depth=2
	s_delay_alu instid0(VALU_DEP_2) | instskip(SKIP_2) | instid1(VALU_DEP_2)
	v_cmp_lt_u64_e32 vcc_lo, 0xffffff, v[52:53]
	v_add_nc_u32_e32 v3, 15, v23
	v_cndmask_b32_e64 v18, 0, 1, vcc_lo
	v_cndmask_b32_e32 v3, v22, v3, vcc_lo
	s_delay_alu instid0(VALU_DEP_2)
	v_lshrrev_b64 v[18:19], v18, v[52:53]
; %bb.5096:                             ;   in Loop: Header=BB4_4405 Depth=2
	s_and_not1_saveexec_b32 s7, s7
; %bb.5097:                             ;   in Loop: Header=BB4_4405 Depth=2
	v_mov_b64_e32 v[18:19], v[52:53]
	v_bfe_u32 v3, v52, 23, 1
; %bb.5098:                             ;   in Loop: Header=BB4_4405 Depth=2
	s_or_b32 exec_lo, exec_lo, s7
	s_delay_alu instid0(VALU_DEP_2) | instskip(NEXT) | instid1(VALU_DEP_2)
	v_lshrrev_b64 v[18:19], 21, v[18:19]
	v_cmp_gt_i32_e32 vcc_lo, 32, v3
	v_min_i32_e32 v22, 31, v3
	v_cmp_eq_u32_e64 s7, 0, v3
	s_delay_alu instid0(VALU_DEP_4) | instskip(NEXT) | instid1(VALU_DEP_3)
	v_cndmask_b32_e32 v18, 3, v18, vcc_lo
	v_dual_cndmask_b32 v19, 0, v19 :: v_dual_lshlrev_b32 v22, 2, v22
	s_delay_alu instid0(VALU_DEP_1) | instskip(NEXT) | instid1(VALU_DEP_2)
	v_and_b32_e32 v22, 0xfc, v22
	v_cmp_eq_u64_e32 vcc_lo, 0, v[18:19]
	s_delay_alu instid0(VALU_DEP_2)
	v_and_or_b32 v3, v18, 3, v22
	s_and_b32 s7, s7, vcc_lo
	s_delay_alu instid0(VALU_DEP_1) | instid1(SALU_CYCLE_1)
	v_cndmask_b32_e64 v3, v3, 0, s7
	s_delay_alu instid0(VALU_DEP_1)
	v_or_b32_e32 v42, v3, v0
.LBB4_5099:                             ;   in Loop: Header=BB4_4405 Depth=2
	s_or_b32 exec_lo, exec_lo, s41
                                        ; implicit-def: $vgpr0
.LBB4_5100:                             ;   in Loop: Header=BB4_4405 Depth=2
	s_and_not1_saveexec_b32 s7, s14
; %bb.5101:                             ;   in Loop: Header=BB4_4405 Depth=2
	v_or_b32_e32 v42, 0x7b, v0
; %bb.5102:                             ;   in Loop: Header=BB4_4405 Depth=2
	s_or_b32 exec_lo, exec_lo, s7
                                        ; implicit-def: $vgpr3
                                        ; implicit-def: $vgpr0
.LBB4_5103:                             ;   in Loop: Header=BB4_4405 Depth=2
	s_and_not1_saveexec_b32 s7, s13
	s_cbranch_execz .LBB4_5109
; %bb.5104:                             ;   in Loop: Header=BB4_4405 Depth=2
	s_mov_b32 s13, exec_lo
                                        ; implicit-def: $vgpr42
	v_cmpx_ne_u64_e32 0, v[52:53]
	s_xor_b32 s13, exec_lo, s13
; %bb.5105:                             ;   in Loop: Header=BB4_4405 Depth=2
	v_or_b32_e32 v42, 0x7f, v0
                                        ; implicit-def: $vgpr3
; %bb.5106:                             ;   in Loop: Header=BB4_4405 Depth=2
	s_and_not1_saveexec_b32 s13, s13
; %bb.5107:                             ;   in Loop: Header=BB4_4405 Depth=2
	v_cmp_lt_i32_e32 vcc_lo, -1, v3
	v_cndmask_b32_e32 v42, 0xfc, v110, vcc_lo
; %bb.5108:                             ;   in Loop: Header=BB4_4405 Depth=2
	s_or_b32 exec_lo, exec_lo, s13
.LBB4_5109:                             ;   in Loop: Header=BB4_4405 Depth=2
	s_delay_alu instid0(SALU_CYCLE_1)
	s_or_b32 exec_lo, exec_lo, s7
	v_lshrrev_b32_e32 v22, 24, v24
	v_lshrrev_b32_e32 v18, 24, v20
	v_cmp_lt_u32_e64 s7, 0xffffff, v24
	s_and_b32 vcc_lo, exec_lo, s12
	s_mov_b32 s13, -1
                                        ; implicit-def: $vgpr3
	s_cbranch_vccz .LBB4_5131
; %bb.5110:                             ;   in Loop: Header=BB4_4405 Depth=2
	v_dual_mov_b32 v3, 0 :: v_dual_mov_b32 v0, 0
	s_and_saveexec_b32 s13, s7
	s_cbranch_execz .LBB4_5120
; %bb.5111:                             ;   in Loop: Header=BB4_4405 Depth=2
	v_bfrev_b32_e32 v0, 1
	s_mov_b32 s14, exec_lo
	v_cmpx_ne_u32_e32 0x80, v22
	s_cbranch_execz .LBB4_5119
; %bb.5112:                             ;   in Loop: Header=BB4_4405 Depth=2
	v_and_b32_e32 v0, 0x7c000000, v24
	v_bfe_u32 v19, v24, 24, 2
	s_delay_alu instid0(VALU_DEP_2) | instskip(SKIP_1) | instid1(SALU_CYCLE_1)
	v_cmp_ne_u32_e32 vcc_lo, 0x7c000000, v0
                                        ; implicit-def: $vgpr0
	s_and_saveexec_b32 s41, vcc_lo
	s_xor_b32 s41, exec_lo, s41
	s_cbranch_execz .LBB4_5116
; %bb.5113:                             ;   in Loop: Header=BB4_4405 Depth=2
	v_bfe_u32 v0, v24, 26, 5
	s_mov_b32 s42, exec_lo
	s_delay_alu instid0(VALU_DEP_1)
	v_cmpx_eq_u32_e32 0, v0
; %bb.5114:                             ;   in Loop: Header=BB4_4405 Depth=2
	v_clz_i32_u32_e32 v0, v19
	s_delay_alu instid0(VALU_DEP_1) | instskip(NEXT) | instid1(VALU_DEP_1)
	v_min_u32_e32 v0, 32, v0
	v_subrev_nc_u32_e32 v19, 29, v0
	s_delay_alu instid0(VALU_DEP_1) | instskip(NEXT) | instid1(VALU_DEP_1)
	v_lshlrev_b64_e32 v[102:103], v19, v[22:23]
	v_dual_sub_nc_u32 v0, 30, v0 :: v_dual_bitop2_b32 v19, 3, v102 bitop3:0x40
; %bb.5115:                             ;   in Loop: Header=BB4_4405 Depth=2
	s_or_b32 exec_lo, exec_lo, s42
	v_and_b32_e32 v23, 0x80000000, v24
	s_delay_alu instid0(VALU_DEP_1) | instskip(NEXT) | instid1(VALU_DEP_1)
	v_lshl_add_u32 v0, v0, 23, v23
	v_lshl_or_b32 v0, v19, 21, v0
                                        ; implicit-def: $vgpr19
	s_delay_alu instid0(VALU_DEP_1)
	v_add_nc_u32_e32 v0, 0x38000000, v0
.LBB4_5116:                             ;   in Loop: Header=BB4_4405 Depth=2
	s_and_not1_saveexec_b32 s41, s41
; %bb.5117:                             ;   in Loop: Header=BB4_4405 Depth=2
	v_cmp_lt_i32_e32 vcc_lo, -1, v24
	v_cndmask_b32_e32 v0, 0xff800000, v109, vcc_lo
	v_cmp_eq_u32_e32 vcc_lo, 0, v19
	s_delay_alu instid0(VALU_DEP_2)
	v_cndmask_b32_e32 v0, 0x7f800001, v0, vcc_lo
; %bb.5118:                             ;   in Loop: Header=BB4_4405 Depth=2
	s_or_b32 exec_lo, exec_lo, s41
.LBB4_5119:                             ;   in Loop: Header=BB4_4405 Depth=2
	s_delay_alu instid0(SALU_CYCLE_1)
	s_or_b32 exec_lo, exec_lo, s14
.LBB4_5120:                             ;   in Loop: Header=BB4_4405 Depth=2
	s_delay_alu instid0(SALU_CYCLE_1) | instskip(NEXT) | instid1(SALU_CYCLE_1)
	s_or_b32 exec_lo, exec_lo, s13
	s_mov_b32 s13, exec_lo
	v_cmpx_lt_u32_e32 0xffffff, v20
	s_cbranch_execz .LBB4_5130
; %bb.5121:                             ;   in Loop: Header=BB4_4405 Depth=2
	v_bfrev_b32_e32 v3, 1
	s_mov_b32 s14, exec_lo
	v_cmpx_ne_u32_e32 0x80, v18
	s_cbranch_execz .LBB4_5129
; %bb.5122:                             ;   in Loop: Header=BB4_4405 Depth=2
	v_and_b32_e32 v3, 0x7c000000, v20
	v_bfe_u32 v19, v20, 24, 2
	s_delay_alu instid0(VALU_DEP_2) | instskip(SKIP_1) | instid1(SALU_CYCLE_1)
	v_cmp_ne_u32_e32 vcc_lo, 0x7c000000, v3
                                        ; implicit-def: $vgpr3
	s_and_saveexec_b32 s41, vcc_lo
	s_xor_b32 s41, exec_lo, s41
	s_cbranch_execz .LBB4_5126
; %bb.5123:                             ;   in Loop: Header=BB4_4405 Depth=2
	v_bfe_u32 v3, v20, 26, 5
	s_mov_b32 s42, exec_lo
	s_delay_alu instid0(VALU_DEP_1)
	v_cmpx_eq_u32_e32 0, v3
; %bb.5124:                             ;   in Loop: Header=BB4_4405 Depth=2
	v_clz_i32_u32_e32 v3, v19
	s_delay_alu instid0(VALU_DEP_1) | instskip(NEXT) | instid1(VALU_DEP_1)
	v_min_u32_e32 v3, 32, v3
	v_subrev_nc_u32_e32 v19, 29, v3
	s_delay_alu instid0(VALU_DEP_1) | instskip(NEXT) | instid1(VALU_DEP_1)
	v_lshlrev_b64_e32 v[102:103], v19, v[18:19]
	v_dual_sub_nc_u32 v3, 30, v3 :: v_dual_bitop2_b32 v19, 3, v102 bitop3:0x40
; %bb.5125:                             ;   in Loop: Header=BB4_4405 Depth=2
	s_or_b32 exec_lo, exec_lo, s42
	v_and_b32_e32 v23, 0x80000000, v20
	s_delay_alu instid0(VALU_DEP_1) | instskip(NEXT) | instid1(VALU_DEP_1)
	v_lshl_add_u32 v3, v3, 23, v23
	v_lshl_or_b32 v3, v19, 21, v3
                                        ; implicit-def: $vgpr19
	s_delay_alu instid0(VALU_DEP_1)
	v_add_nc_u32_e32 v3, 0x38000000, v3
.LBB4_5126:                             ;   in Loop: Header=BB4_4405 Depth=2
	s_and_not1_saveexec_b32 s41, s41
; %bb.5127:                             ;   in Loop: Header=BB4_4405 Depth=2
	v_cmp_lt_i32_e32 vcc_lo, -1, v20
	v_cndmask_b32_e32 v3, 0xff800000, v109, vcc_lo
	v_cmp_eq_u32_e32 vcc_lo, 0, v19
	s_delay_alu instid0(VALU_DEP_2)
	v_cndmask_b32_e32 v3, 0x7f800001, v3, vcc_lo
; %bb.5128:                             ;   in Loop: Header=BB4_4405 Depth=2
	s_or_b32 exec_lo, exec_lo, s41
.LBB4_5129:                             ;   in Loop: Header=BB4_4405 Depth=2
	s_delay_alu instid0(SALU_CYCLE_1)
	s_or_b32 exec_lo, exec_lo, s14
.LBB4_5130:                             ;   in Loop: Header=BB4_4405 Depth=2
	s_delay_alu instid0(SALU_CYCLE_1) | instskip(NEXT) | instid1(VALU_DEP_1)
	s_or_b32 exec_lo, exec_lo, s13
	v_dual_max_num_f32 v3, v3, v3 :: v_dual_max_num_f32 v0, v0, v0
	s_mov_b32 s13, 0
	s_delay_alu instid0(VALU_DEP_1)
	v_max_num_f32_e32 v3, v0, v3
.LBB4_5131:                             ;   in Loop: Header=BB4_4405 Depth=2
	s_and_b32 vcc_lo, exec_lo, s13
	s_cbranch_vccz .LBB4_5153
; %bb.5132:                             ;   in Loop: Header=BB4_4405 Depth=2
	v_dual_mov_b32 v3, 0 :: v_dual_mov_b32 v0, 0
	s_and_saveexec_b32 s13, s7
	s_cbranch_execz .LBB4_5142
; %bb.5133:                             ;   in Loop: Header=BB4_4405 Depth=2
	v_bfrev_b32_e32 v0, 1
	s_mov_b32 s7, exec_lo
	v_cmpx_ne_u32_e32 0x80, v22
	s_cbranch_execz .LBB4_5141
; %bb.5134:                             ;   in Loop: Header=BB4_4405 Depth=2
	v_and_b32_e32 v0, 0x7c000000, v24
	v_bfe_u32 v19, v24, 24, 2
	s_delay_alu instid0(VALU_DEP_2) | instskip(SKIP_1) | instid1(SALU_CYCLE_1)
	v_cmp_ne_u32_e32 vcc_lo, 0x7c000000, v0
                                        ; implicit-def: $vgpr0
	s_and_saveexec_b32 s14, vcc_lo
	s_xor_b32 s14, exec_lo, s14
	s_cbranch_execz .LBB4_5138
; %bb.5135:                             ;   in Loop: Header=BB4_4405 Depth=2
	v_bfe_u32 v0, v24, 26, 5
	s_mov_b32 s41, exec_lo
	s_delay_alu instid0(VALU_DEP_1)
	v_cmpx_eq_u32_e32 0, v0
; %bb.5136:                             ;   in Loop: Header=BB4_4405 Depth=2
	v_clz_i32_u32_e32 v0, v19
	s_delay_alu instid0(VALU_DEP_1) | instskip(NEXT) | instid1(VALU_DEP_1)
	v_min_u32_e32 v0, 32, v0
	v_subrev_nc_u32_e32 v19, 29, v0
	s_delay_alu instid0(VALU_DEP_1) | instskip(NEXT) | instid1(VALU_DEP_1)
	v_lshlrev_b64_e32 v[22:23], v19, v[22:23]
	v_dual_sub_nc_u32 v0, 30, v0 :: v_dual_bitop2_b32 v19, 3, v22 bitop3:0x40
; %bb.5137:                             ;   in Loop: Header=BB4_4405 Depth=2
	s_or_b32 exec_lo, exec_lo, s41
	v_and_b32_e32 v22, 0x80000000, v24
	s_delay_alu instid0(VALU_DEP_1) | instskip(NEXT) | instid1(VALU_DEP_1)
	v_lshl_add_u32 v0, v0, 23, v22
	v_lshl_or_b32 v0, v19, 21, v0
                                        ; implicit-def: $vgpr19
	s_delay_alu instid0(VALU_DEP_1)
	v_add_nc_u32_e32 v0, 0x38000000, v0
.LBB4_5138:                             ;   in Loop: Header=BB4_4405 Depth=2
	s_and_not1_saveexec_b32 s14, s14
; %bb.5139:                             ;   in Loop: Header=BB4_4405 Depth=2
	v_cmp_lt_i32_e32 vcc_lo, -1, v24
	v_cndmask_b32_e32 v0, 0xff800000, v109, vcc_lo
	v_cmp_eq_u32_e32 vcc_lo, 0, v19
	s_delay_alu instid0(VALU_DEP_2)
	v_cndmask_b32_e32 v0, 0x7f800001, v0, vcc_lo
; %bb.5140:                             ;   in Loop: Header=BB4_4405 Depth=2
	s_or_b32 exec_lo, exec_lo, s14
.LBB4_5141:                             ;   in Loop: Header=BB4_4405 Depth=2
	s_delay_alu instid0(SALU_CYCLE_1)
	s_or_b32 exec_lo, exec_lo, s7
.LBB4_5142:                             ;   in Loop: Header=BB4_4405 Depth=2
	s_delay_alu instid0(SALU_CYCLE_1) | instskip(NEXT) | instid1(SALU_CYCLE_1)
	s_or_b32 exec_lo, exec_lo, s13
	s_mov_b32 s7, exec_lo
	v_cmpx_lt_u32_e32 0xffffff, v20
	s_cbranch_execz .LBB4_5152
; %bb.5143:                             ;   in Loop: Header=BB4_4405 Depth=2
	v_bfrev_b32_e32 v3, 1
	s_mov_b32 s13, exec_lo
	v_cmpx_ne_u32_e32 0x80, v18
	s_cbranch_execz .LBB4_5151
; %bb.5144:                             ;   in Loop: Header=BB4_4405 Depth=2
	v_and_b32_e32 v3, 0x7c000000, v20
	v_bfe_u32 v19, v20, 24, 2
	s_delay_alu instid0(VALU_DEP_2) | instskip(SKIP_1) | instid1(SALU_CYCLE_1)
	v_cmp_ne_u32_e32 vcc_lo, 0x7c000000, v3
                                        ; implicit-def: $vgpr3
	s_and_saveexec_b32 s14, vcc_lo
	s_xor_b32 s14, exec_lo, s14
	s_cbranch_execz .LBB4_5148
; %bb.5145:                             ;   in Loop: Header=BB4_4405 Depth=2
	v_bfe_u32 v3, v20, 26, 5
	s_mov_b32 s41, exec_lo
	s_delay_alu instid0(VALU_DEP_1)
	v_cmpx_eq_u32_e32 0, v3
; %bb.5146:                             ;   in Loop: Header=BB4_4405 Depth=2
	v_clz_i32_u32_e32 v3, v19
	s_delay_alu instid0(VALU_DEP_1) | instskip(NEXT) | instid1(VALU_DEP_1)
	v_min_u32_e32 v3, 32, v3
	v_subrev_nc_u32_e32 v19, 29, v3
	s_delay_alu instid0(VALU_DEP_1) | instskip(NEXT) | instid1(VALU_DEP_1)
	v_lshlrev_b64_e32 v[18:19], v19, v[18:19]
	v_dual_sub_nc_u32 v3, 30, v3 :: v_dual_bitop2_b32 v19, 3, v18 bitop3:0x40
; %bb.5147:                             ;   in Loop: Header=BB4_4405 Depth=2
	s_or_b32 exec_lo, exec_lo, s41
	v_and_b32_e32 v18, 0x80000000, v20
	s_delay_alu instid0(VALU_DEP_1) | instskip(NEXT) | instid1(VALU_DEP_1)
	v_lshl_add_u32 v3, v3, 23, v18
	v_lshl_or_b32 v3, v19, 21, v3
                                        ; implicit-def: $vgpr19
	s_delay_alu instid0(VALU_DEP_1)
	v_add_nc_u32_e32 v3, 0x38000000, v3
.LBB4_5148:                             ;   in Loop: Header=BB4_4405 Depth=2
	s_and_not1_saveexec_b32 s14, s14
; %bb.5149:                             ;   in Loop: Header=BB4_4405 Depth=2
	v_cmp_lt_i32_e32 vcc_lo, -1, v20
	v_cndmask_b32_e32 v3, 0xff800000, v109, vcc_lo
	v_cmp_eq_u32_e32 vcc_lo, 0, v19
	s_delay_alu instid0(VALU_DEP_2)
	v_cndmask_b32_e32 v3, 0x7f800001, v3, vcc_lo
; %bb.5150:                             ;   in Loop: Header=BB4_4405 Depth=2
	s_or_b32 exec_lo, exec_lo, s14
.LBB4_5151:                             ;   in Loop: Header=BB4_4405 Depth=2
	s_delay_alu instid0(SALU_CYCLE_1)
	s_or_b32 exec_lo, exec_lo, s13
.LBB4_5152:                             ;   in Loop: Header=BB4_4405 Depth=2
	s_delay_alu instid0(SALU_CYCLE_1) | instskip(NEXT) | instid1(VALU_DEP_1)
	s_or_b32 exec_lo, exec_lo, s7
	v_dual_max_num_f32 v3, v3, v3 :: v_dual_max_num_f32 v0, v0, v0
	s_delay_alu instid0(VALU_DEP_1)
	v_min_num_f32_e32 v3, v0, v3
.LBB4_5153:                             ;   in Loop: Header=BB4_4405 Depth=2
	s_delay_alu instid0(VALU_DEP_1) | instskip(SKIP_3) | instid1(VALU_DEP_2)
	v_and_b32_e32 v18, 0x7f800000, v3
	v_dual_mov_b32 v19, v53 :: v_dual_lshrrev_b32 v0, 24, v3
	v_and_b32_e32 v52, 0x7fffff, v3
                                        ; implicit-def: $vgpr43
	s_mov_b32 s7, exec_lo
	v_cmpx_ne_u64_e32 0x7f800000, v[18:19]
	s_xor_b32 s13, exec_lo, s7
	s_cbranch_execz .LBB4_5167
; %bb.5154:                             ;   in Loop: Header=BB4_4405 Depth=2
	v_and_b32_e32 v18, 0x7fffffff, v3
	v_mov_b32_e32 v19, v53
	v_and_b32_e32 v0, 0x80, v0
                                        ; implicit-def: $vgpr43
	s_mov_b32 s7, exec_lo
	s_delay_alu instid0(VALU_DEP_2)
	v_cmpx_gt_u64_e32 0x47600001, v[18:19]
	s_xor_b32 s14, exec_lo, s7
	s_cbranch_execz .LBB4_5164
; %bb.5155:                             ;   in Loop: Header=BB4_4405 Depth=2
	v_mov_b32_e32 v43, 0
	s_mov_b32 s41, exec_lo
	v_cmpx_ne_u32_e32 0, v3
	s_cbranch_execz .LBB4_5163
; %bb.5156:                             ;   in Loop: Header=BB4_4405 Depth=2
	v_bfe_u32 v3, v3, 23, 8
	v_or_b32_e32 v22, 0x800000, v52
	s_delay_alu instid0(VALU_DEP_2) | instskip(SKIP_1) | instid1(VALU_DEP_2)
	v_sub_nc_u32_e32 v18, 0x71, v3
	v_cmp_gt_u32_e32 vcc_lo, 0x72, v3
	v_cndmask_b32_e32 v18, 0, v18, vcc_lo
	v_cmp_eq_u32_e32 vcc_lo, 0, v3
	v_cndmask_b32_e32 v52, v22, v52, vcc_lo
	s_delay_alu instid0(VALU_DEP_3) | instskip(NEXT) | instid1(VALU_DEP_1)
	v_cndmask_b32_e64 v102, v18, 0x70, vcc_lo
	v_dual_add_nc_u32 v18, 21, v102 :: v_dual_add_nc_u32 v23, 20, v102
	s_delay_alu instid0(VALU_DEP_1) | instskip(NEXT) | instid1(VALU_DEP_2)
	v_lshlrev_b64_e64 v[18:19], v18, -1
	v_lshlrev_b64_e64 v[22:23], v23, 1
	s_delay_alu instid0(VALU_DEP_2) | instskip(NEXT) | instid1(VALU_DEP_3)
	v_bfi_b32 v45, v19, 0, 0
	v_bfi_b32 v44, v18, 0, v52
	v_lshrrev_b64 v[18:19], v102, v[52:53]
	s_delay_alu instid0(VALU_DEP_2) | instskip(NEXT) | instid1(VALU_DEP_2)
	v_cmp_eq_u64_e64 s7, v[44:45], v[22:23]
	v_mov_b64_e32 v[22:23], v[18:19]
	s_and_saveexec_b32 s42, s7
; %bb.5157:                             ;   in Loop: Header=BB4_4405 Depth=2
	v_bfe_u32 v52, v18, 21, 1
	s_delay_alu instid0(VALU_DEP_1) | instskip(NEXT) | instid1(VALU_DEP_1)
	v_add_nc_u64_e32 v[22:23], v[18:19], v[52:53]
	v_add_nc_u64_e32 v[22:23], -1, v[22:23]
; %bb.5158:                             ;   in Loop: Header=BB4_4405 Depth=2
	s_or_b32 exec_lo, exec_lo, s42
	v_add_nc_u32_e32 v3, 0xffffff81, v3
	v_lshrrev_b32_e32 v19, 23, v18
	s_mov_b32 s7, exec_lo
	s_delay_alu instid0(VALU_DEP_2) | instskip(NEXT) | instid1(VALU_DEP_1)
	v_cndmask_b32_e64 v3, v3, 0xffffff82, vcc_lo
	v_add3_u32 v23, v102, v3, v19
	v_and_b32_e32 v3, 0x1fffff, v22
	s_delay_alu instid0(VALU_DEP_1) | instskip(NEXT) | instid1(VALU_DEP_1)
	v_dual_add_nc_u32 v22, 14, v23 :: v_dual_add_nc_u32 v52, v3, v18
                                        ; implicit-def: $vgpr18_vgpr19
                                        ; implicit-def: $vgpr3
	v_cmpx_ne_u32_e32 0, v22
	s_xor_b32 s7, exec_lo, s7
; %bb.5159:                             ;   in Loop: Header=BB4_4405 Depth=2
	s_delay_alu instid0(VALU_DEP_2) | instskip(SKIP_2) | instid1(VALU_DEP_2)
	v_cmp_lt_u64_e32 vcc_lo, 0xffffff, v[52:53]
	v_add_nc_u32_e32 v3, 15, v23
	v_cndmask_b32_e64 v18, 0, 1, vcc_lo
	v_cndmask_b32_e32 v3, v22, v3, vcc_lo
	s_delay_alu instid0(VALU_DEP_2)
	v_lshrrev_b64 v[18:19], v18, v[52:53]
; %bb.5160:                             ;   in Loop: Header=BB4_4405 Depth=2
	s_and_not1_saveexec_b32 s7, s7
; %bb.5161:                             ;   in Loop: Header=BB4_4405 Depth=2
	v_mov_b64_e32 v[18:19], v[52:53]
	v_bfe_u32 v3, v52, 23, 1
; %bb.5162:                             ;   in Loop: Header=BB4_4405 Depth=2
	s_or_b32 exec_lo, exec_lo, s7
	s_delay_alu instid0(VALU_DEP_2) | instskip(NEXT) | instid1(VALU_DEP_2)
	v_lshrrev_b64 v[18:19], 21, v[18:19]
	v_cmp_gt_i32_e32 vcc_lo, 32, v3
	v_min_i32_e32 v22, 31, v3
	v_cmp_eq_u32_e64 s7, 0, v3
	s_delay_alu instid0(VALU_DEP_4) | instskip(NEXT) | instid1(VALU_DEP_3)
	v_cndmask_b32_e32 v18, 3, v18, vcc_lo
	v_dual_cndmask_b32 v19, 0, v19 :: v_dual_lshlrev_b32 v22, 2, v22
	s_delay_alu instid0(VALU_DEP_1) | instskip(NEXT) | instid1(VALU_DEP_2)
	v_and_b32_e32 v22, 0xfc, v22
	v_cmp_eq_u64_e32 vcc_lo, 0, v[18:19]
	s_delay_alu instid0(VALU_DEP_2)
	v_and_or_b32 v3, v18, 3, v22
	s_and_b32 s7, s7, vcc_lo
	s_delay_alu instid0(VALU_DEP_1) | instid1(SALU_CYCLE_1)
	v_cndmask_b32_e64 v3, v3, 0, s7
	s_delay_alu instid0(VALU_DEP_1)
	v_or_b32_e32 v43, v3, v0
.LBB4_5163:                             ;   in Loop: Header=BB4_4405 Depth=2
	s_or_b32 exec_lo, exec_lo, s41
                                        ; implicit-def: $vgpr0
.LBB4_5164:                             ;   in Loop: Header=BB4_4405 Depth=2
	s_and_not1_saveexec_b32 s7, s14
; %bb.5165:                             ;   in Loop: Header=BB4_4405 Depth=2
	v_or_b32_e32 v43, 0x7b, v0
; %bb.5166:                             ;   in Loop: Header=BB4_4405 Depth=2
	s_or_b32 exec_lo, exec_lo, s7
                                        ; implicit-def: $vgpr3
                                        ; implicit-def: $vgpr0
.LBB4_5167:                             ;   in Loop: Header=BB4_4405 Depth=2
	s_and_not1_saveexec_b32 s7, s13
	s_cbranch_execz .LBB4_5173
; %bb.5168:                             ;   in Loop: Header=BB4_4405 Depth=2
	s_mov_b32 s13, exec_lo
                                        ; implicit-def: $vgpr43
	v_cmpx_ne_u64_e32 0, v[52:53]
	s_xor_b32 s13, exec_lo, s13
; %bb.5169:                             ;   in Loop: Header=BB4_4405 Depth=2
	v_or_b32_e32 v43, 0x7f, v0
                                        ; implicit-def: $vgpr3
; %bb.5170:                             ;   in Loop: Header=BB4_4405 Depth=2
	s_and_not1_saveexec_b32 s13, s13
; %bb.5171:                             ;   in Loop: Header=BB4_4405 Depth=2
	v_cmp_lt_i32_e32 vcc_lo, -1, v3
	v_cndmask_b32_e32 v43, 0xfc, v110, vcc_lo
; %bb.5172:                             ;   in Loop: Header=BB4_4405 Depth=2
	s_or_b32 exec_lo, exec_lo, s13
.LBB4_5173:                             ;   in Loop: Header=BB4_4405 Depth=2
	s_delay_alu instid0(SALU_CYCLE_1) | instskip(SKIP_4) | instid1(VALU_DEP_3)
	s_or_b32 exec_lo, exec_lo, s7
	v_and_b32_e32 v0, 0xff, v25
	v_dual_mov_b32 v52, v25 :: v_dual_mov_b32 v18, v21
	v_mov_b32_e32 v19, v53
	s_and_b32 vcc_lo, exec_lo, s12
	v_cmp_ne_u16_e64 s7, 0, v0
	s_mov_b32 s13, -1
                                        ; implicit-def: $vgpr3
	s_cbranch_vccz .LBB4_5195
; %bb.5174:                             ;   in Loop: Header=BB4_4405 Depth=2
	v_dual_mov_b32 v22, 0 :: v_dual_mov_b32 v3, 0
	s_and_saveexec_b32 s13, s7
	s_cbranch_execz .LBB4_5184
; %bb.5175:                             ;   in Loop: Header=BB4_4405 Depth=2
	v_bfrev_b32_e32 v3, 1
	s_mov_b32 s14, exec_lo
	v_cmpx_ne_u16_e32 0x80, v0
	s_cbranch_execz .LBB4_5183
; %bb.5176:                             ;   in Loop: Header=BB4_4405 Depth=2
	v_and_b32_e32 v3, 0x7c, v25
	v_and_b32_e32 v23, 3, v25
	s_delay_alu instid0(VALU_DEP_2) | instskip(SKIP_1) | instid1(SALU_CYCLE_1)
	v_cmp_ne_u32_e32 vcc_lo, 0x7c, v3
                                        ; implicit-def: $vgpr3
	s_and_saveexec_b32 s41, vcc_lo
	s_xor_b32 s41, exec_lo, s41
	s_cbranch_execz .LBB4_5180
; %bb.5177:                             ;   in Loop: Header=BB4_4405 Depth=2
	v_bfe_u32 v3, v25, 2, 5
	s_mov_b32 s42, exec_lo
	s_delay_alu instid0(VALU_DEP_1)
	v_cmpx_eq_u32_e32 0, v3
; %bb.5178:                             ;   in Loop: Header=BB4_4405 Depth=2
	v_clz_i32_u32_e32 v3, v23
	s_delay_alu instid0(VALU_DEP_1) | instskip(NEXT) | instid1(VALU_DEP_1)
	v_min_u32_e32 v3, 32, v3
	v_subrev_nc_u32_e32 v23, 29, v3
	s_delay_alu instid0(VALU_DEP_1) | instskip(NEXT) | instid1(VALU_DEP_1)
	v_lshlrev_b64_e32 v[102:103], v23, v[52:53]
	v_dual_sub_nc_u32 v3, 30, v3 :: v_dual_bitop2_b32 v23, 3, v102 bitop3:0x40
; %bb.5179:                             ;   in Loop: Header=BB4_4405 Depth=2
	s_or_b32 exec_lo, exec_lo, s42
	v_lshlrev_b32_e32 v102, 24, v25
	s_delay_alu instid0(VALU_DEP_1) | instskip(NEXT) | instid1(VALU_DEP_1)
	v_and_b32_e32 v102, 0x80000000, v102
	v_lshl_add_u32 v3, v3, 23, v102
	s_delay_alu instid0(VALU_DEP_1) | instskip(NEXT) | instid1(VALU_DEP_1)
	v_lshl_or_b32 v3, v23, 21, v3
                                        ; implicit-def: $vgpr23
	v_add_nc_u32_e32 v3, 0x38000000, v3
.LBB4_5180:                             ;   in Loop: Header=BB4_4405 Depth=2
	s_and_not1_saveexec_b32 s41, s41
; %bb.5181:                             ;   in Loop: Header=BB4_4405 Depth=2
	v_bfe_i32 v3, v25, 0, 8
	s_delay_alu instid0(VALU_DEP_1) | instskip(SKIP_2) | instid1(VALU_DEP_2)
	v_cmp_lt_i16_e32 vcc_lo, -1, v3
	v_cndmask_b32_e32 v3, 0xff800000, v109, vcc_lo
	v_cmp_eq_u32_e32 vcc_lo, 0, v23
	v_cndmask_b32_e32 v3, 0x7f800001, v3, vcc_lo
; %bb.5182:                             ;   in Loop: Header=BB4_4405 Depth=2
	s_or_b32 exec_lo, exec_lo, s41
.LBB4_5183:                             ;   in Loop: Header=BB4_4405 Depth=2
	s_delay_alu instid0(SALU_CYCLE_1)
	s_or_b32 exec_lo, exec_lo, s14
.LBB4_5184:                             ;   in Loop: Header=BB4_4405 Depth=2
	s_delay_alu instid0(SALU_CYCLE_1) | instskip(SKIP_2) | instid1(VALU_DEP_1)
	s_or_b32 exec_lo, exec_lo, s13
	v_and_b32_e32 v23, 0xff, v21
	s_mov_b32 s13, exec_lo
	v_cmpx_ne_u16_e32 0, v23
	s_cbranch_execz .LBB4_5194
; %bb.5185:                             ;   in Loop: Header=BB4_4405 Depth=2
	v_bfrev_b32_e32 v22, 1
	s_mov_b32 s14, exec_lo
	v_cmpx_ne_u16_e32 0x80, v23
	s_cbranch_execz .LBB4_5193
; %bb.5186:                             ;   in Loop: Header=BB4_4405 Depth=2
	v_and_b32_e32 v22, 0x7c, v21
	v_and_b32_e32 v23, 3, v21
	s_delay_alu instid0(VALU_DEP_2) | instskip(SKIP_1) | instid1(SALU_CYCLE_1)
	v_cmp_ne_u32_e32 vcc_lo, 0x7c, v22
                                        ; implicit-def: $vgpr22
	s_and_saveexec_b32 s41, vcc_lo
	s_xor_b32 s41, exec_lo, s41
	s_cbranch_execz .LBB4_5190
; %bb.5187:                             ;   in Loop: Header=BB4_4405 Depth=2
	v_bfe_u32 v22, v21, 2, 5
	s_mov_b32 s42, exec_lo
	s_delay_alu instid0(VALU_DEP_1)
	v_cmpx_eq_u32_e32 0, v22
; %bb.5188:                             ;   in Loop: Header=BB4_4405 Depth=2
	v_clz_i32_u32_e32 v22, v23
	s_delay_alu instid0(VALU_DEP_1) | instskip(NEXT) | instid1(VALU_DEP_1)
	v_min_u32_e32 v22, 32, v22
	v_subrev_nc_u32_e32 v23, 29, v22
	v_sub_nc_u32_e32 v22, 30, v22
	s_delay_alu instid0(VALU_DEP_2) | instskip(NEXT) | instid1(VALU_DEP_1)
	v_lshlrev_b64_e32 v[102:103], v23, v[18:19]
	v_and_b32_e32 v23, 3, v102
; %bb.5189:                             ;   in Loop: Header=BB4_4405 Depth=2
	s_or_b32 exec_lo, exec_lo, s42
	v_lshlrev_b32_e32 v102, 24, v21
	s_delay_alu instid0(VALU_DEP_1) | instskip(NEXT) | instid1(VALU_DEP_1)
	v_and_b32_e32 v102, 0x80000000, v102
	v_lshl_add_u32 v22, v22, 23, v102
	s_delay_alu instid0(VALU_DEP_1) | instskip(NEXT) | instid1(VALU_DEP_1)
	v_lshl_or_b32 v22, v23, 21, v22
                                        ; implicit-def: $vgpr23
	v_add_nc_u32_e32 v22, 0x38000000, v22
.LBB4_5190:                             ;   in Loop: Header=BB4_4405 Depth=2
	s_and_not1_saveexec_b32 s41, s41
; %bb.5191:                             ;   in Loop: Header=BB4_4405 Depth=2
	v_bfe_i32 v22, v21, 0, 8
	s_delay_alu instid0(VALU_DEP_1) | instskip(SKIP_2) | instid1(VALU_DEP_2)
	v_cmp_lt_i16_e32 vcc_lo, -1, v22
	v_cndmask_b32_e32 v22, 0xff800000, v109, vcc_lo
	v_cmp_eq_u32_e32 vcc_lo, 0, v23
	v_cndmask_b32_e32 v22, 0x7f800001, v22, vcc_lo
; %bb.5192:                             ;   in Loop: Header=BB4_4405 Depth=2
	s_or_b32 exec_lo, exec_lo, s41
.LBB4_5193:                             ;   in Loop: Header=BB4_4405 Depth=2
	s_delay_alu instid0(SALU_CYCLE_1)
	s_or_b32 exec_lo, exec_lo, s14
.LBB4_5194:                             ;   in Loop: Header=BB4_4405 Depth=2
	s_delay_alu instid0(SALU_CYCLE_1) | instskip(NEXT) | instid1(VALU_DEP_1)
	s_or_b32 exec_lo, exec_lo, s13
	v_dual_max_num_f32 v22, v22, v22 :: v_dual_max_num_f32 v3, v3, v3
	s_mov_b32 s13, 0
	s_delay_alu instid0(VALU_DEP_1)
	v_max_num_f32_e32 v3, v3, v22
.LBB4_5195:                             ;   in Loop: Header=BB4_4405 Depth=2
	s_and_b32 vcc_lo, exec_lo, s13
	s_cbranch_vccz .LBB4_5217
; %bb.5196:                             ;   in Loop: Header=BB4_4405 Depth=2
	v_dual_mov_b32 v22, 0 :: v_dual_mov_b32 v3, 0
	s_and_saveexec_b32 s13, s7
	s_cbranch_execz .LBB4_5206
; %bb.5197:                             ;   in Loop: Header=BB4_4405 Depth=2
	v_bfrev_b32_e32 v3, 1
	s_mov_b32 s7, exec_lo
	v_cmpx_ne_u16_e32 0x80, v0
	s_cbranch_execz .LBB4_5205
; %bb.5198:                             ;   in Loop: Header=BB4_4405 Depth=2
	v_and_b32_e32 v3, 0x7c, v25
	v_and_b32_e32 v0, 3, v25
	s_delay_alu instid0(VALU_DEP_2) | instskip(SKIP_1) | instid1(SALU_CYCLE_1)
	v_cmp_ne_u32_e32 vcc_lo, 0x7c, v3
                                        ; implicit-def: $vgpr3
	s_and_saveexec_b32 s14, vcc_lo
	s_xor_b32 s14, exec_lo, s14
	s_cbranch_execz .LBB4_5202
; %bb.5199:                             ;   in Loop: Header=BB4_4405 Depth=2
	v_bfe_u32 v3, v25, 2, 5
	s_mov_b32 s41, exec_lo
	s_delay_alu instid0(VALU_DEP_1)
	v_cmpx_eq_u32_e32 0, v3
; %bb.5200:                             ;   in Loop: Header=BB4_4405 Depth=2
	v_clz_i32_u32_e32 v0, v0
	s_delay_alu instid0(VALU_DEP_1) | instskip(NEXT) | instid1(VALU_DEP_1)
	v_min_u32_e32 v0, 32, v0
	v_subrev_nc_u32_e32 v3, 29, v0
	s_delay_alu instid0(VALU_DEP_1) | instskip(NEXT) | instid1(VALU_DEP_1)
	v_lshlrev_b64_e32 v[102:103], v3, v[52:53]
	v_dual_sub_nc_u32 v3, 30, v0 :: v_dual_bitop2_b32 v0, 3, v102 bitop3:0x40
; %bb.5201:                             ;   in Loop: Header=BB4_4405 Depth=2
	s_or_b32 exec_lo, exec_lo, s41
	v_lshlrev_b32_e32 v23, 24, v25
	s_delay_alu instid0(VALU_DEP_1) | instskip(NEXT) | instid1(VALU_DEP_1)
	v_and_b32_e32 v23, 0x80000000, v23
	v_lshl_add_u32 v3, v3, 23, v23
	s_delay_alu instid0(VALU_DEP_1) | instskip(NEXT) | instid1(VALU_DEP_1)
	v_lshl_or_b32 v0, v0, 21, v3
	v_add_nc_u32_e32 v3, 0x38000000, v0
                                        ; implicit-def: $vgpr0
.LBB4_5202:                             ;   in Loop: Header=BB4_4405 Depth=2
	s_and_not1_saveexec_b32 s14, s14
; %bb.5203:                             ;   in Loop: Header=BB4_4405 Depth=2
	v_bfe_i32 v3, v25, 0, 8
	s_delay_alu instid0(VALU_DEP_1) | instskip(SKIP_2) | instid1(VALU_DEP_2)
	v_cmp_lt_i16_e32 vcc_lo, -1, v3
	v_cndmask_b32_e32 v3, 0xff800000, v109, vcc_lo
	v_cmp_eq_u32_e32 vcc_lo, 0, v0
	v_cndmask_b32_e32 v3, 0x7f800001, v3, vcc_lo
; %bb.5204:                             ;   in Loop: Header=BB4_4405 Depth=2
	s_or_b32 exec_lo, exec_lo, s14
.LBB4_5205:                             ;   in Loop: Header=BB4_4405 Depth=2
	s_delay_alu instid0(SALU_CYCLE_1)
	s_or_b32 exec_lo, exec_lo, s7
.LBB4_5206:                             ;   in Loop: Header=BB4_4405 Depth=2
	s_delay_alu instid0(SALU_CYCLE_1) | instskip(SKIP_2) | instid1(VALU_DEP_1)
	s_or_b32 exec_lo, exec_lo, s13
	v_and_b32_e32 v0, 0xff, v21
	s_mov_b32 s7, exec_lo
	v_cmpx_ne_u16_e32 0, v0
	s_cbranch_execz .LBB4_5216
; %bb.5207:                             ;   in Loop: Header=BB4_4405 Depth=2
	v_bfrev_b32_e32 v22, 1
	s_mov_b32 s13, exec_lo
	v_cmpx_ne_u16_e32 0x80, v0
	s_cbranch_execz .LBB4_5215
; %bb.5208:                             ;   in Loop: Header=BB4_4405 Depth=2
	v_and_b32_e32 v22, 0x7c, v21
	v_and_b32_e32 v0, 3, v21
	s_delay_alu instid0(VALU_DEP_2) | instskip(SKIP_1) | instid1(SALU_CYCLE_1)
	v_cmp_ne_u32_e32 vcc_lo, 0x7c, v22
                                        ; implicit-def: $vgpr22
	s_and_saveexec_b32 s14, vcc_lo
	s_xor_b32 s14, exec_lo, s14
	s_cbranch_execz .LBB4_5212
; %bb.5209:                             ;   in Loop: Header=BB4_4405 Depth=2
	v_bfe_u32 v22, v21, 2, 5
	s_mov_b32 s41, exec_lo
	s_delay_alu instid0(VALU_DEP_1)
	v_cmpx_eq_u32_e32 0, v22
; %bb.5210:                             ;   in Loop: Header=BB4_4405 Depth=2
	v_clz_i32_u32_e32 v0, v0
	s_delay_alu instid0(VALU_DEP_1) | instskip(NEXT) | instid1(VALU_DEP_1)
	v_min_u32_e32 v0, 32, v0
	v_subrev_nc_u32_e32 v22, 29, v0
	s_delay_alu instid0(VALU_DEP_1) | instskip(NEXT) | instid1(VALU_DEP_1)
	v_lshlrev_b64_e32 v[102:103], v22, v[18:19]
	v_dual_sub_nc_u32 v22, 30, v0 :: v_dual_bitop2_b32 v0, 3, v102 bitop3:0x40
; %bb.5211:                             ;   in Loop: Header=BB4_4405 Depth=2
	s_or_b32 exec_lo, exec_lo, s41
	v_lshlrev_b32_e32 v19, 24, v21
	s_delay_alu instid0(VALU_DEP_1) | instskip(NEXT) | instid1(VALU_DEP_1)
	v_and_b32_e32 v19, 0x80000000, v19
	v_lshl_add_u32 v19, v22, 23, v19
	s_delay_alu instid0(VALU_DEP_1) | instskip(NEXT) | instid1(VALU_DEP_1)
	v_lshl_or_b32 v0, v0, 21, v19
	v_add_nc_u32_e32 v22, 0x38000000, v0
                                        ; implicit-def: $vgpr0
.LBB4_5212:                             ;   in Loop: Header=BB4_4405 Depth=2
	s_and_not1_saveexec_b32 s14, s14
; %bb.5213:                             ;   in Loop: Header=BB4_4405 Depth=2
	v_bfe_i32 v19, v21, 0, 8
	s_delay_alu instid0(VALU_DEP_1) | instskip(SKIP_2) | instid1(VALU_DEP_2)
	v_cmp_lt_i16_e32 vcc_lo, -1, v19
	v_cndmask_b32_e32 v19, 0xff800000, v109, vcc_lo
	v_cmp_eq_u32_e32 vcc_lo, 0, v0
	v_cndmask_b32_e32 v22, 0x7f800001, v19, vcc_lo
; %bb.5214:                             ;   in Loop: Header=BB4_4405 Depth=2
	s_or_b32 exec_lo, exec_lo, s14
.LBB4_5215:                             ;   in Loop: Header=BB4_4405 Depth=2
	s_delay_alu instid0(SALU_CYCLE_1)
	s_or_b32 exec_lo, exec_lo, s13
.LBB4_5216:                             ;   in Loop: Header=BB4_4405 Depth=2
	s_delay_alu instid0(SALU_CYCLE_1) | instskip(NEXT) | instid1(VALU_DEP_1)
	s_or_b32 exec_lo, exec_lo, s7
	v_dual_max_num_f32 v0, v22, v22 :: v_dual_max_num_f32 v3, v3, v3
	s_delay_alu instid0(VALU_DEP_1)
	v_min_num_f32_e32 v3, v3, v0
.LBB4_5217:                             ;   in Loop: Header=BB4_4405 Depth=2
	s_delay_alu instid0(VALU_DEP_1) | instskip(SKIP_4) | instid1(VALU_DEP_3)
	v_and_b32_e32 v102, 0x7f800000, v3
	v_dual_mov_b32 v103, v53 :: v_dual_mov_b32 v23, v53
	v_and_b32_e32 v22, 0x7fffff, v3
	v_lshrrev_b32_e32 v0, 24, v3
                                        ; implicit-def: $vgpr44
	s_mov_b32 s7, exec_lo
	v_cmpx_ne_u64_e32 0x7f800000, v[102:103]
	s_xor_b32 s13, exec_lo, s7
	s_cbranch_execz .LBB4_5231
; %bb.5218:                             ;   in Loop: Header=BB4_4405 Depth=2
	v_and_b32_e32 v102, 0x7fffffff, v3
	v_mov_b32_e32 v103, v53
	v_and_b32_e32 v0, 0x80, v0
                                        ; implicit-def: $vgpr44
	s_mov_b32 s7, exec_lo
	s_delay_alu instid0(VALU_DEP_2)
	v_cmpx_gt_u64_e32 0x47600001, v[102:103]
	s_xor_b32 s14, exec_lo, s7
	s_cbranch_execz .LBB4_5228
; %bb.5219:                             ;   in Loop: Header=BB4_4405 Depth=2
	v_mov_b32_e32 v44, 0
	s_mov_b32 s41, exec_lo
	v_cmpx_ne_u32_e32 0, v3
	s_cbranch_execz .LBB4_5227
; %bb.5220:                             ;   in Loop: Header=BB4_4405 Depth=2
	v_bfe_u32 v3, v3, 23, 8
	v_or_b32_e32 v44, 0x800000, v22
	s_delay_alu instid0(VALU_DEP_2) | instskip(SKIP_1) | instid1(VALU_DEP_2)
	v_sub_nc_u32_e32 v19, 0x71, v3
	v_cmp_gt_u32_e32 vcc_lo, 0x72, v3
	v_cndmask_b32_e32 v19, 0, v19, vcc_lo
	v_cmp_eq_u32_e32 vcc_lo, 0, v3
	s_delay_alu instid0(VALU_DEP_2) | instskip(NEXT) | instid1(VALU_DEP_1)
	v_cndmask_b32_e64 v19, v19, 0x70, vcc_lo
	v_dual_cndmask_b32 v22, v44, v22, vcc_lo :: v_dual_add_nc_u32 v102, 21, v19
	v_add_nc_u32_e32 v45, 20, v19
	s_delay_alu instid0(VALU_DEP_2) | instskip(NEXT) | instid1(VALU_DEP_2)
	v_lshlrev_b64_e64 v[102:103], v102, -1
	v_lshlrev_b64_e64 v[44:45], v45, 1
	s_delay_alu instid0(VALU_DEP_2) | instskip(SKIP_1) | instid1(VALU_DEP_4)
	v_bfi_b32 v102, v102, 0, v22
	v_lshrrev_b64 v[22:23], v19, v[22:23]
	v_bfi_b32 v103, v103, 0, 0
	s_delay_alu instid0(VALU_DEP_1) | instskip(NEXT) | instid1(VALU_DEP_3)
	v_cmp_eq_u64_e64 s7, v[102:103], v[44:45]
	v_mov_b64_e32 v[102:103], v[22:23]
	s_and_saveexec_b32 s42, s7
; %bb.5221:                             ;   in Loop: Header=BB4_4405 Depth=2
	v_bfe_u32 v102, v22, 21, 1
	v_mov_b32_e32 v103, v53
	s_delay_alu instid0(VALU_DEP_1) | instskip(NEXT) | instid1(VALU_DEP_1)
	v_add_nc_u64_e32 v[102:103], v[22:23], v[102:103]
	v_add_nc_u64_e32 v[102:103], -1, v[102:103]
; %bb.5222:                             ;   in Loop: Header=BB4_4405 Depth=2
	s_or_b32 exec_lo, exec_lo, s42
	v_add_nc_u32_e32 v3, 0xffffff81, v3
	v_lshrrev_b32_e32 v23, 23, v22
	s_mov_b32 s7, exec_lo
	s_delay_alu instid0(VALU_DEP_2) | instskip(NEXT) | instid1(VALU_DEP_1)
	v_cndmask_b32_e64 v3, v3, 0xffffff82, vcc_lo
	v_add3_u32 v19, v19, v3, v23
	v_and_b32_e32 v3, 0x1fffff, v102
	s_delay_alu instid0(VALU_DEP_2) | instskip(NEXT) | instid1(VALU_DEP_2)
	v_dual_mov_b32 v23, v53 :: v_dual_add_nc_u32 v102, 14, v19
	v_add_nc_u32_e32 v22, v3, v22
                                        ; implicit-def: $vgpr3
	s_delay_alu instid0(VALU_DEP_2)
	v_cmpx_ne_u32_e32 0, v102
	s_xor_b32 s7, exec_lo, s7
; %bb.5223:                             ;   in Loop: Header=BB4_4405 Depth=2
	s_delay_alu instid0(VALU_DEP_2) | instskip(SKIP_2) | instid1(VALU_DEP_2)
	v_cmp_lt_u64_e32 vcc_lo, 0xffffff, v[22:23]
	v_add_nc_u32_e32 v3, 15, v19
	v_cndmask_b32_e64 v19, 0, 1, vcc_lo
	v_cndmask_b32_e32 v3, v102, v3, vcc_lo
	s_delay_alu instid0(VALU_DEP_2)
	v_lshrrev_b64 v[22:23], v19, v[22:23]
; %bb.5224:                             ;   in Loop: Header=BB4_4405 Depth=2
	s_and_not1_saveexec_b32 s7, s7
; %bb.5225:                             ;   in Loop: Header=BB4_4405 Depth=2
	s_delay_alu instid0(VALU_DEP_1)
	v_bfe_u32 v3, v22, 23, 1
; %bb.5226:                             ;   in Loop: Header=BB4_4405 Depth=2
	s_or_b32 exec_lo, exec_lo, s7
	s_delay_alu instid0(VALU_DEP_2) | instskip(NEXT) | instid1(VALU_DEP_2)
	v_lshrrev_b64 v[22:23], 21, v[22:23]
	v_cmp_gt_i32_e32 vcc_lo, 32, v3
	v_min_i32_e32 v19, 31, v3
	v_cmp_eq_u32_e64 s7, 0, v3
	s_delay_alu instid0(VALU_DEP_2) | instskip(SKIP_1) | instid1(VALU_DEP_2)
	v_dual_cndmask_b32 v22, 3, v22 :: v_dual_lshlrev_b32 v19, 2, v19
	v_cndmask_b32_e32 v23, 0, v23, vcc_lo
	v_and_b32_e32 v19, 0xfc, v19
	s_delay_alu instid0(VALU_DEP_2) | instskip(NEXT) | instid1(VALU_DEP_2)
	v_cmp_eq_u64_e32 vcc_lo, 0, v[22:23]
	v_and_or_b32 v3, v22, 3, v19
	s_and_b32 s7, s7, vcc_lo
	s_delay_alu instid0(VALU_DEP_1) | instid1(SALU_CYCLE_1)
	v_cndmask_b32_e64 v3, v3, 0, s7
	s_delay_alu instid0(VALU_DEP_1)
	v_or_b32_e32 v44, v3, v0
.LBB4_5227:                             ;   in Loop: Header=BB4_4405 Depth=2
	s_or_b32 exec_lo, exec_lo, s41
                                        ; implicit-def: $vgpr0
.LBB4_5228:                             ;   in Loop: Header=BB4_4405 Depth=2
	s_and_not1_saveexec_b32 s7, s14
; %bb.5229:                             ;   in Loop: Header=BB4_4405 Depth=2
	v_or_b32_e32 v44, 0x7b, v0
; %bb.5230:                             ;   in Loop: Header=BB4_4405 Depth=2
	s_or_b32 exec_lo, exec_lo, s7
                                        ; implicit-def: $vgpr3
                                        ; implicit-def: $vgpr22_vgpr23
                                        ; implicit-def: $vgpr0
.LBB4_5231:                             ;   in Loop: Header=BB4_4405 Depth=2
	s_and_not1_saveexec_b32 s7, s13
	s_cbranch_execz .LBB4_5237
; %bb.5232:                             ;   in Loop: Header=BB4_4405 Depth=2
	s_mov_b32 s13, exec_lo
                                        ; implicit-def: $vgpr44
	v_cmpx_ne_u64_e32 0, v[22:23]
	s_xor_b32 s13, exec_lo, s13
; %bb.5233:                             ;   in Loop: Header=BB4_4405 Depth=2
	v_or_b32_e32 v44, 0x7f, v0
                                        ; implicit-def: $vgpr3
; %bb.5234:                             ;   in Loop: Header=BB4_4405 Depth=2
	s_and_not1_saveexec_b32 s13, s13
; %bb.5235:                             ;   in Loop: Header=BB4_4405 Depth=2
	v_cmp_lt_i32_e32 vcc_lo, -1, v3
	v_cndmask_b32_e32 v44, 0xfc, v110, vcc_lo
; %bb.5236:                             ;   in Loop: Header=BB4_4405 Depth=2
	s_or_b32 exec_lo, exec_lo, s13
.LBB4_5237:                             ;   in Loop: Header=BB4_4405 Depth=2
	s_delay_alu instid0(SALU_CYCLE_1) | instskip(SKIP_4) | instid1(VALU_DEP_2)
	s_or_b32 exec_lo, exec_lo, s7
	v_lshrrev_b16 v102, 8, v52
	v_lshrrev_b16 v22, 8, v18
	s_and_b32 vcc_lo, exec_lo, s12
	s_mov_b32 s13, -1
                                        ; implicit-def: $vgpr3
	v_and_b32_e32 v0, 0xffff, v102
	v_cmp_ne_u16_e64 s7, 0, v102
	s_cbranch_vccz .LBB4_5259
; %bb.5238:                             ;   in Loop: Header=BB4_4405 Depth=2
	v_dual_mov_b32 v19, 0 :: v_dual_mov_b32 v3, 0
	s_and_saveexec_b32 s13, s7
	s_cbranch_execz .LBB4_5248
; %bb.5239:                             ;   in Loop: Header=BB4_4405 Depth=2
	v_bfrev_b32_e32 v3, 1
	s_mov_b32 s14, exec_lo
	v_cmpx_ne_u16_e32 0x80, v102
	s_cbranch_execz .LBB4_5247
; %bb.5240:                             ;   in Loop: Header=BB4_4405 Depth=2
	v_and_b32_e32 v3, 0x7c, v0
	v_and_b32_e32 v23, 3, v0
	s_delay_alu instid0(VALU_DEP_2) | instskip(SKIP_1) | instid1(SALU_CYCLE_1)
	v_cmp_ne_u32_e32 vcc_lo, 0x7c, v3
                                        ; implicit-def: $vgpr3
	s_and_saveexec_b32 s41, vcc_lo
	s_xor_b32 s41, exec_lo, s41
	s_cbranch_execz .LBB4_5244
; %bb.5241:                             ;   in Loop: Header=BB4_4405 Depth=2
	v_bfe_u32 v3, v0, 2, 5
	s_mov_b32 s42, exec_lo
	s_delay_alu instid0(VALU_DEP_1)
	v_cmpx_eq_u32_e32 0, v3
	s_cbranch_execz .LBB4_5243
; %bb.5242:                             ;   in Loop: Header=BB4_4405 Depth=2
	v_clz_i32_u32_e32 v3, v23
	s_delay_alu instid0(VALU_DEP_1) | instskip(SKIP_1) | instid1(VALU_DEP_2)
	v_min_u32_e32 v3, 32, v3
	v_mov_b32_e32 v103, v53
	v_subrev_nc_u32_e32 v23, 29, v3
	v_sub_nc_u32_e32 v3, 30, v3
	s_delay_alu instid0(VALU_DEP_2) | instskip(NEXT) | instid1(VALU_DEP_1)
	v_lshlrev_b64_e32 v[46:47], v23, v[102:103]
	v_and_b32_e32 v23, 3, v46
.LBB4_5243:                             ;   in Loop: Header=BB4_4405 Depth=2
	s_or_b32 exec_lo, exec_lo, s42
	v_lshlrev_b32_e32 v103, 16, v52
	s_delay_alu instid0(VALU_DEP_1) | instskip(NEXT) | instid1(VALU_DEP_1)
	v_and_b32_e32 v103, 0x80000000, v103
	v_lshl_add_u32 v3, v3, 23, v103
	s_delay_alu instid0(VALU_DEP_1) | instskip(NEXT) | instid1(VALU_DEP_1)
	v_lshl_or_b32 v3, v23, 21, v3
                                        ; implicit-def: $vgpr23
	v_add_nc_u32_e32 v3, 0x38000000, v3
.LBB4_5244:                             ;   in Loop: Header=BB4_4405 Depth=2
	s_and_not1_saveexec_b32 s41, s41
; %bb.5245:                             ;   in Loop: Header=BB4_4405 Depth=2
	v_cmp_lt_i16_e32 vcc_lo, -1, v52
	v_cndmask_b32_e32 v3, 0xff800000, v109, vcc_lo
	v_cmp_eq_u32_e32 vcc_lo, 0, v23
	s_delay_alu instid0(VALU_DEP_2)
	v_cndmask_b32_e32 v3, 0x7f800001, v3, vcc_lo
; %bb.5246:                             ;   in Loop: Header=BB4_4405 Depth=2
	s_or_b32 exec_lo, exec_lo, s41
.LBB4_5247:                             ;   in Loop: Header=BB4_4405 Depth=2
	s_delay_alu instid0(SALU_CYCLE_1)
	s_or_b32 exec_lo, exec_lo, s14
.LBB4_5248:                             ;   in Loop: Header=BB4_4405 Depth=2
	s_delay_alu instid0(SALU_CYCLE_1) | instskip(NEXT) | instid1(SALU_CYCLE_1)
	s_or_b32 exec_lo, exec_lo, s13
	s_mov_b32 s13, exec_lo
	v_cmpx_ne_u16_e32 0, v22
	s_cbranch_execz .LBB4_5258
; %bb.5249:                             ;   in Loop: Header=BB4_4405 Depth=2
	v_bfrev_b32_e32 v19, 1
	s_mov_b32 s14, exec_lo
	v_cmpx_ne_u16_e32 0x80, v22
	s_cbranch_execz .LBB4_5257
; %bb.5250:                             ;   in Loop: Header=BB4_4405 Depth=2
	v_and_b32_e32 v103, 0xffff, v22
	s_delay_alu instid0(VALU_DEP_1) | instskip(SKIP_1) | instid1(VALU_DEP_2)
	v_and_b32_e32 v19, 0x7c, v103
	v_and_b32_e32 v23, 3, v103
	v_cmp_ne_u32_e32 vcc_lo, 0x7c, v19
                                        ; implicit-def: $vgpr19
	s_and_saveexec_b32 s41, vcc_lo
	s_delay_alu instid0(SALU_CYCLE_1)
	s_xor_b32 s41, exec_lo, s41
	s_cbranch_execz .LBB4_5254
; %bb.5251:                             ;   in Loop: Header=BB4_4405 Depth=2
	v_bfe_u32 v19, v103, 2, 5
	s_mov_b32 s42, exec_lo
	s_delay_alu instid0(VALU_DEP_1)
	v_cmpx_eq_u32_e32 0, v19
	s_cbranch_execz .LBB4_5253
; %bb.5252:                             ;   in Loop: Header=BB4_4405 Depth=2
	v_clz_i32_u32_e32 v19, v23
	s_delay_alu instid0(VALU_DEP_1) | instskip(SKIP_1) | instid1(VALU_DEP_2)
	v_min_u32_e32 v19, 32, v19
	v_mov_b32_e32 v23, v53
	v_subrev_nc_u32_e32 v103, 29, v19
	v_sub_nc_u32_e32 v19, 30, v19
	s_delay_alu instid0(VALU_DEP_2) | instskip(NEXT) | instid1(VALU_DEP_1)
	v_lshlrev_b64_e32 v[46:47], v103, v[22:23]
	v_and_b32_e32 v23, 3, v46
.LBB4_5253:                             ;   in Loop: Header=BB4_4405 Depth=2
	s_or_b32 exec_lo, exec_lo, s42
	v_lshlrev_b32_e32 v103, 16, v18
	s_delay_alu instid0(VALU_DEP_1) | instskip(NEXT) | instid1(VALU_DEP_1)
	v_and_b32_e32 v103, 0x80000000, v103
	v_lshl_add_u32 v19, v19, 23, v103
	s_delay_alu instid0(VALU_DEP_1) | instskip(NEXT) | instid1(VALU_DEP_1)
	v_lshl_or_b32 v19, v23, 21, v19
                                        ; implicit-def: $vgpr23
	v_add_nc_u32_e32 v19, 0x38000000, v19
.LBB4_5254:                             ;   in Loop: Header=BB4_4405 Depth=2
	s_and_not1_saveexec_b32 s41, s41
; %bb.5255:                             ;   in Loop: Header=BB4_4405 Depth=2
	v_cmp_lt_i16_e32 vcc_lo, -1, v18
	v_cndmask_b32_e32 v19, 0xff800000, v109, vcc_lo
	v_cmp_eq_u32_e32 vcc_lo, 0, v23
	s_delay_alu instid0(VALU_DEP_2)
	v_cndmask_b32_e32 v19, 0x7f800001, v19, vcc_lo
; %bb.5256:                             ;   in Loop: Header=BB4_4405 Depth=2
	s_or_b32 exec_lo, exec_lo, s41
.LBB4_5257:                             ;   in Loop: Header=BB4_4405 Depth=2
	s_delay_alu instid0(SALU_CYCLE_1)
	s_or_b32 exec_lo, exec_lo, s14
.LBB4_5258:                             ;   in Loop: Header=BB4_4405 Depth=2
	s_delay_alu instid0(SALU_CYCLE_1) | instskip(NEXT) | instid1(VALU_DEP_1)
	s_or_b32 exec_lo, exec_lo, s13
	v_max_num_f32_e32 v19, v19, v19
	v_max_num_f32_e32 v3, v3, v3
	s_mov_b32 s13, 0
	s_delay_alu instid0(VALU_DEP_1)
	v_max_num_f32_e32 v3, v3, v19
.LBB4_5259:                             ;   in Loop: Header=BB4_4405 Depth=2
	s_and_b32 vcc_lo, exec_lo, s13
	s_cbranch_vccz .LBB4_5281
; %bb.5260:                             ;   in Loop: Header=BB4_4405 Depth=2
	v_dual_mov_b32 v23, 0 :: v_dual_mov_b32 v3, 0
	s_and_saveexec_b32 s13, s7
	s_cbranch_execz .LBB4_5270
; %bb.5261:                             ;   in Loop: Header=BB4_4405 Depth=2
	v_bfrev_b32_e32 v3, 1
	s_mov_b32 s7, exec_lo
	v_cmpx_ne_u16_e32 0x80, v102
	s_cbranch_execz .LBB4_5269
; %bb.5262:                             ;   in Loop: Header=BB4_4405 Depth=2
	v_and_b32_e32 v3, 0x7c, v0
	v_and_b32_e32 v19, 3, v0
	s_delay_alu instid0(VALU_DEP_2) | instskip(SKIP_1) | instid1(SALU_CYCLE_1)
	v_cmp_ne_u32_e32 vcc_lo, 0x7c, v3
                                        ; implicit-def: $vgpr3
	s_and_saveexec_b32 s14, vcc_lo
	s_xor_b32 s14, exec_lo, s14
	s_cbranch_execz .LBB4_5266
; %bb.5263:                             ;   in Loop: Header=BB4_4405 Depth=2
	v_bfe_u32 v0, v0, 2, 5
	s_mov_b32 s41, exec_lo
	s_delay_alu instid0(VALU_DEP_1)
	v_cmpx_eq_u32_e32 0, v0
	s_cbranch_execz .LBB4_5265
; %bb.5264:                             ;   in Loop: Header=BB4_4405 Depth=2
	v_clz_i32_u32_e32 v0, v19
	s_delay_alu instid0(VALU_DEP_1) | instskip(SKIP_1) | instid1(VALU_DEP_2)
	v_min_u32_e32 v0, 32, v0
	v_mov_b32_e32 v103, v53
	v_subrev_nc_u32_e32 v3, 29, v0
	v_sub_nc_u32_e32 v0, 30, v0
	s_delay_alu instid0(VALU_DEP_2) | instskip(NEXT) | instid1(VALU_DEP_1)
	v_lshlrev_b64_e32 v[102:103], v3, v[102:103]
	v_and_b32_e32 v19, 3, v102
.LBB4_5265:                             ;   in Loop: Header=BB4_4405 Depth=2
	s_or_b32 exec_lo, exec_lo, s41
	v_lshlrev_b32_e32 v3, 16, v52
	s_delay_alu instid0(VALU_DEP_1) | instskip(NEXT) | instid1(VALU_DEP_1)
	v_and_b32_e32 v3, 0x80000000, v3
	v_lshl_add_u32 v0, v0, 23, v3
	s_delay_alu instid0(VALU_DEP_1) | instskip(NEXT) | instid1(VALU_DEP_1)
	v_lshl_or_b32 v0, v19, 21, v0
                                        ; implicit-def: $vgpr19
	v_add_nc_u32_e32 v3, 0x38000000, v0
.LBB4_5266:                             ;   in Loop: Header=BB4_4405 Depth=2
	s_and_not1_saveexec_b32 s14, s14
; %bb.5267:                             ;   in Loop: Header=BB4_4405 Depth=2
	v_cmp_lt_i16_e32 vcc_lo, -1, v52
	v_cndmask_b32_e32 v0, 0xff800000, v109, vcc_lo
	v_cmp_eq_u32_e32 vcc_lo, 0, v19
	s_delay_alu instid0(VALU_DEP_2)
	v_cndmask_b32_e32 v3, 0x7f800001, v0, vcc_lo
; %bb.5268:                             ;   in Loop: Header=BB4_4405 Depth=2
	s_or_b32 exec_lo, exec_lo, s14
.LBB4_5269:                             ;   in Loop: Header=BB4_4405 Depth=2
	s_delay_alu instid0(SALU_CYCLE_1)
	s_or_b32 exec_lo, exec_lo, s7
.LBB4_5270:                             ;   in Loop: Header=BB4_4405 Depth=2
	s_delay_alu instid0(SALU_CYCLE_1) | instskip(NEXT) | instid1(SALU_CYCLE_1)
	s_or_b32 exec_lo, exec_lo, s13
	s_mov_b32 s7, exec_lo
	v_cmpx_ne_u16_e32 0, v22
	s_cbranch_execz .LBB4_5280
; %bb.5271:                             ;   in Loop: Header=BB4_4405 Depth=2
	v_bfrev_b32_e32 v23, 1
	s_mov_b32 s13, exec_lo
	v_cmpx_ne_u16_e32 0x80, v22
	s_cbranch_execz .LBB4_5279
; %bb.5272:                             ;   in Loop: Header=BB4_4405 Depth=2
	v_and_b32_e32 v19, 0xffff, v22
	s_delay_alu instid0(VALU_DEP_1) | instskip(SKIP_1) | instid1(VALU_DEP_2)
	v_and_b32_e32 v23, 0x7c, v19
	v_and_b32_e32 v0, 3, v19
	v_cmp_ne_u32_e32 vcc_lo, 0x7c, v23
                                        ; implicit-def: $vgpr23
	s_and_saveexec_b32 s14, vcc_lo
	s_delay_alu instid0(SALU_CYCLE_1)
	s_xor_b32 s14, exec_lo, s14
	s_cbranch_execz .LBB4_5276
; %bb.5273:                             ;   in Loop: Header=BB4_4405 Depth=2
	v_bfe_u32 v19, v19, 2, 5
	s_mov_b32 s41, exec_lo
	s_delay_alu instid0(VALU_DEP_1)
	v_cmpx_eq_u32_e32 0, v19
; %bb.5274:                             ;   in Loop: Header=BB4_4405 Depth=2
	v_clz_i32_u32_e32 v0, v0
	s_delay_alu instid0(VALU_DEP_1) | instskip(SKIP_1) | instid1(VALU_DEP_2)
	v_min_u32_e32 v0, 32, v0
	v_mov_b32_e32 v23, v53
	v_subrev_nc_u32_e32 v19, 29, v0
	s_delay_alu instid0(VALU_DEP_1) | instskip(NEXT) | instid1(VALU_DEP_1)
	v_lshlrev_b64_e32 v[22:23], v19, v[22:23]
	v_dual_sub_nc_u32 v19, 30, v0 :: v_dual_bitop2_b32 v0, 3, v22 bitop3:0x40
; %bb.5275:                             ;   in Loop: Header=BB4_4405 Depth=2
	s_or_b32 exec_lo, exec_lo, s41
	v_lshlrev_b32_e32 v18, 16, v18
	s_delay_alu instid0(VALU_DEP_1) | instskip(NEXT) | instid1(VALU_DEP_1)
	v_and_b32_e32 v18, 0x80000000, v18
	v_lshl_add_u32 v18, v19, 23, v18
	s_delay_alu instid0(VALU_DEP_1) | instskip(NEXT) | instid1(VALU_DEP_1)
	v_lshl_or_b32 v0, v0, 21, v18
                                        ; implicit-def: $vgpr18_vgpr19
	v_add_nc_u32_e32 v23, 0x38000000, v0
                                        ; implicit-def: $vgpr0
.LBB4_5276:                             ;   in Loop: Header=BB4_4405 Depth=2
	s_and_not1_saveexec_b32 s14, s14
; %bb.5277:                             ;   in Loop: Header=BB4_4405 Depth=2
	v_cmp_lt_i16_e32 vcc_lo, -1, v18
	v_cndmask_b32_e32 v18, 0xff800000, v109, vcc_lo
	v_cmp_eq_u32_e32 vcc_lo, 0, v0
	s_delay_alu instid0(VALU_DEP_2)
	v_cndmask_b32_e32 v23, 0x7f800001, v18, vcc_lo
; %bb.5278:                             ;   in Loop: Header=BB4_4405 Depth=2
	s_or_b32 exec_lo, exec_lo, s14
.LBB4_5279:                             ;   in Loop: Header=BB4_4405 Depth=2
	s_delay_alu instid0(SALU_CYCLE_1)
	s_or_b32 exec_lo, exec_lo, s13
.LBB4_5280:                             ;   in Loop: Header=BB4_4405 Depth=2
	s_delay_alu instid0(SALU_CYCLE_1) | instskip(NEXT) | instid1(VALU_DEP_1)
	s_or_b32 exec_lo, exec_lo, s7
	v_max_num_f32_e32 v0, v23, v23
	v_max_num_f32_e32 v3, v3, v3
	s_delay_alu instid0(VALU_DEP_1)
	v_min_num_f32_e32 v3, v3, v0
.LBB4_5281:                             ;   in Loop: Header=BB4_4405 Depth=2
	s_delay_alu instid0(VALU_DEP_1) | instskip(SKIP_3) | instid1(VALU_DEP_2)
	v_and_b32_e32 v18, 0x7f800000, v3
	v_dual_mov_b32 v19, v53 :: v_dual_lshrrev_b32 v0, 24, v3
	v_and_b32_e32 v52, 0x7fffff, v3
                                        ; implicit-def: $vgpr102
	s_mov_b32 s7, exec_lo
	v_cmpx_ne_u64_e32 0x7f800000, v[18:19]
	s_xor_b32 s13, exec_lo, s7
	s_cbranch_execz .LBB4_5295
; %bb.5282:                             ;   in Loop: Header=BB4_4405 Depth=2
	v_and_b32_e32 v18, 0x7fffffff, v3
	v_mov_b32_e32 v19, v53
	v_and_b32_e32 v0, 0x80, v0
                                        ; implicit-def: $vgpr102
	s_mov_b32 s7, exec_lo
	s_delay_alu instid0(VALU_DEP_2)
	v_cmpx_gt_u64_e32 0x47600001, v[18:19]
	s_xor_b32 s14, exec_lo, s7
	s_cbranch_execz .LBB4_5292
; %bb.5283:                             ;   in Loop: Header=BB4_4405 Depth=2
	v_mov_b32_e32 v102, 0
	s_mov_b32 s41, exec_lo
	v_cmpx_ne_u32_e32 0, v3
	s_cbranch_execz .LBB4_5291
; %bb.5284:                             ;   in Loop: Header=BB4_4405 Depth=2
	v_bfe_u32 v3, v3, 23, 8
	v_or_b32_e32 v22, 0x800000, v52
	s_delay_alu instid0(VALU_DEP_2) | instskip(SKIP_1) | instid1(VALU_DEP_2)
	v_sub_nc_u32_e32 v18, 0x71, v3
	v_cmp_gt_u32_e32 vcc_lo, 0x72, v3
	v_cndmask_b32_e32 v18, 0, v18, vcc_lo
	v_cmp_eq_u32_e32 vcc_lo, 0, v3
	v_cndmask_b32_e32 v52, v22, v52, vcc_lo
	s_delay_alu instid0(VALU_DEP_3) | instskip(NEXT) | instid1(VALU_DEP_1)
	v_cndmask_b32_e64 v102, v18, 0x70, vcc_lo
	v_dual_add_nc_u32 v18, 21, v102 :: v_dual_add_nc_u32 v23, 20, v102
	s_delay_alu instid0(VALU_DEP_1) | instskip(NEXT) | instid1(VALU_DEP_2)
	v_lshlrev_b64_e64 v[18:19], v18, -1
	v_lshlrev_b64_e64 v[22:23], v23, 1
	s_delay_alu instid0(VALU_DEP_2) | instskip(NEXT) | instid1(VALU_DEP_3)
	v_bfi_b32 v47, v19, 0, 0
	v_bfi_b32 v46, v18, 0, v52
	v_lshrrev_b64 v[18:19], v102, v[52:53]
	s_delay_alu instid0(VALU_DEP_2) | instskip(NEXT) | instid1(VALU_DEP_2)
	v_cmp_eq_u64_e64 s7, v[46:47], v[22:23]
	v_mov_b64_e32 v[22:23], v[18:19]
	s_and_saveexec_b32 s42, s7
; %bb.5285:                             ;   in Loop: Header=BB4_4405 Depth=2
	v_bfe_u32 v52, v18, 21, 1
	s_delay_alu instid0(VALU_DEP_1) | instskip(NEXT) | instid1(VALU_DEP_1)
	v_add_nc_u64_e32 v[22:23], v[18:19], v[52:53]
	v_add_nc_u64_e32 v[22:23], -1, v[22:23]
; %bb.5286:                             ;   in Loop: Header=BB4_4405 Depth=2
	s_or_b32 exec_lo, exec_lo, s42
	v_add_nc_u32_e32 v3, 0xffffff81, v3
	v_lshrrev_b32_e32 v19, 23, v18
	s_mov_b32 s7, exec_lo
	s_delay_alu instid0(VALU_DEP_2) | instskip(NEXT) | instid1(VALU_DEP_1)
	v_cndmask_b32_e64 v3, v3, 0xffffff82, vcc_lo
	v_add3_u32 v23, v102, v3, v19
	v_and_b32_e32 v3, 0x1fffff, v22
	s_delay_alu instid0(VALU_DEP_1) | instskip(NEXT) | instid1(VALU_DEP_1)
	v_dual_add_nc_u32 v22, 14, v23 :: v_dual_add_nc_u32 v52, v3, v18
                                        ; implicit-def: $vgpr18_vgpr19
                                        ; implicit-def: $vgpr3
	v_cmpx_ne_u32_e32 0, v22
	s_xor_b32 s7, exec_lo, s7
; %bb.5287:                             ;   in Loop: Header=BB4_4405 Depth=2
	s_delay_alu instid0(VALU_DEP_2) | instskip(SKIP_2) | instid1(VALU_DEP_2)
	v_cmp_lt_u64_e32 vcc_lo, 0xffffff, v[52:53]
	v_add_nc_u32_e32 v3, 15, v23
	v_cndmask_b32_e64 v18, 0, 1, vcc_lo
	v_cndmask_b32_e32 v3, v22, v3, vcc_lo
	s_delay_alu instid0(VALU_DEP_2)
	v_lshrrev_b64 v[18:19], v18, v[52:53]
; %bb.5288:                             ;   in Loop: Header=BB4_4405 Depth=2
	s_and_not1_saveexec_b32 s7, s7
; %bb.5289:                             ;   in Loop: Header=BB4_4405 Depth=2
	v_mov_b64_e32 v[18:19], v[52:53]
	v_bfe_u32 v3, v52, 23, 1
; %bb.5290:                             ;   in Loop: Header=BB4_4405 Depth=2
	s_or_b32 exec_lo, exec_lo, s7
	s_delay_alu instid0(VALU_DEP_2) | instskip(NEXT) | instid1(VALU_DEP_2)
	v_lshrrev_b64 v[18:19], 21, v[18:19]
	v_cmp_gt_i32_e32 vcc_lo, 32, v3
	v_min_i32_e32 v22, 31, v3
	v_cmp_eq_u32_e64 s7, 0, v3
	s_delay_alu instid0(VALU_DEP_4) | instskip(NEXT) | instid1(VALU_DEP_3)
	v_cndmask_b32_e32 v18, 3, v18, vcc_lo
	v_dual_cndmask_b32 v19, 0, v19 :: v_dual_lshlrev_b32 v22, 2, v22
	s_delay_alu instid0(VALU_DEP_1) | instskip(NEXT) | instid1(VALU_DEP_2)
	v_and_b32_e32 v22, 0xfc, v22
	v_cmp_eq_u64_e32 vcc_lo, 0, v[18:19]
	s_delay_alu instid0(VALU_DEP_2)
	v_and_or_b32 v3, v18, 3, v22
	s_and_b32 s7, s7, vcc_lo
	s_delay_alu instid0(VALU_DEP_1) | instid1(SALU_CYCLE_1)
	v_cndmask_b32_e64 v3, v3, 0, s7
	s_delay_alu instid0(VALU_DEP_1)
	v_or_b32_e32 v102, v3, v0
.LBB4_5291:                             ;   in Loop: Header=BB4_4405 Depth=2
	s_or_b32 exec_lo, exec_lo, s41
                                        ; implicit-def: $vgpr0
.LBB4_5292:                             ;   in Loop: Header=BB4_4405 Depth=2
	s_and_not1_saveexec_b32 s7, s14
; %bb.5293:                             ;   in Loop: Header=BB4_4405 Depth=2
	v_or_b32_e32 v102, 0x7b, v0
; %bb.5294:                             ;   in Loop: Header=BB4_4405 Depth=2
	s_or_b32 exec_lo, exec_lo, s7
                                        ; implicit-def: $vgpr3
                                        ; implicit-def: $vgpr0
.LBB4_5295:                             ;   in Loop: Header=BB4_4405 Depth=2
	s_and_not1_saveexec_b32 s7, s13
	s_cbranch_execz .LBB4_5301
; %bb.5296:                             ;   in Loop: Header=BB4_4405 Depth=2
	s_mov_b32 s13, exec_lo
                                        ; implicit-def: $vgpr102
	v_cmpx_ne_u64_e32 0, v[52:53]
	s_xor_b32 s13, exec_lo, s13
; %bb.5297:                             ;   in Loop: Header=BB4_4405 Depth=2
	v_or_b32_e32 v102, 0x7f, v0
                                        ; implicit-def: $vgpr3
; %bb.5298:                             ;   in Loop: Header=BB4_4405 Depth=2
	s_and_not1_saveexec_b32 s13, s13
; %bb.5299:                             ;   in Loop: Header=BB4_4405 Depth=2
	v_cmp_lt_i32_e32 vcc_lo, -1, v3
	v_cndmask_b32_e32 v102, 0xfc, v110, vcc_lo
; %bb.5300:                             ;   in Loop: Header=BB4_4405 Depth=2
	s_or_b32 exec_lo, exec_lo, s13
.LBB4_5301:                             ;   in Loop: Header=BB4_4405 Depth=2
	s_delay_alu instid0(SALU_CYCLE_1) | instskip(SKIP_4) | instid1(VALU_DEP_2)
	s_or_b32 exec_lo, exec_lo, s7
	v_lshrrev_b32_e32 v22, 16, v25
	v_lshrrev_b32_e32 v18, 16, v21
	s_and_b32 vcc_lo, exec_lo, s12
	s_mov_b32 s13, -1
                                        ; implicit-def: $vgpr3
	v_and_b32_e32 v0, 0xff, v22
	s_delay_alu instid0(VALU_DEP_1)
	v_cmp_ne_u16_e64 s7, 0, v0
	s_cbranch_vccz .LBB4_5323
; %bb.5302:                             ;   in Loop: Header=BB4_4405 Depth=2
	v_dual_mov_b32 v19, 0 :: v_dual_mov_b32 v3, 0
	s_and_saveexec_b32 s13, s7
	s_cbranch_execz .LBB4_5312
; %bb.5303:                             ;   in Loop: Header=BB4_4405 Depth=2
	v_bfrev_b32_e32 v3, 1
	s_mov_b32 s14, exec_lo
	v_cmpx_ne_u16_e32 0x80, v0
	s_cbranch_execz .LBB4_5311
; %bb.5304:                             ;   in Loop: Header=BB4_4405 Depth=2
	v_and_b32_e32 v3, 0x7c0000, v25
	v_bfe_u32 v23, v25, 16, 2
	s_delay_alu instid0(VALU_DEP_2) | instskip(SKIP_1) | instid1(SALU_CYCLE_1)
	v_cmp_ne_u32_e32 vcc_lo, 0x7c0000, v3
                                        ; implicit-def: $vgpr3
	s_and_saveexec_b32 s41, vcc_lo
	s_xor_b32 s41, exec_lo, s41
	s_cbranch_execz .LBB4_5308
; %bb.5305:                             ;   in Loop: Header=BB4_4405 Depth=2
	v_bfe_u32 v3, v25, 18, 5
	s_mov_b32 s42, exec_lo
	s_delay_alu instid0(VALU_DEP_1)
	v_cmpx_eq_u32_e32 0, v3
; %bb.5306:                             ;   in Loop: Header=BB4_4405 Depth=2
	v_clz_i32_u32_e32 v3, v23
	s_delay_alu instid0(VALU_DEP_1) | instskip(NEXT) | instid1(VALU_DEP_1)
	v_min_u32_e32 v3, 32, v3
	v_subrev_nc_u32_e32 v23, 29, v3
	s_delay_alu instid0(VALU_DEP_1) | instskip(NEXT) | instid1(VALU_DEP_1)
	v_lshlrev_b64_e32 v[46:47], v23, v[22:23]
	v_dual_sub_nc_u32 v3, 30, v3 :: v_dual_bitop2_b32 v23, 3, v46 bitop3:0x40
; %bb.5307:                             ;   in Loop: Header=BB4_4405 Depth=2
	s_or_b32 exec_lo, exec_lo, s42
	v_lshlrev_b32_e32 v52, 24, v22
	s_delay_alu instid0(VALU_DEP_1) | instskip(NEXT) | instid1(VALU_DEP_1)
	v_and_b32_e32 v52, 0x80000000, v52
	v_lshl_add_u32 v3, v3, 23, v52
	s_delay_alu instid0(VALU_DEP_1) | instskip(NEXT) | instid1(VALU_DEP_1)
	v_lshl_or_b32 v3, v23, 21, v3
                                        ; implicit-def: $vgpr23
	v_add_nc_u32_e32 v3, 0x38000000, v3
.LBB4_5308:                             ;   in Loop: Header=BB4_4405 Depth=2
	s_and_not1_saveexec_b32 s41, s41
; %bb.5309:                             ;   in Loop: Header=BB4_4405 Depth=2
	v_bfe_i32 v3, v22, 0, 8
	s_delay_alu instid0(VALU_DEP_1) | instskip(SKIP_2) | instid1(VALU_DEP_2)
	v_cmp_lt_i16_e32 vcc_lo, -1, v3
	v_cndmask_b32_e32 v3, 0xff800000, v109, vcc_lo
	v_cmp_eq_u32_e32 vcc_lo, 0, v23
	v_cndmask_b32_e32 v3, 0x7f800001, v3, vcc_lo
; %bb.5310:                             ;   in Loop: Header=BB4_4405 Depth=2
	s_or_b32 exec_lo, exec_lo, s41
.LBB4_5311:                             ;   in Loop: Header=BB4_4405 Depth=2
	s_delay_alu instid0(SALU_CYCLE_1)
	s_or_b32 exec_lo, exec_lo, s14
.LBB4_5312:                             ;   in Loop: Header=BB4_4405 Depth=2
	s_delay_alu instid0(SALU_CYCLE_1) | instskip(SKIP_2) | instid1(VALU_DEP_1)
	s_or_b32 exec_lo, exec_lo, s13
	v_and_b32_e32 v23, 0xff, v18
	s_mov_b32 s13, exec_lo
	v_cmpx_ne_u16_e32 0, v23
	s_cbranch_execz .LBB4_5322
; %bb.5313:                             ;   in Loop: Header=BB4_4405 Depth=2
	v_bfrev_b32_e32 v19, 1
	s_mov_b32 s14, exec_lo
	v_cmpx_ne_u16_e32 0x80, v23
	s_cbranch_execz .LBB4_5321
; %bb.5314:                             ;   in Loop: Header=BB4_4405 Depth=2
	v_and_b32_e32 v19, 0x7c0000, v21
	v_bfe_u32 v23, v21, 16, 2
	s_delay_alu instid0(VALU_DEP_2) | instskip(SKIP_1) | instid1(SALU_CYCLE_1)
	v_cmp_ne_u32_e32 vcc_lo, 0x7c0000, v19
                                        ; implicit-def: $vgpr19
	s_and_saveexec_b32 s41, vcc_lo
	s_xor_b32 s41, exec_lo, s41
	s_cbranch_execz .LBB4_5318
; %bb.5315:                             ;   in Loop: Header=BB4_4405 Depth=2
	v_bfe_u32 v19, v21, 18, 5
	s_mov_b32 s42, exec_lo
	s_delay_alu instid0(VALU_DEP_1)
	v_cmpx_eq_u32_e32 0, v19
; %bb.5316:                             ;   in Loop: Header=BB4_4405 Depth=2
	v_clz_i32_u32_e32 v19, v23
	s_delay_alu instid0(VALU_DEP_1) | instskip(NEXT) | instid1(VALU_DEP_1)
	v_min_u32_e32 v19, 32, v19
	v_subrev_nc_u32_e32 v23, 29, v19
	s_delay_alu instid0(VALU_DEP_1) | instskip(NEXT) | instid1(VALU_DEP_1)
	v_lshlrev_b64_e32 v[46:47], v23, v[18:19]
	v_dual_sub_nc_u32 v19, 30, v19 :: v_dual_bitop2_b32 v23, 3, v46 bitop3:0x40
; %bb.5317:                             ;   in Loop: Header=BB4_4405 Depth=2
	s_or_b32 exec_lo, exec_lo, s42
	v_lshlrev_b32_e32 v52, 24, v18
	s_delay_alu instid0(VALU_DEP_1) | instskip(NEXT) | instid1(VALU_DEP_1)
	v_and_b32_e32 v52, 0x80000000, v52
	v_lshl_add_u32 v19, v19, 23, v52
	s_delay_alu instid0(VALU_DEP_1) | instskip(NEXT) | instid1(VALU_DEP_1)
	v_lshl_or_b32 v19, v23, 21, v19
                                        ; implicit-def: $vgpr23
	v_add_nc_u32_e32 v19, 0x38000000, v19
.LBB4_5318:                             ;   in Loop: Header=BB4_4405 Depth=2
	s_and_not1_saveexec_b32 s41, s41
; %bb.5319:                             ;   in Loop: Header=BB4_4405 Depth=2
	v_bfe_i32 v19, v18, 0, 8
	s_delay_alu instid0(VALU_DEP_1) | instskip(SKIP_2) | instid1(VALU_DEP_2)
	v_cmp_lt_i16_e32 vcc_lo, -1, v19
	v_cndmask_b32_e32 v19, 0xff800000, v109, vcc_lo
	v_cmp_eq_u32_e32 vcc_lo, 0, v23
	v_cndmask_b32_e32 v19, 0x7f800001, v19, vcc_lo
; %bb.5320:                             ;   in Loop: Header=BB4_4405 Depth=2
	s_or_b32 exec_lo, exec_lo, s41
.LBB4_5321:                             ;   in Loop: Header=BB4_4405 Depth=2
	s_delay_alu instid0(SALU_CYCLE_1)
	s_or_b32 exec_lo, exec_lo, s14
.LBB4_5322:                             ;   in Loop: Header=BB4_4405 Depth=2
	s_delay_alu instid0(SALU_CYCLE_1) | instskip(NEXT) | instid1(VALU_DEP_1)
	s_or_b32 exec_lo, exec_lo, s13
	v_max_num_f32_e32 v19, v19, v19
	v_max_num_f32_e32 v3, v3, v3
	s_mov_b32 s13, 0
	s_delay_alu instid0(VALU_DEP_1)
	v_max_num_f32_e32 v3, v3, v19
.LBB4_5323:                             ;   in Loop: Header=BB4_4405 Depth=2
	s_and_b32 vcc_lo, exec_lo, s13
	s_cbranch_vccz .LBB4_5345
; %bb.5324:                             ;   in Loop: Header=BB4_4405 Depth=2
	v_dual_mov_b32 v19, 0 :: v_dual_mov_b32 v3, 0
	s_and_saveexec_b32 s13, s7
	s_cbranch_execz .LBB4_5334
; %bb.5325:                             ;   in Loop: Header=BB4_4405 Depth=2
	v_bfrev_b32_e32 v3, 1
	s_mov_b32 s7, exec_lo
	v_cmpx_ne_u16_e32 0x80, v0
	s_cbranch_execz .LBB4_5333
; %bb.5326:                             ;   in Loop: Header=BB4_4405 Depth=2
	v_and_b32_e32 v3, 0x7c0000, v25
	v_bfe_u32 v0, v25, 16, 2
	s_delay_alu instid0(VALU_DEP_2) | instskip(SKIP_1) | instid1(SALU_CYCLE_1)
	v_cmp_ne_u32_e32 vcc_lo, 0x7c0000, v3
                                        ; implicit-def: $vgpr3
	s_and_saveexec_b32 s14, vcc_lo
	s_xor_b32 s14, exec_lo, s14
	s_cbranch_execz .LBB4_5330
; %bb.5327:                             ;   in Loop: Header=BB4_4405 Depth=2
	v_bfe_u32 v3, v25, 18, 5
	s_mov_b32 s41, exec_lo
	s_delay_alu instid0(VALU_DEP_1)
	v_cmpx_eq_u32_e32 0, v3
; %bb.5328:                             ;   in Loop: Header=BB4_4405 Depth=2
	v_clz_i32_u32_e32 v0, v0
	s_delay_alu instid0(VALU_DEP_1) | instskip(NEXT) | instid1(VALU_DEP_1)
	v_min_u32_e32 v0, 32, v0
	v_subrev_nc_u32_e32 v3, 29, v0
	s_delay_alu instid0(VALU_DEP_1) | instskip(NEXT) | instid1(VALU_DEP_1)
	v_lshlrev_b64_e32 v[46:47], v3, v[22:23]
	v_dual_sub_nc_u32 v3, 30, v0 :: v_dual_bitop2_b32 v0, 3, v46 bitop3:0x40
; %bb.5329:                             ;   in Loop: Header=BB4_4405 Depth=2
	s_or_b32 exec_lo, exec_lo, s41
	v_lshlrev_b32_e32 v22, 24, v22
	s_delay_alu instid0(VALU_DEP_1) | instskip(NEXT) | instid1(VALU_DEP_1)
	v_and_b32_e32 v22, 0x80000000, v22
	v_lshl_add_u32 v3, v3, 23, v22
                                        ; implicit-def: $vgpr22
	s_delay_alu instid0(VALU_DEP_1) | instskip(NEXT) | instid1(VALU_DEP_1)
	v_lshl_or_b32 v0, v0, 21, v3
	v_add_nc_u32_e32 v3, 0x38000000, v0
                                        ; implicit-def: $vgpr0
.LBB4_5330:                             ;   in Loop: Header=BB4_4405 Depth=2
	s_and_not1_saveexec_b32 s14, s14
; %bb.5331:                             ;   in Loop: Header=BB4_4405 Depth=2
	v_bfe_i32 v3, v22, 0, 8
	s_delay_alu instid0(VALU_DEP_1) | instskip(SKIP_2) | instid1(VALU_DEP_2)
	v_cmp_lt_i16_e32 vcc_lo, -1, v3
	v_cndmask_b32_e32 v3, 0xff800000, v109, vcc_lo
	v_cmp_eq_u32_e32 vcc_lo, 0, v0
	v_cndmask_b32_e32 v3, 0x7f800001, v3, vcc_lo
; %bb.5332:                             ;   in Loop: Header=BB4_4405 Depth=2
	s_or_b32 exec_lo, exec_lo, s14
.LBB4_5333:                             ;   in Loop: Header=BB4_4405 Depth=2
	s_delay_alu instid0(SALU_CYCLE_1)
	s_or_b32 exec_lo, exec_lo, s7
.LBB4_5334:                             ;   in Loop: Header=BB4_4405 Depth=2
	s_delay_alu instid0(SALU_CYCLE_1) | instskip(SKIP_2) | instid1(VALU_DEP_1)
	s_or_b32 exec_lo, exec_lo, s13
	v_and_b32_e32 v0, 0xff, v18
	s_mov_b32 s7, exec_lo
	v_cmpx_ne_u16_e32 0, v0
	s_cbranch_execz .LBB4_5344
; %bb.5335:                             ;   in Loop: Header=BB4_4405 Depth=2
	v_bfrev_b32_e32 v19, 1
	s_mov_b32 s13, exec_lo
	v_cmpx_ne_u16_e32 0x80, v0
	s_cbranch_execz .LBB4_5343
; %bb.5336:                             ;   in Loop: Header=BB4_4405 Depth=2
	v_and_b32_e32 v19, 0x7c0000, v21
	v_bfe_u32 v0, v21, 16, 2
	s_delay_alu instid0(VALU_DEP_2) | instskip(SKIP_1) | instid1(SALU_CYCLE_1)
	v_cmp_ne_u32_e32 vcc_lo, 0x7c0000, v19
                                        ; implicit-def: $vgpr19
	s_and_saveexec_b32 s14, vcc_lo
	s_xor_b32 s14, exec_lo, s14
	s_cbranch_execz .LBB4_5340
; %bb.5337:                             ;   in Loop: Header=BB4_4405 Depth=2
	v_bfe_u32 v19, v21, 18, 5
	s_mov_b32 s41, exec_lo
	s_delay_alu instid0(VALU_DEP_1)
	v_cmpx_eq_u32_e32 0, v19
; %bb.5338:                             ;   in Loop: Header=BB4_4405 Depth=2
	v_clz_i32_u32_e32 v0, v0
	s_delay_alu instid0(VALU_DEP_1) | instskip(NEXT) | instid1(VALU_DEP_1)
	v_min_u32_e32 v0, 32, v0
	v_subrev_nc_u32_e32 v19, 29, v0
	s_delay_alu instid0(VALU_DEP_1) | instskip(NEXT) | instid1(VALU_DEP_1)
	v_lshlrev_b64_e32 v[22:23], v19, v[18:19]
	v_dual_sub_nc_u32 v19, 30, v0 :: v_dual_bitop2_b32 v0, 3, v22 bitop3:0x40
; %bb.5339:                             ;   in Loop: Header=BB4_4405 Depth=2
	s_or_b32 exec_lo, exec_lo, s41
	v_lshlrev_b32_e32 v18, 24, v18
	s_delay_alu instid0(VALU_DEP_1) | instskip(NEXT) | instid1(VALU_DEP_1)
	v_and_b32_e32 v18, 0x80000000, v18
	v_lshl_add_u32 v18, v19, 23, v18
	s_delay_alu instid0(VALU_DEP_1) | instskip(NEXT) | instid1(VALU_DEP_1)
	v_lshl_or_b32 v0, v0, 21, v18
                                        ; implicit-def: $vgpr18
	v_add_nc_u32_e32 v19, 0x38000000, v0
                                        ; implicit-def: $vgpr0
.LBB4_5340:                             ;   in Loop: Header=BB4_4405 Depth=2
	s_and_not1_saveexec_b32 s14, s14
; %bb.5341:                             ;   in Loop: Header=BB4_4405 Depth=2
	v_bfe_i32 v18, v18, 0, 8
	s_delay_alu instid0(VALU_DEP_1) | instskip(SKIP_2) | instid1(VALU_DEP_2)
	v_cmp_lt_i16_e32 vcc_lo, -1, v18
	v_cndmask_b32_e32 v18, 0xff800000, v109, vcc_lo
	v_cmp_eq_u32_e32 vcc_lo, 0, v0
	v_cndmask_b32_e32 v19, 0x7f800001, v18, vcc_lo
; %bb.5342:                             ;   in Loop: Header=BB4_4405 Depth=2
	s_or_b32 exec_lo, exec_lo, s14
.LBB4_5343:                             ;   in Loop: Header=BB4_4405 Depth=2
	s_delay_alu instid0(SALU_CYCLE_1)
	s_or_b32 exec_lo, exec_lo, s13
.LBB4_5344:                             ;   in Loop: Header=BB4_4405 Depth=2
	s_delay_alu instid0(SALU_CYCLE_1) | instskip(NEXT) | instid1(VALU_DEP_1)
	s_or_b32 exec_lo, exec_lo, s7
	v_max_num_f32_e32 v0, v19, v19
	v_max_num_f32_e32 v3, v3, v3
	s_delay_alu instid0(VALU_DEP_1)
	v_min_num_f32_e32 v3, v3, v0
.LBB4_5345:                             ;   in Loop: Header=BB4_4405 Depth=2
	s_delay_alu instid0(VALU_DEP_1) | instskip(SKIP_3) | instid1(VALU_DEP_2)
	v_and_b32_e32 v18, 0x7f800000, v3
	v_dual_mov_b32 v19, v53 :: v_dual_lshrrev_b32 v0, 24, v3
	v_and_b32_e32 v52, 0x7fffff, v3
                                        ; implicit-def: $vgpr103
	s_mov_b32 s7, exec_lo
	v_cmpx_ne_u64_e32 0x7f800000, v[18:19]
	s_xor_b32 s13, exec_lo, s7
	s_cbranch_execz .LBB4_5359
; %bb.5346:                             ;   in Loop: Header=BB4_4405 Depth=2
	v_and_b32_e32 v18, 0x7fffffff, v3
	v_mov_b32_e32 v19, v53
	v_and_b32_e32 v0, 0x80, v0
                                        ; implicit-def: $vgpr103
	s_mov_b32 s7, exec_lo
	s_delay_alu instid0(VALU_DEP_2)
	v_cmpx_gt_u64_e32 0x47600001, v[18:19]
	s_xor_b32 s14, exec_lo, s7
	s_cbranch_execz .LBB4_5356
; %bb.5347:                             ;   in Loop: Header=BB4_4405 Depth=2
	v_mov_b32_e32 v103, 0
	s_mov_b32 s41, exec_lo
	v_cmpx_ne_u32_e32 0, v3
	s_cbranch_execz .LBB4_5355
; %bb.5348:                             ;   in Loop: Header=BB4_4405 Depth=2
	v_bfe_u32 v3, v3, 23, 8
	v_or_b32_e32 v22, 0x800000, v52
	s_delay_alu instid0(VALU_DEP_2) | instskip(SKIP_1) | instid1(VALU_DEP_2)
	v_sub_nc_u32_e32 v18, 0x71, v3
	v_cmp_gt_u32_e32 vcc_lo, 0x72, v3
	v_cndmask_b32_e32 v18, 0, v18, vcc_lo
	v_cmp_eq_u32_e32 vcc_lo, 0, v3
	s_delay_alu instid0(VALU_DEP_2) | instskip(NEXT) | instid1(VALU_DEP_1)
	v_cndmask_b32_e64 v103, v18, 0x70, vcc_lo
	v_dual_cndmask_b32 v52, v22, v52, vcc_lo :: v_dual_add_nc_u32 v18, 21, v103
	v_add_nc_u32_e32 v23, 20, v103
	s_delay_alu instid0(VALU_DEP_2) | instskip(NEXT) | instid1(VALU_DEP_2)
	v_lshlrev_b64_e64 v[18:19], v18, -1
	v_lshlrev_b64_e64 v[22:23], v23, 1
	s_delay_alu instid0(VALU_DEP_2) | instskip(NEXT) | instid1(VALU_DEP_3)
	v_bfi_b32 v47, v19, 0, 0
	v_bfi_b32 v46, v18, 0, v52
	v_lshrrev_b64 v[18:19], v103, v[52:53]
	s_delay_alu instid0(VALU_DEP_2) | instskip(NEXT) | instid1(VALU_DEP_2)
	v_cmp_eq_u64_e64 s7, v[46:47], v[22:23]
	v_mov_b64_e32 v[22:23], v[18:19]
	s_and_saveexec_b32 s42, s7
; %bb.5349:                             ;   in Loop: Header=BB4_4405 Depth=2
	v_bfe_u32 v52, v18, 21, 1
	s_delay_alu instid0(VALU_DEP_1) | instskip(NEXT) | instid1(VALU_DEP_1)
	v_add_nc_u64_e32 v[22:23], v[18:19], v[52:53]
	v_add_nc_u64_e32 v[22:23], -1, v[22:23]
; %bb.5350:                             ;   in Loop: Header=BB4_4405 Depth=2
	s_or_b32 exec_lo, exec_lo, s42
	v_add_nc_u32_e32 v3, 0xffffff81, v3
	v_lshrrev_b32_e32 v19, 23, v18
	s_mov_b32 s7, exec_lo
	s_delay_alu instid0(VALU_DEP_2) | instskip(NEXT) | instid1(VALU_DEP_1)
	v_cndmask_b32_e64 v3, v3, 0xffffff82, vcc_lo
	v_add3_u32 v23, v103, v3, v19
	v_and_b32_e32 v3, 0x1fffff, v22
	s_delay_alu instid0(VALU_DEP_1) | instskip(NEXT) | instid1(VALU_DEP_1)
	v_dual_add_nc_u32 v22, 14, v23 :: v_dual_add_nc_u32 v52, v3, v18
                                        ; implicit-def: $vgpr18_vgpr19
                                        ; implicit-def: $vgpr3
	v_cmpx_ne_u32_e32 0, v22
	s_xor_b32 s7, exec_lo, s7
; %bb.5351:                             ;   in Loop: Header=BB4_4405 Depth=2
	s_delay_alu instid0(VALU_DEP_2) | instskip(SKIP_2) | instid1(VALU_DEP_2)
	v_cmp_lt_u64_e32 vcc_lo, 0xffffff, v[52:53]
	v_add_nc_u32_e32 v3, 15, v23
	v_cndmask_b32_e64 v18, 0, 1, vcc_lo
	v_cndmask_b32_e32 v3, v22, v3, vcc_lo
	s_delay_alu instid0(VALU_DEP_2)
	v_lshrrev_b64 v[18:19], v18, v[52:53]
; %bb.5352:                             ;   in Loop: Header=BB4_4405 Depth=2
	s_and_not1_saveexec_b32 s7, s7
; %bb.5353:                             ;   in Loop: Header=BB4_4405 Depth=2
	v_mov_b64_e32 v[18:19], v[52:53]
	v_bfe_u32 v3, v52, 23, 1
; %bb.5354:                             ;   in Loop: Header=BB4_4405 Depth=2
	s_or_b32 exec_lo, exec_lo, s7
	s_delay_alu instid0(VALU_DEP_2) | instskip(NEXT) | instid1(VALU_DEP_2)
	v_lshrrev_b64 v[18:19], 21, v[18:19]
	v_cmp_gt_i32_e32 vcc_lo, 32, v3
	v_min_i32_e32 v22, 31, v3
	v_cmp_eq_u32_e64 s7, 0, v3
	s_delay_alu instid0(VALU_DEP_4) | instskip(NEXT) | instid1(VALU_DEP_3)
	v_cndmask_b32_e32 v18, 3, v18, vcc_lo
	v_dual_cndmask_b32 v19, 0, v19 :: v_dual_lshlrev_b32 v22, 2, v22
	s_delay_alu instid0(VALU_DEP_1) | instskip(NEXT) | instid1(VALU_DEP_2)
	v_and_b32_e32 v22, 0xfc, v22
	v_cmp_eq_u64_e32 vcc_lo, 0, v[18:19]
	s_delay_alu instid0(VALU_DEP_2)
	v_and_or_b32 v3, v18, 3, v22
	s_and_b32 s7, s7, vcc_lo
	s_delay_alu instid0(VALU_DEP_1) | instid1(SALU_CYCLE_1)
	v_cndmask_b32_e64 v3, v3, 0, s7
	s_delay_alu instid0(VALU_DEP_1)
	v_or_b32_e32 v103, v3, v0
.LBB4_5355:                             ;   in Loop: Header=BB4_4405 Depth=2
	s_or_b32 exec_lo, exec_lo, s41
                                        ; implicit-def: $vgpr0
.LBB4_5356:                             ;   in Loop: Header=BB4_4405 Depth=2
	s_and_not1_saveexec_b32 s7, s14
; %bb.5357:                             ;   in Loop: Header=BB4_4405 Depth=2
	v_or_b32_e32 v103, 0x7b, v0
; %bb.5358:                             ;   in Loop: Header=BB4_4405 Depth=2
	s_or_b32 exec_lo, exec_lo, s7
                                        ; implicit-def: $vgpr3
                                        ; implicit-def: $vgpr0
.LBB4_5359:                             ;   in Loop: Header=BB4_4405 Depth=2
	s_and_not1_saveexec_b32 s7, s13
	s_cbranch_execz .LBB4_5365
; %bb.5360:                             ;   in Loop: Header=BB4_4405 Depth=2
	s_mov_b32 s13, exec_lo
                                        ; implicit-def: $vgpr103
	v_cmpx_ne_u64_e32 0, v[52:53]
	s_xor_b32 s13, exec_lo, s13
; %bb.5361:                             ;   in Loop: Header=BB4_4405 Depth=2
	v_or_b32_e32 v103, 0x7f, v0
                                        ; implicit-def: $vgpr3
; %bb.5362:                             ;   in Loop: Header=BB4_4405 Depth=2
	s_and_not1_saveexec_b32 s13, s13
; %bb.5363:                             ;   in Loop: Header=BB4_4405 Depth=2
	v_cmp_lt_i32_e32 vcc_lo, -1, v3
	v_cndmask_b32_e32 v103, 0xfc, v110, vcc_lo
; %bb.5364:                             ;   in Loop: Header=BB4_4405 Depth=2
	s_or_b32 exec_lo, exec_lo, s13
.LBB4_5365:                             ;   in Loop: Header=BB4_4405 Depth=2
	s_delay_alu instid0(SALU_CYCLE_1)
	s_or_b32 exec_lo, exec_lo, s7
	v_cmp_lt_u64_e64 s7, s[16:17], v[24:25]
	v_lshrrev_b32_e32 v22, 24, v25
	v_lshrrev_b32_e32 v18, 24, v21
	s_and_b32 vcc_lo, exec_lo, s12
	s_mov_b32 s13, -1
                                        ; implicit-def: $vgpr19
	s_cbranch_vccz .LBB4_5387
; %bb.5366:                             ;   in Loop: Header=BB4_4405 Depth=2
	v_dual_mov_b32 v3, 0 :: v_dual_mov_b32 v0, 0
	s_and_saveexec_b32 s13, s7
	s_cbranch_execz .LBB4_5376
; %bb.5367:                             ;   in Loop: Header=BB4_4405 Depth=2
	v_bfrev_b32_e32 v0, 1
	s_mov_b32 s14, exec_lo
	v_cmpx_ne_u32_e32 0x80, v22
	s_cbranch_execz .LBB4_5375
; %bb.5368:                             ;   in Loop: Header=BB4_4405 Depth=2
	v_and_b32_e32 v0, 0x7c000000, v25
	v_bfe_u32 v19, v25, 24, 2
	s_delay_alu instid0(VALU_DEP_2) | instskip(SKIP_1) | instid1(SALU_CYCLE_1)
	v_cmp_ne_u32_e32 vcc_lo, 0x7c000000, v0
                                        ; implicit-def: $vgpr0
	s_and_saveexec_b32 s41, vcc_lo
	s_xor_b32 s41, exec_lo, s41
	s_cbranch_execz .LBB4_5372
; %bb.5369:                             ;   in Loop: Header=BB4_4405 Depth=2
	v_bfe_u32 v0, v25, 26, 5
	s_mov_b32 s42, exec_lo
	s_delay_alu instid0(VALU_DEP_1)
	v_cmpx_eq_u32_e32 0, v0
; %bb.5370:                             ;   in Loop: Header=BB4_4405 Depth=2
	v_clz_i32_u32_e32 v0, v19
	s_delay_alu instid0(VALU_DEP_1) | instskip(NEXT) | instid1(VALU_DEP_1)
	v_min_u32_e32 v0, 32, v0
	v_subrev_nc_u32_e32 v19, 29, v0
	s_delay_alu instid0(VALU_DEP_1) | instskip(NEXT) | instid1(VALU_DEP_1)
	v_lshlrev_b64_e32 v[46:47], v19, v[22:23]
	v_dual_sub_nc_u32 v0, 30, v0 :: v_dual_bitop2_b32 v19, 3, v46 bitop3:0x40
; %bb.5371:                             ;   in Loop: Header=BB4_4405 Depth=2
	s_or_b32 exec_lo, exec_lo, s42
	v_and_b32_e32 v23, 0x80000000, v25
	s_delay_alu instid0(VALU_DEP_1) | instskip(NEXT) | instid1(VALU_DEP_1)
	v_lshl_add_u32 v0, v0, 23, v23
	v_lshl_or_b32 v0, v19, 21, v0
                                        ; implicit-def: $vgpr19
	s_delay_alu instid0(VALU_DEP_1)
	v_add_nc_u32_e32 v0, 0x38000000, v0
.LBB4_5372:                             ;   in Loop: Header=BB4_4405 Depth=2
	s_and_not1_saveexec_b32 s41, s41
; %bb.5373:                             ;   in Loop: Header=BB4_4405 Depth=2
	v_cmp_lt_i64_e32 vcc_lo, -1, v[24:25]
	v_cndmask_b32_e32 v0, 0xff800000, v109, vcc_lo
	v_cmp_eq_u32_e32 vcc_lo, 0, v19
	s_delay_alu instid0(VALU_DEP_2)
	v_cndmask_b32_e32 v0, 0x7f800001, v0, vcc_lo
; %bb.5374:                             ;   in Loop: Header=BB4_4405 Depth=2
	s_or_b32 exec_lo, exec_lo, s41
.LBB4_5375:                             ;   in Loop: Header=BB4_4405 Depth=2
	s_delay_alu instid0(SALU_CYCLE_1)
	s_or_b32 exec_lo, exec_lo, s14
.LBB4_5376:                             ;   in Loop: Header=BB4_4405 Depth=2
	s_delay_alu instid0(SALU_CYCLE_1) | instskip(NEXT) | instid1(SALU_CYCLE_1)
	s_or_b32 exec_lo, exec_lo, s13
	s_mov_b32 s13, exec_lo
	v_cmpx_lt_u64_e64 s[16:17], v[20:21]
	s_cbranch_execz .LBB4_5386
; %bb.5377:                             ;   in Loop: Header=BB4_4405 Depth=2
	v_bfrev_b32_e32 v3, 1
	s_mov_b32 s14, exec_lo
	v_cmpx_ne_u32_e32 0x80, v18
	s_cbranch_execz .LBB4_5385
; %bb.5378:                             ;   in Loop: Header=BB4_4405 Depth=2
	v_and_b32_e32 v3, 0x7c000000, v21
	v_bfe_u32 v19, v21, 24, 2
	s_delay_alu instid0(VALU_DEP_2) | instskip(SKIP_1) | instid1(SALU_CYCLE_1)
	v_cmp_ne_u32_e32 vcc_lo, 0x7c000000, v3
                                        ; implicit-def: $vgpr3
	s_and_saveexec_b32 s41, vcc_lo
	s_xor_b32 s41, exec_lo, s41
	s_cbranch_execz .LBB4_5382
; %bb.5379:                             ;   in Loop: Header=BB4_4405 Depth=2
	v_bfe_u32 v3, v21, 26, 5
	s_mov_b32 s42, exec_lo
	s_delay_alu instid0(VALU_DEP_1)
	v_cmpx_eq_u32_e32 0, v3
; %bb.5380:                             ;   in Loop: Header=BB4_4405 Depth=2
	v_clz_i32_u32_e32 v3, v19
	s_delay_alu instid0(VALU_DEP_1) | instskip(NEXT) | instid1(VALU_DEP_1)
	v_min_u32_e32 v3, 32, v3
	v_subrev_nc_u32_e32 v19, 29, v3
	s_delay_alu instid0(VALU_DEP_1) | instskip(NEXT) | instid1(VALU_DEP_1)
	v_lshlrev_b64_e32 v[46:47], v19, v[18:19]
	v_dual_sub_nc_u32 v3, 30, v3 :: v_dual_bitop2_b32 v19, 3, v46 bitop3:0x40
; %bb.5381:                             ;   in Loop: Header=BB4_4405 Depth=2
	s_or_b32 exec_lo, exec_lo, s42
	v_and_b32_e32 v23, 0x80000000, v21
	s_delay_alu instid0(VALU_DEP_1) | instskip(NEXT) | instid1(VALU_DEP_1)
	v_lshl_add_u32 v3, v3, 23, v23
	v_lshl_or_b32 v3, v19, 21, v3
                                        ; implicit-def: $vgpr19
	s_delay_alu instid0(VALU_DEP_1)
	v_add_nc_u32_e32 v3, 0x38000000, v3
.LBB4_5382:                             ;   in Loop: Header=BB4_4405 Depth=2
	s_and_not1_saveexec_b32 s41, s41
; %bb.5383:                             ;   in Loop: Header=BB4_4405 Depth=2
	v_cmp_lt_i64_e32 vcc_lo, -1, v[20:21]
	v_cndmask_b32_e32 v3, 0xff800000, v109, vcc_lo
	v_cmp_eq_u32_e32 vcc_lo, 0, v19
	s_delay_alu instid0(VALU_DEP_2)
	v_cndmask_b32_e32 v3, 0x7f800001, v3, vcc_lo
; %bb.5384:                             ;   in Loop: Header=BB4_4405 Depth=2
	s_or_b32 exec_lo, exec_lo, s41
.LBB4_5385:                             ;   in Loop: Header=BB4_4405 Depth=2
	s_delay_alu instid0(SALU_CYCLE_1)
	s_or_b32 exec_lo, exec_lo, s14
.LBB4_5386:                             ;   in Loop: Header=BB4_4405 Depth=2
	s_delay_alu instid0(SALU_CYCLE_1) | instskip(NEXT) | instid1(VALU_DEP_1)
	s_or_b32 exec_lo, exec_lo, s13
	v_dual_max_num_f32 v3, v3, v3 :: v_dual_max_num_f32 v0, v0, v0
	s_mov_b32 s13, 0
	s_delay_alu instid0(VALU_DEP_1)
	v_max_num_f32_e32 v19, v0, v3
.LBB4_5387:                             ;   in Loop: Header=BB4_4405 Depth=2
	s_and_b32 vcc_lo, exec_lo, s13
	s_cbranch_vccz .LBB4_5409
; %bb.5388:                             ;   in Loop: Header=BB4_4405 Depth=2
	v_dual_mov_b32 v3, 0 :: v_dual_mov_b32 v0, 0
	s_and_saveexec_b32 s13, s7
	s_cbranch_execz .LBB4_5398
; %bb.5389:                             ;   in Loop: Header=BB4_4405 Depth=2
	v_bfrev_b32_e32 v0, 1
	s_mov_b32 s7, exec_lo
	v_cmpx_ne_u32_e32 0x80, v22
	s_cbranch_execz .LBB4_5397
; %bb.5390:                             ;   in Loop: Header=BB4_4405 Depth=2
	v_and_b32_e32 v0, 0x7c000000, v25
	v_bfe_u32 v19, v25, 24, 2
	s_delay_alu instid0(VALU_DEP_2) | instskip(SKIP_1) | instid1(SALU_CYCLE_1)
	v_cmp_ne_u32_e32 vcc_lo, 0x7c000000, v0
                                        ; implicit-def: $vgpr0
	s_and_saveexec_b32 s14, vcc_lo
	s_xor_b32 s14, exec_lo, s14
	s_cbranch_execz .LBB4_5394
; %bb.5391:                             ;   in Loop: Header=BB4_4405 Depth=2
	v_bfe_u32 v0, v25, 26, 5
	s_mov_b32 s41, exec_lo
	s_delay_alu instid0(VALU_DEP_1)
	v_cmpx_eq_u32_e32 0, v0
; %bb.5392:                             ;   in Loop: Header=BB4_4405 Depth=2
	v_clz_i32_u32_e32 v0, v19
	s_delay_alu instid0(VALU_DEP_1) | instskip(NEXT) | instid1(VALU_DEP_1)
	v_min_u32_e32 v0, 32, v0
	v_subrev_nc_u32_e32 v19, 29, v0
	s_delay_alu instid0(VALU_DEP_1) | instskip(NEXT) | instid1(VALU_DEP_1)
	v_lshlrev_b64_e32 v[22:23], v19, v[22:23]
	v_dual_sub_nc_u32 v0, 30, v0 :: v_dual_bitop2_b32 v19, 3, v22 bitop3:0x40
; %bb.5393:                             ;   in Loop: Header=BB4_4405 Depth=2
	s_or_b32 exec_lo, exec_lo, s41
	v_and_b32_e32 v22, 0x80000000, v25
                                        ; implicit-def: $vgpr24_vgpr25
	s_delay_alu instid0(VALU_DEP_1) | instskip(NEXT) | instid1(VALU_DEP_1)
	v_lshl_add_u32 v0, v0, 23, v22
	v_lshl_or_b32 v0, v19, 21, v0
                                        ; implicit-def: $vgpr19
	s_delay_alu instid0(VALU_DEP_1)
	v_add_nc_u32_e32 v0, 0x38000000, v0
.LBB4_5394:                             ;   in Loop: Header=BB4_4405 Depth=2
	s_and_not1_saveexec_b32 s14, s14
; %bb.5395:                             ;   in Loop: Header=BB4_4405 Depth=2
	v_cmp_lt_i64_e32 vcc_lo, -1, v[24:25]
	v_cndmask_b32_e32 v0, 0xff800000, v109, vcc_lo
	v_cmp_eq_u32_e32 vcc_lo, 0, v19
	s_delay_alu instid0(VALU_DEP_2)
	v_cndmask_b32_e32 v0, 0x7f800001, v0, vcc_lo
; %bb.5396:                             ;   in Loop: Header=BB4_4405 Depth=2
	s_or_b32 exec_lo, exec_lo, s14
.LBB4_5397:                             ;   in Loop: Header=BB4_4405 Depth=2
	s_delay_alu instid0(SALU_CYCLE_1)
	s_or_b32 exec_lo, exec_lo, s7
.LBB4_5398:                             ;   in Loop: Header=BB4_4405 Depth=2
	s_delay_alu instid0(SALU_CYCLE_1) | instskip(NEXT) | instid1(SALU_CYCLE_1)
	s_or_b32 exec_lo, exec_lo, s13
	s_mov_b32 s7, exec_lo
	v_cmpx_lt_u64_e64 s[16:17], v[20:21]
	s_cbranch_execz .LBB4_5408
; %bb.5399:                             ;   in Loop: Header=BB4_4405 Depth=2
	v_bfrev_b32_e32 v3, 1
	s_mov_b32 s13, exec_lo
	v_cmpx_ne_u32_e32 0x80, v18
	s_cbranch_execz .LBB4_5407
; %bb.5400:                             ;   in Loop: Header=BB4_4405 Depth=2
	v_and_b32_e32 v3, 0x7c000000, v21
	v_bfe_u32 v19, v21, 24, 2
	s_delay_alu instid0(VALU_DEP_2) | instskip(SKIP_1) | instid1(SALU_CYCLE_1)
	v_cmp_ne_u32_e32 vcc_lo, 0x7c000000, v3
                                        ; implicit-def: $vgpr3
	s_and_saveexec_b32 s14, vcc_lo
	s_xor_b32 s14, exec_lo, s14
	s_cbranch_execz .LBB4_5404
; %bb.5401:                             ;   in Loop: Header=BB4_4405 Depth=2
	v_bfe_u32 v3, v21, 26, 5
	s_mov_b32 s41, exec_lo
	s_delay_alu instid0(VALU_DEP_1)
	v_cmpx_eq_u32_e32 0, v3
; %bb.5402:                             ;   in Loop: Header=BB4_4405 Depth=2
	v_clz_i32_u32_e32 v3, v19
	s_delay_alu instid0(VALU_DEP_1) | instskip(NEXT) | instid1(VALU_DEP_1)
	v_min_u32_e32 v3, 32, v3
	v_subrev_nc_u32_e32 v19, 29, v3
	s_delay_alu instid0(VALU_DEP_1) | instskip(NEXT) | instid1(VALU_DEP_1)
	v_lshlrev_b64_e32 v[18:19], v19, v[18:19]
	v_dual_sub_nc_u32 v3, 30, v3 :: v_dual_bitop2_b32 v19, 3, v18 bitop3:0x40
; %bb.5403:                             ;   in Loop: Header=BB4_4405 Depth=2
	s_or_b32 exec_lo, exec_lo, s41
	v_and_b32_e32 v18, 0x80000000, v21
                                        ; implicit-def: $vgpr20_vgpr21
	s_delay_alu instid0(VALU_DEP_1) | instskip(NEXT) | instid1(VALU_DEP_1)
	v_lshl_add_u32 v3, v3, 23, v18
	v_lshl_or_b32 v3, v19, 21, v3
                                        ; implicit-def: $vgpr19
	s_delay_alu instid0(VALU_DEP_1)
	v_add_nc_u32_e32 v3, 0x38000000, v3
.LBB4_5404:                             ;   in Loop: Header=BB4_4405 Depth=2
	s_and_not1_saveexec_b32 s14, s14
; %bb.5405:                             ;   in Loop: Header=BB4_4405 Depth=2
	v_cmp_lt_i64_e32 vcc_lo, -1, v[20:21]
	v_cndmask_b32_e32 v3, 0xff800000, v109, vcc_lo
	v_cmp_eq_u32_e32 vcc_lo, 0, v19
	s_delay_alu instid0(VALU_DEP_2)
	v_cndmask_b32_e32 v3, 0x7f800001, v3, vcc_lo
; %bb.5406:                             ;   in Loop: Header=BB4_4405 Depth=2
	s_or_b32 exec_lo, exec_lo, s14
.LBB4_5407:                             ;   in Loop: Header=BB4_4405 Depth=2
	s_delay_alu instid0(SALU_CYCLE_1)
	s_or_b32 exec_lo, exec_lo, s13
.LBB4_5408:                             ;   in Loop: Header=BB4_4405 Depth=2
	s_delay_alu instid0(SALU_CYCLE_1) | instskip(NEXT) | instid1(VALU_DEP_1)
	s_or_b32 exec_lo, exec_lo, s7
	v_dual_max_num_f32 v3, v3, v3 :: v_dual_max_num_f32 v0, v0, v0
	s_delay_alu instid0(VALU_DEP_1)
	v_min_num_f32_e32 v19, v0, v3
.LBB4_5409:                             ;   in Loop: Header=BB4_4405 Depth=2
	s_delay_alu instid0(VALU_DEP_1) | instskip(SKIP_3) | instid1(VALU_DEP_2)
	v_and_b32_e32 v20, 0x7f800000, v19
	v_dual_mov_b32 v21, v53 :: v_dual_lshrrev_b32 v3, 24, v19
	v_and_b32_e32 v52, 0x7fffff, v19
                                        ; implicit-def: $vgpr0
	s_mov_b32 s7, exec_lo
	v_cmpx_ne_u64_e32 0x7f800000, v[20:21]
	s_xor_b32 s13, exec_lo, s7
	s_cbranch_execz .LBB4_5423
; %bb.5410:                             ;   in Loop: Header=BB4_4405 Depth=2
	v_and_b32_e32 v20, 0x7fffffff, v19
	v_mov_b32_e32 v21, v53
	v_and_b32_e32 v3, 0x80, v3
                                        ; implicit-def: $vgpr0
	s_mov_b32 s7, exec_lo
	s_delay_alu instid0(VALU_DEP_2)
	v_cmpx_gt_u64_e32 0x47600001, v[20:21]
	s_xor_b32 s14, exec_lo, s7
	s_cbranch_execz .LBB4_5420
; %bb.5411:                             ;   in Loop: Header=BB4_4405 Depth=2
	v_mov_b32_e32 v0, 0
	s_mov_b32 s41, exec_lo
	v_cmpx_ne_u32_e32 0, v19
	s_cbranch_execz .LBB4_5419
; %bb.5412:                             ;   in Loop: Header=BB4_4405 Depth=2
	v_bfe_u32 v0, v19, 23, 8
	v_or_b32_e32 v20, 0x800000, v52
	s_delay_alu instid0(VALU_DEP_2) | instskip(SKIP_1) | instid1(VALU_DEP_2)
	v_sub_nc_u32_e32 v18, 0x71, v0
	v_cmp_gt_u32_e32 vcc_lo, 0x72, v0
	v_cndmask_b32_e32 v18, 0, v18, vcc_lo
	v_cmp_eq_u32_e32 vcc_lo, 0, v0
	v_cndmask_b32_e32 v52, v20, v52, vcc_lo
	s_delay_alu instid0(VALU_DEP_3) | instskip(NEXT) | instid1(VALU_DEP_1)
	v_cndmask_b32_e64 v22, v18, 0x70, vcc_lo
	v_dual_add_nc_u32 v18, 21, v22 :: v_dual_add_nc_u32 v21, 20, v22
	s_delay_alu instid0(VALU_DEP_1) | instskip(NEXT) | instid1(VALU_DEP_2)
	v_lshlrev_b64_e64 v[18:19], v18, -1
	v_lshlrev_b64_e64 v[20:21], v21, 1
	s_delay_alu instid0(VALU_DEP_2) | instskip(NEXT) | instid1(VALU_DEP_3)
	v_bfi_b32 v25, v19, 0, 0
	v_bfi_b32 v24, v18, 0, v52
	v_lshrrev_b64 v[18:19], v22, v[52:53]
	s_delay_alu instid0(VALU_DEP_2) | instskip(NEXT) | instid1(VALU_DEP_2)
	v_cmp_eq_u64_e64 s7, v[24:25], v[20:21]
	v_mov_b64_e32 v[20:21], v[18:19]
	s_and_saveexec_b32 s42, s7
; %bb.5413:                             ;   in Loop: Header=BB4_4405 Depth=2
	v_bfe_u32 v52, v18, 21, 1
	s_delay_alu instid0(VALU_DEP_1) | instskip(NEXT) | instid1(VALU_DEP_1)
	v_add_nc_u64_e32 v[20:21], v[18:19], v[52:53]
	v_add_nc_u64_e32 v[20:21], -1, v[20:21]
; %bb.5414:                             ;   in Loop: Header=BB4_4405 Depth=2
	s_or_b32 exec_lo, exec_lo, s42
	v_add_nc_u32_e32 v0, 0xffffff81, v0
	v_lshrrev_b32_e32 v19, 23, v18
	s_mov_b32 s7, exec_lo
	s_delay_alu instid0(VALU_DEP_2) | instskip(NEXT) | instid1(VALU_DEP_1)
	v_cndmask_b32_e64 v0, v0, 0xffffff82, vcc_lo
	v_add3_u32 v21, v22, v0, v19
	v_and_b32_e32 v0, 0x1fffff, v20
	s_delay_alu instid0(VALU_DEP_1) | instskip(NEXT) | instid1(VALU_DEP_1)
	v_dual_add_nc_u32 v20, 14, v21 :: v_dual_add_nc_u32 v52, v0, v18
                                        ; implicit-def: $vgpr18_vgpr19
                                        ; implicit-def: $vgpr0
	v_cmpx_ne_u32_e32 0, v20
	s_xor_b32 s7, exec_lo, s7
; %bb.5415:                             ;   in Loop: Header=BB4_4405 Depth=2
	s_delay_alu instid0(VALU_DEP_2) | instskip(SKIP_2) | instid1(VALU_DEP_2)
	v_cmp_lt_u64_e32 vcc_lo, 0xffffff, v[52:53]
	v_add_nc_u32_e32 v0, 15, v21
	v_cndmask_b32_e64 v18, 0, 1, vcc_lo
	v_cndmask_b32_e32 v0, v20, v0, vcc_lo
	s_delay_alu instid0(VALU_DEP_2)
	v_lshrrev_b64 v[18:19], v18, v[52:53]
; %bb.5416:                             ;   in Loop: Header=BB4_4405 Depth=2
	s_and_not1_saveexec_b32 s7, s7
; %bb.5417:                             ;   in Loop: Header=BB4_4405 Depth=2
	v_mov_b64_e32 v[18:19], v[52:53]
	v_bfe_u32 v0, v52, 23, 1
; %bb.5418:                             ;   in Loop: Header=BB4_4405 Depth=2
	s_or_b32 exec_lo, exec_lo, s7
	s_delay_alu instid0(VALU_DEP_2) | instskip(NEXT) | instid1(VALU_DEP_2)
	v_lshrrev_b64 v[18:19], 21, v[18:19]
	v_cmp_gt_i32_e32 vcc_lo, 32, v0
	v_min_i32_e32 v20, 31, v0
	v_cmp_eq_u32_e64 s7, 0, v0
	s_delay_alu instid0(VALU_DEP_2) | instskip(SKIP_1) | instid1(VALU_DEP_2)
	v_dual_cndmask_b32 v19, 0, v19 :: v_dual_lshlrev_b32 v20, 2, v20
	v_cndmask_b32_e32 v18, 3, v18, vcc_lo
	v_and_b32_e32 v20, 0xfc, v20
	s_delay_alu instid0(VALU_DEP_2) | instskip(NEXT) | instid1(VALU_DEP_2)
	v_cmp_eq_u64_e32 vcc_lo, 0, v[18:19]
	v_and_or_b32 v0, v18, 3, v20
	s_and_b32 s7, s7, vcc_lo
	s_delay_alu instid0(VALU_DEP_1) | instid1(SALU_CYCLE_1)
	v_cndmask_b32_e64 v0, v0, 0, s7
	s_delay_alu instid0(VALU_DEP_1)
	v_or_b32_e32 v0, v0, v3
.LBB4_5419:                             ;   in Loop: Header=BB4_4405 Depth=2
	s_or_b32 exec_lo, exec_lo, s41
                                        ; implicit-def: $vgpr3
.LBB4_5420:                             ;   in Loop: Header=BB4_4405 Depth=2
	s_and_not1_saveexec_b32 s7, s14
; %bb.5421:                             ;   in Loop: Header=BB4_4405 Depth=2
	v_or_b32_e32 v0, 0x7b, v3
; %bb.5422:                             ;   in Loop: Header=BB4_4405 Depth=2
	s_or_b32 exec_lo, exec_lo, s7
                                        ; implicit-def: $vgpr19
                                        ; implicit-def: $vgpr3
.LBB4_5423:                             ;   in Loop: Header=BB4_4405 Depth=2
	s_and_not1_saveexec_b32 s7, s13
	s_cbranch_execz .LBB4_5429
; %bb.5424:                             ;   in Loop: Header=BB4_4405 Depth=2
	s_mov_b32 s13, exec_lo
                                        ; implicit-def: $vgpr0
	v_cmpx_ne_u64_e32 0, v[52:53]
	s_xor_b32 s13, exec_lo, s13
; %bb.5425:                             ;   in Loop: Header=BB4_4405 Depth=2
	v_or_b32_e32 v0, 0x7f, v3
                                        ; implicit-def: $vgpr19
; %bb.5426:                             ;   in Loop: Header=BB4_4405 Depth=2
	s_and_not1_saveexec_b32 s13, s13
; %bb.5427:                             ;   in Loop: Header=BB4_4405 Depth=2
	v_cmp_lt_i32_e32 vcc_lo, -1, v19
	v_cndmask_b32_e32 v0, 0xfc, v110, vcc_lo
; %bb.5428:                             ;   in Loop: Header=BB4_4405 Depth=2
	s_or_b32 exec_lo, exec_lo, s13
.LBB4_5429:                             ;   in Loop: Header=BB4_4405 Depth=2
	s_delay_alu instid0(SALU_CYCLE_1)
	s_or_b32 exec_lo, exec_lo, s7
	s_wait_loadcnt 0x1
	v_and_b32_e32 v19, 0xff, v14
	v_bfe_i32 v18, v14, 0, 8
	s_wait_loadcnt 0x0
	v_bfe_i32 v3, v10, 0, 8
	s_and_not1_b32 vcc_lo, exec_lo, s12
	s_mov_b32 s13, -1
	v_cmp_ne_u16_e64 s7, 0, v19
                                        ; implicit-def: $vgpr19
	s_cbranch_vccnz .LBB4_5451
; %bb.5430:                             ;   in Loop: Header=BB4_4405 Depth=2
	v_dual_mov_b32 v20, 0 :: v_dual_mov_b32 v19, 0
	s_and_saveexec_b32 s13, s7
	s_cbranch_execz .LBB4_5440
; %bb.5431:                             ;   in Loop: Header=BB4_4405 Depth=2
	v_bfrev_b32_e32 v19, 1
	s_mov_b32 s14, exec_lo
	v_cmpx_ne_u16_e32 0xff80, v18
	s_cbranch_execz .LBB4_5439
; %bb.5432:                             ;   in Loop: Header=BB4_4405 Depth=2
	v_and_b32_e32 v19, 0x7c, v14
	v_and_b32_e32 v21, 3, v14
	s_delay_alu instid0(VALU_DEP_2) | instskip(SKIP_1) | instid1(SALU_CYCLE_1)
	v_cmp_ne_u32_e32 vcc_lo, 0x7c, v19
                                        ; implicit-def: $vgpr19
	s_and_saveexec_b32 s41, vcc_lo
	s_xor_b32 s41, exec_lo, s41
	s_cbranch_execz .LBB4_5436
; %bb.5433:                             ;   in Loop: Header=BB4_4405 Depth=2
	v_bfe_u32 v19, v14, 2, 5
	s_mov_b32 s42, exec_lo
	s_delay_alu instid0(VALU_DEP_1)
	v_cmpx_eq_u32_e32 0, v19
; %bb.5434:                             ;   in Loop: Header=BB4_4405 Depth=2
	v_clz_i32_u32_e32 v19, v21
	s_delay_alu instid0(VALU_DEP_1) | instskip(NEXT) | instid1(VALU_DEP_1)
	v_min_u32_e32 v19, 32, v19
	v_subrev_nc_u32_e32 v21, 29, v19
	s_delay_alu instid0(VALU_DEP_1) | instskip(NEXT) | instid1(VALU_DEP_1)
	v_lshlrev_b64_e32 v[22:23], v21, v[14:15]
	v_dual_sub_nc_u32 v19, 30, v19 :: v_dual_bitop2_b32 v21, 3, v22 bitop3:0x40
; %bb.5435:                             ;   in Loop: Header=BB4_4405 Depth=2
	s_or_b32 exec_lo, exec_lo, s42
	v_lshlrev_b32_e32 v22, 24, v14
	s_delay_alu instid0(VALU_DEP_1) | instskip(NEXT) | instid1(VALU_DEP_1)
	v_and_b32_e32 v22, 0x80000000, v22
	v_lshl_add_u32 v19, v19, 23, v22
	s_delay_alu instid0(VALU_DEP_1) | instskip(NEXT) | instid1(VALU_DEP_1)
	v_lshl_or_b32 v19, v21, 21, v19
                                        ; implicit-def: $vgpr21
	v_add_nc_u32_e32 v19, 0x38000000, v19
.LBB4_5436:                             ;   in Loop: Header=BB4_4405 Depth=2
	s_and_not1_saveexec_b32 s41, s41
; %bb.5437:                             ;   in Loop: Header=BB4_4405 Depth=2
	v_cmp_lt_i16_e32 vcc_lo, -1, v18
	v_cndmask_b32_e32 v19, 0xff800000, v109, vcc_lo
	v_cmp_eq_u32_e32 vcc_lo, 0, v21
	s_delay_alu instid0(VALU_DEP_2)
	v_cndmask_b32_e32 v19, 0x7f800001, v19, vcc_lo
; %bb.5438:                             ;   in Loop: Header=BB4_4405 Depth=2
	s_or_b32 exec_lo, exec_lo, s41
.LBB4_5439:                             ;   in Loop: Header=BB4_4405 Depth=2
	s_delay_alu instid0(SALU_CYCLE_1)
	s_or_b32 exec_lo, exec_lo, s14
.LBB4_5440:                             ;   in Loop: Header=BB4_4405 Depth=2
	s_delay_alu instid0(SALU_CYCLE_1) | instskip(NEXT) | instid1(SALU_CYCLE_1)
	s_or_b32 exec_lo, exec_lo, s13
	s_mov_b32 s13, exec_lo
	v_cmpx_ne_u16_e32 0, v3
	s_cbranch_execz .LBB4_5450
; %bb.5441:                             ;   in Loop: Header=BB4_4405 Depth=2
	v_bfrev_b32_e32 v20, 1
	s_mov_b32 s14, exec_lo
	v_cmpx_ne_u16_e32 0xff80, v3
	s_cbranch_execz .LBB4_5449
; %bb.5442:                             ;   in Loop: Header=BB4_4405 Depth=2
	v_and_b32_e32 v20, 0x7c, v10
	v_and_b32_e32 v21, 3, v10
	s_delay_alu instid0(VALU_DEP_2) | instskip(SKIP_1) | instid1(SALU_CYCLE_1)
	v_cmp_ne_u32_e32 vcc_lo, 0x7c, v20
                                        ; implicit-def: $vgpr20
	s_and_saveexec_b32 s41, vcc_lo
	s_xor_b32 s41, exec_lo, s41
	s_cbranch_execz .LBB4_5446
; %bb.5443:                             ;   in Loop: Header=BB4_4405 Depth=2
	v_bfe_u32 v20, v10, 2, 5
	s_mov_b32 s42, exec_lo
	s_delay_alu instid0(VALU_DEP_1)
	v_cmpx_eq_u32_e32 0, v20
; %bb.5444:                             ;   in Loop: Header=BB4_4405 Depth=2
	v_clz_i32_u32_e32 v20, v21
	s_delay_alu instid0(VALU_DEP_1) | instskip(NEXT) | instid1(VALU_DEP_1)
	v_min_u32_e32 v20, 32, v20
	v_subrev_nc_u32_e32 v21, 29, v20
	s_delay_alu instid0(VALU_DEP_1) | instskip(NEXT) | instid1(VALU_DEP_1)
	v_lshlrev_b64_e32 v[22:23], v21, v[10:11]
	v_dual_sub_nc_u32 v20, 30, v20 :: v_dual_bitop2_b32 v21, 3, v22 bitop3:0x40
; %bb.5445:                             ;   in Loop: Header=BB4_4405 Depth=2
	s_or_b32 exec_lo, exec_lo, s42
	v_lshlrev_b32_e32 v22, 24, v10
	s_delay_alu instid0(VALU_DEP_1) | instskip(NEXT) | instid1(VALU_DEP_1)
	v_and_b32_e32 v22, 0x80000000, v22
	v_lshl_add_u32 v20, v20, 23, v22
	s_delay_alu instid0(VALU_DEP_1) | instskip(NEXT) | instid1(VALU_DEP_1)
	v_lshl_or_b32 v20, v21, 21, v20
                                        ; implicit-def: $vgpr21
	v_add_nc_u32_e32 v20, 0x38000000, v20
.LBB4_5446:                             ;   in Loop: Header=BB4_4405 Depth=2
	s_and_not1_saveexec_b32 s41, s41
; %bb.5447:                             ;   in Loop: Header=BB4_4405 Depth=2
	v_cmp_lt_i16_e32 vcc_lo, -1, v3
	v_cndmask_b32_e32 v20, 0xff800000, v109, vcc_lo
	v_cmp_eq_u32_e32 vcc_lo, 0, v21
	s_delay_alu instid0(VALU_DEP_2)
	v_cndmask_b32_e32 v20, 0x7f800001, v20, vcc_lo
; %bb.5448:                             ;   in Loop: Header=BB4_4405 Depth=2
	s_or_b32 exec_lo, exec_lo, s41
.LBB4_5449:                             ;   in Loop: Header=BB4_4405 Depth=2
	s_delay_alu instid0(SALU_CYCLE_1)
	s_or_b32 exec_lo, exec_lo, s14
.LBB4_5450:                             ;   in Loop: Header=BB4_4405 Depth=2
	s_delay_alu instid0(SALU_CYCLE_1) | instskip(NEXT) | instid1(VALU_DEP_1)
	s_or_b32 exec_lo, exec_lo, s13
	v_dual_max_num_f32 v20, v20, v20 :: v_dual_max_num_f32 v19, v19, v19
	s_mov_b32 s13, 0
	s_delay_alu instid0(VALU_DEP_1)
	v_max_num_f32_e32 v19, v19, v20
.LBB4_5451:                             ;   in Loop: Header=BB4_4405 Depth=2
	s_and_b32 vcc_lo, exec_lo, s13
	s_cbranch_vccz .LBB4_5473
; %bb.5452:                             ;   in Loop: Header=BB4_4405 Depth=2
	v_dual_mov_b32 v20, 0 :: v_dual_mov_b32 v19, 0
	s_and_saveexec_b32 s13, s7
	s_cbranch_execz .LBB4_5462
; %bb.5453:                             ;   in Loop: Header=BB4_4405 Depth=2
	v_bfrev_b32_e32 v19, 1
	s_mov_b32 s7, exec_lo
	v_cmpx_ne_u16_e32 0xff80, v18
	s_cbranch_execz .LBB4_5461
; %bb.5454:                             ;   in Loop: Header=BB4_4405 Depth=2
	v_and_b32_e32 v19, 0x7c, v14
	v_and_b32_e32 v21, 3, v14
	s_delay_alu instid0(VALU_DEP_2) | instskip(SKIP_1) | instid1(SALU_CYCLE_1)
	v_cmp_ne_u32_e32 vcc_lo, 0x7c, v19
                                        ; implicit-def: $vgpr19
	s_and_saveexec_b32 s14, vcc_lo
	s_xor_b32 s14, exec_lo, s14
	s_cbranch_execz .LBB4_5458
; %bb.5455:                             ;   in Loop: Header=BB4_4405 Depth=2
	v_bfe_u32 v18, v14, 2, 5
	s_mov_b32 s41, exec_lo
	s_delay_alu instid0(VALU_DEP_1)
	v_cmpx_eq_u32_e32 0, v18
; %bb.5456:                             ;   in Loop: Header=BB4_4405 Depth=2
	v_clz_i32_u32_e32 v18, v21
	s_delay_alu instid0(VALU_DEP_1) | instskip(NEXT) | instid1(VALU_DEP_1)
	v_min_u32_e32 v18, 32, v18
	v_subrev_nc_u32_e32 v19, 29, v18
	v_sub_nc_u32_e32 v18, 30, v18
	s_delay_alu instid0(VALU_DEP_2) | instskip(NEXT) | instid1(VALU_DEP_1)
	v_lshlrev_b64_e32 v[22:23], v19, v[14:15]
	v_and_b32_e32 v21, 3, v22
; %bb.5457:                             ;   in Loop: Header=BB4_4405 Depth=2
	s_or_b32 exec_lo, exec_lo, s41
	v_lshlrev_b32_e32 v19, 24, v14
	s_delay_alu instid0(VALU_DEP_1) | instskip(NEXT) | instid1(VALU_DEP_1)
	v_and_b32_e32 v19, 0x80000000, v19
	v_lshl_add_u32 v18, v18, 23, v19
	s_delay_alu instid0(VALU_DEP_1) | instskip(NEXT) | instid1(VALU_DEP_1)
	v_lshl_or_b32 v18, v21, 21, v18
                                        ; implicit-def: $vgpr21
	v_add_nc_u32_e32 v19, 0x38000000, v18
                                        ; implicit-def: $vgpr18
.LBB4_5458:                             ;   in Loop: Header=BB4_4405 Depth=2
	s_and_not1_saveexec_b32 s14, s14
; %bb.5459:                             ;   in Loop: Header=BB4_4405 Depth=2
	v_cmp_lt_i16_e32 vcc_lo, -1, v18
	v_cndmask_b32_e32 v18, 0xff800000, v109, vcc_lo
	v_cmp_eq_u32_e32 vcc_lo, 0, v21
	s_delay_alu instid0(VALU_DEP_2)
	v_cndmask_b32_e32 v19, 0x7f800001, v18, vcc_lo
; %bb.5460:                             ;   in Loop: Header=BB4_4405 Depth=2
	s_or_b32 exec_lo, exec_lo, s14
.LBB4_5461:                             ;   in Loop: Header=BB4_4405 Depth=2
	s_delay_alu instid0(SALU_CYCLE_1)
	s_or_b32 exec_lo, exec_lo, s7
.LBB4_5462:                             ;   in Loop: Header=BB4_4405 Depth=2
	s_delay_alu instid0(SALU_CYCLE_1) | instskip(NEXT) | instid1(SALU_CYCLE_1)
	s_or_b32 exec_lo, exec_lo, s13
	s_mov_b32 s7, exec_lo
	v_cmpx_ne_u16_e32 0, v3
	s_cbranch_execz .LBB4_5472
; %bb.5463:                             ;   in Loop: Header=BB4_4405 Depth=2
	v_bfrev_b32_e32 v20, 1
	s_mov_b32 s13, exec_lo
	v_cmpx_ne_u16_e32 0xff80, v3
	s_cbranch_execz .LBB4_5471
; %bb.5464:                             ;   in Loop: Header=BB4_4405 Depth=2
	v_and_b32_e32 v20, 0x7c, v10
	v_and_b32_e32 v18, 3, v10
	s_delay_alu instid0(VALU_DEP_2) | instskip(SKIP_1) | instid1(SALU_CYCLE_1)
	v_cmp_ne_u32_e32 vcc_lo, 0x7c, v20
                                        ; implicit-def: $vgpr20
	s_and_saveexec_b32 s14, vcc_lo
	s_xor_b32 s14, exec_lo, s14
	s_cbranch_execz .LBB4_5468
; %bb.5465:                             ;   in Loop: Header=BB4_4405 Depth=2
	v_bfe_u32 v3, v10, 2, 5
	s_mov_b32 s41, exec_lo
	s_delay_alu instid0(VALU_DEP_1)
	v_cmpx_eq_u32_e32 0, v3
; %bb.5466:                             ;   in Loop: Header=BB4_4405 Depth=2
	v_clz_i32_u32_e32 v3, v18
	s_delay_alu instid0(VALU_DEP_1) | instskip(NEXT) | instid1(VALU_DEP_1)
	v_min_u32_e32 v3, 32, v3
	v_subrev_nc_u32_e32 v18, 29, v3
	s_delay_alu instid0(VALU_DEP_1) | instskip(NEXT) | instid1(VALU_DEP_1)
	v_lshlrev_b64_e32 v[20:21], v18, v[10:11]
	v_dual_sub_nc_u32 v3, 30, v3 :: v_dual_bitop2_b32 v18, 3, v20 bitop3:0x40
; %bb.5467:                             ;   in Loop: Header=BB4_4405 Depth=2
	s_or_b32 exec_lo, exec_lo, s41
	v_lshlrev_b32_e32 v20, 24, v10
	s_delay_alu instid0(VALU_DEP_1) | instskip(NEXT) | instid1(VALU_DEP_1)
	v_and_b32_e32 v20, 0x80000000, v20
	v_lshl_add_u32 v3, v3, 23, v20
	s_delay_alu instid0(VALU_DEP_1) | instskip(NEXT) | instid1(VALU_DEP_1)
	v_lshl_or_b32 v3, v18, 21, v3
                                        ; implicit-def: $vgpr18
	v_add_nc_u32_e32 v20, 0x38000000, v3
                                        ; implicit-def: $vgpr3
.LBB4_5468:                             ;   in Loop: Header=BB4_4405 Depth=2
	s_and_not1_saveexec_b32 s14, s14
; %bb.5469:                             ;   in Loop: Header=BB4_4405 Depth=2
	v_cmp_lt_i16_e32 vcc_lo, -1, v3
	v_cndmask_b32_e32 v3, 0xff800000, v109, vcc_lo
	v_cmp_eq_u32_e32 vcc_lo, 0, v18
	s_delay_alu instid0(VALU_DEP_2)
	v_cndmask_b32_e32 v20, 0x7f800001, v3, vcc_lo
; %bb.5470:                             ;   in Loop: Header=BB4_4405 Depth=2
	s_or_b32 exec_lo, exec_lo, s14
.LBB4_5471:                             ;   in Loop: Header=BB4_4405 Depth=2
	s_delay_alu instid0(SALU_CYCLE_1)
	s_or_b32 exec_lo, exec_lo, s13
.LBB4_5472:                             ;   in Loop: Header=BB4_4405 Depth=2
	s_delay_alu instid0(SALU_CYCLE_1) | instskip(NEXT) | instid1(VALU_DEP_1)
	s_or_b32 exec_lo, exec_lo, s7
	v_dual_max_num_f32 v3, v20, v20 :: v_dual_max_num_f32 v18, v19, v19
	s_delay_alu instid0(VALU_DEP_1)
	v_min_num_f32_e32 v19, v18, v3
.LBB4_5473:                             ;   in Loop: Header=BB4_4405 Depth=2
	s_delay_alu instid0(VALU_DEP_1) | instskip(SKIP_3) | instid1(VALU_DEP_2)
	v_and_b32_e32 v20, 0x7f800000, v19
	v_dual_mov_b32 v21, v53 :: v_dual_lshrrev_b32 v18, 24, v19
	v_and_b32_e32 v52, 0x7fffff, v19
                                        ; implicit-def: $vgpr3
	s_mov_b32 s7, exec_lo
	v_cmpx_ne_u64_e32 0x7f800000, v[20:21]
	s_xor_b32 s13, exec_lo, s7
	s_cbranch_execz .LBB4_5487
; %bb.5474:                             ;   in Loop: Header=BB4_4405 Depth=2
	v_and_b32_e32 v20, 0x7fffffff, v19
	v_mov_b32_e32 v21, v53
	v_and_b32_e32 v22, 0x80, v18
                                        ; implicit-def: $vgpr3
	s_mov_b32 s7, exec_lo
	s_delay_alu instid0(VALU_DEP_2)
	v_cmpx_gt_u64_e32 0x47600001, v[20:21]
	s_xor_b32 s14, exec_lo, s7
	s_cbranch_execz .LBB4_5484
; %bb.5475:                             ;   in Loop: Header=BB4_4405 Depth=2
	v_mov_b32_e32 v3, 0
	s_mov_b32 s41, exec_lo
	v_cmpx_ne_u32_e32 0, v19
	s_cbranch_execz .LBB4_5483
; %bb.5476:                             ;   in Loop: Header=BB4_4405 Depth=2
	v_bfe_u32 v3, v19, 23, 8
	v_or_b32_e32 v20, 0x800000, v52
	s_delay_alu instid0(VALU_DEP_2) | instskip(SKIP_1) | instid1(VALU_DEP_2)
	v_sub_nc_u32_e32 v18, 0x71, v3
	v_cmp_gt_u32_e32 vcc_lo, 0x72, v3
	v_cndmask_b32_e32 v18, 0, v18, vcc_lo
	v_cmp_eq_u32_e32 vcc_lo, 0, v3
	s_delay_alu instid0(VALU_DEP_2) | instskip(NEXT) | instid1(VALU_DEP_1)
	v_cndmask_b32_e64 v23, v18, 0x70, vcc_lo
	v_dual_cndmask_b32 v52, v20, v52, vcc_lo :: v_dual_add_nc_u32 v18, 21, v23
	v_add_nc_u32_e32 v21, 20, v23
	s_delay_alu instid0(VALU_DEP_2) | instskip(NEXT) | instid1(VALU_DEP_2)
	v_lshlrev_b64_e64 v[18:19], v18, -1
	v_lshlrev_b64_e64 v[20:21], v21, 1
	s_delay_alu instid0(VALU_DEP_2) | instskip(NEXT) | instid1(VALU_DEP_3)
	v_bfi_b32 v25, v19, 0, 0
	v_bfi_b32 v24, v18, 0, v52
	v_lshrrev_b64 v[18:19], v23, v[52:53]
	s_delay_alu instid0(VALU_DEP_2) | instskip(NEXT) | instid1(VALU_DEP_2)
	v_cmp_eq_u64_e64 s7, v[24:25], v[20:21]
	v_mov_b64_e32 v[20:21], v[18:19]
	s_and_saveexec_b32 s42, s7
; %bb.5477:                             ;   in Loop: Header=BB4_4405 Depth=2
	v_bfe_u32 v52, v18, 21, 1
	s_delay_alu instid0(VALU_DEP_1) | instskip(NEXT) | instid1(VALU_DEP_1)
	v_add_nc_u64_e32 v[20:21], v[18:19], v[52:53]
	v_add_nc_u64_e32 v[20:21], -1, v[20:21]
; %bb.5478:                             ;   in Loop: Header=BB4_4405 Depth=2
	s_or_b32 exec_lo, exec_lo, s42
	v_add_nc_u32_e32 v3, 0xffffff81, v3
	v_lshrrev_b32_e32 v19, 23, v18
	s_mov_b32 s7, exec_lo
	s_delay_alu instid0(VALU_DEP_2) | instskip(NEXT) | instid1(VALU_DEP_1)
	v_cndmask_b32_e64 v3, v3, 0xffffff82, vcc_lo
	v_add3_u32 v21, v23, v3, v19
	v_and_b32_e32 v3, 0x1fffff, v20
	s_delay_alu instid0(VALU_DEP_1) | instskip(NEXT) | instid1(VALU_DEP_1)
	v_dual_add_nc_u32 v20, 14, v21 :: v_dual_add_nc_u32 v52, v3, v18
                                        ; implicit-def: $vgpr18_vgpr19
                                        ; implicit-def: $vgpr3
	v_cmpx_ne_u32_e32 0, v20
	s_xor_b32 s7, exec_lo, s7
; %bb.5479:                             ;   in Loop: Header=BB4_4405 Depth=2
	s_delay_alu instid0(VALU_DEP_2) | instskip(SKIP_2) | instid1(VALU_DEP_2)
	v_cmp_lt_u64_e32 vcc_lo, 0xffffff, v[52:53]
	v_add_nc_u32_e32 v3, 15, v21
	v_cndmask_b32_e64 v18, 0, 1, vcc_lo
	v_cndmask_b32_e32 v3, v20, v3, vcc_lo
	s_delay_alu instid0(VALU_DEP_2)
	v_lshrrev_b64 v[18:19], v18, v[52:53]
; %bb.5480:                             ;   in Loop: Header=BB4_4405 Depth=2
	s_and_not1_saveexec_b32 s7, s7
; %bb.5481:                             ;   in Loop: Header=BB4_4405 Depth=2
	v_mov_b64_e32 v[18:19], v[52:53]
	v_bfe_u32 v3, v52, 23, 1
; %bb.5482:                             ;   in Loop: Header=BB4_4405 Depth=2
	s_or_b32 exec_lo, exec_lo, s7
	s_delay_alu instid0(VALU_DEP_2) | instskip(NEXT) | instid1(VALU_DEP_2)
	v_lshrrev_b64 v[18:19], 21, v[18:19]
	v_cmp_gt_i32_e32 vcc_lo, 32, v3
	v_min_i32_e32 v20, 31, v3
	v_cmp_eq_u32_e64 s7, 0, v3
	s_delay_alu instid0(VALU_DEP_2) | instskip(SKIP_1) | instid1(VALU_DEP_2)
	v_dual_cndmask_b32 v18, 3, v18, vcc_lo :: v_dual_lshlrev_b32 v20, 2, v20
	v_cndmask_b32_e32 v19, 0, v19, vcc_lo
	v_and_b32_e32 v20, 0xfc, v20
	s_delay_alu instid0(VALU_DEP_2) | instskip(NEXT) | instid1(VALU_DEP_2)
	v_cmp_eq_u64_e32 vcc_lo, 0, v[18:19]
	v_and_or_b32 v3, v18, 3, v20
	s_and_b32 s7, s7, vcc_lo
	s_delay_alu instid0(VALU_DEP_1) | instid1(SALU_CYCLE_1)
	v_cndmask_b32_e64 v3, v3, 0, s7
	s_delay_alu instid0(VALU_DEP_1)
	v_or_b32_e32 v3, v3, v22
.LBB4_5483:                             ;   in Loop: Header=BB4_4405 Depth=2
	s_or_b32 exec_lo, exec_lo, s41
                                        ; implicit-def: $vgpr22
.LBB4_5484:                             ;   in Loop: Header=BB4_4405 Depth=2
	s_and_not1_saveexec_b32 s7, s14
; %bb.5485:                             ;   in Loop: Header=BB4_4405 Depth=2
	v_or_b32_e32 v3, 0x7b, v22
; %bb.5486:                             ;   in Loop: Header=BB4_4405 Depth=2
	s_or_b32 exec_lo, exec_lo, s7
                                        ; implicit-def: $vgpr19
                                        ; implicit-def: $vgpr18
.LBB4_5487:                             ;   in Loop: Header=BB4_4405 Depth=2
	s_and_not1_saveexec_b32 s7, s13
	s_cbranch_execz .LBB4_5493
; %bb.5488:                             ;   in Loop: Header=BB4_4405 Depth=2
	s_mov_b32 s13, exec_lo
                                        ; implicit-def: $vgpr3
	v_cmpx_ne_u64_e32 0, v[52:53]
	s_xor_b32 s13, exec_lo, s13
; %bb.5489:                             ;   in Loop: Header=BB4_4405 Depth=2
	v_or_b32_e32 v3, 0x7f, v18
                                        ; implicit-def: $vgpr19
; %bb.5490:                             ;   in Loop: Header=BB4_4405 Depth=2
	s_and_not1_saveexec_b32 s13, s13
; %bb.5491:                             ;   in Loop: Header=BB4_4405 Depth=2
	v_cmp_lt_i32_e32 vcc_lo, -1, v19
	v_cndmask_b32_e32 v3, 0xfc, v110, vcc_lo
; %bb.5492:                             ;   in Loop: Header=BB4_4405 Depth=2
	s_or_b32 exec_lo, exec_lo, s13
.LBB4_5493:                             ;   in Loop: Header=BB4_4405 Depth=2
	s_delay_alu instid0(SALU_CYCLE_1) | instskip(SKIP_4) | instid1(VALU_DEP_2)
	s_or_b32 exec_lo, exec_lo, s7
	v_lshrrev_b16 v52, 8, v14
	v_lshrrev_b16 v18, 8, v10
	s_and_not1_b32 vcc_lo, exec_lo, s12
	s_mov_b32 s13, -1
                                        ; implicit-def: $vgpr19
	v_and_b32_e32 v20, 0xffff, v52
	v_cmp_ne_u16_e64 s7, 0, v52
	s_cbranch_vccnz .LBB4_5515
; %bb.5494:                             ;   in Loop: Header=BB4_4405 Depth=2
	v_dual_mov_b32 v19, 0 :: v_dual_mov_b32 v21, 0
	s_and_saveexec_b32 s13, s7
	s_cbranch_execz .LBB4_5504
; %bb.5495:                             ;   in Loop: Header=BB4_4405 Depth=2
	v_bfrev_b32_e32 v21, 1
	s_mov_b32 s14, exec_lo
	v_cmpx_ne_u16_e32 0x80, v52
	s_cbranch_execz .LBB4_5503
; %bb.5496:                             ;   in Loop: Header=BB4_4405 Depth=2
	v_and_b32_e32 v21, 0x7c, v20
	v_and_b32_e32 v22, 3, v20
	s_delay_alu instid0(VALU_DEP_2) | instskip(SKIP_1) | instid1(SALU_CYCLE_1)
	v_cmp_ne_u32_e32 vcc_lo, 0x7c, v21
                                        ; implicit-def: $vgpr21
	s_and_saveexec_b32 s41, vcc_lo
	s_xor_b32 s41, exec_lo, s41
	s_cbranch_execz .LBB4_5500
; %bb.5497:                             ;   in Loop: Header=BB4_4405 Depth=2
	v_bfe_u32 v21, v20, 2, 5
	s_mov_b32 s42, exec_lo
	s_delay_alu instid0(VALU_DEP_1)
	v_cmpx_eq_u32_e32 0, v21
; %bb.5498:                             ;   in Loop: Header=BB4_4405 Depth=2
	v_clz_i32_u32_e32 v21, v22
	s_delay_alu instid0(VALU_DEP_1) | instskip(NEXT) | instid1(VALU_DEP_1)
	v_min_u32_e32 v21, 32, v21
	v_subrev_nc_u32_e32 v22, 29, v21
	s_delay_alu instid0(VALU_DEP_1) | instskip(NEXT) | instid1(VALU_DEP_1)
	v_lshlrev_b64_e32 v[22:23], v22, v[52:53]
	v_dual_sub_nc_u32 v21, 30, v21 :: v_dual_bitop2_b32 v22, 3, v22 bitop3:0x40
; %bb.5499:                             ;   in Loop: Header=BB4_4405 Depth=2
	s_or_b32 exec_lo, exec_lo, s42
	v_lshlrev_b32_e32 v23, 16, v14
	s_delay_alu instid0(VALU_DEP_1) | instskip(NEXT) | instid1(VALU_DEP_1)
	v_and_b32_e32 v23, 0x80000000, v23
	v_lshl_add_u32 v21, v21, 23, v23
	s_delay_alu instid0(VALU_DEP_1) | instskip(NEXT) | instid1(VALU_DEP_1)
	v_lshl_or_b32 v21, v22, 21, v21
                                        ; implicit-def: $vgpr22
	v_add_nc_u32_e32 v21, 0x38000000, v21
.LBB4_5500:                             ;   in Loop: Header=BB4_4405 Depth=2
	s_and_not1_saveexec_b32 s41, s41
; %bb.5501:                             ;   in Loop: Header=BB4_4405 Depth=2
	v_cmp_lt_i16_e32 vcc_lo, -1, v14
	v_cndmask_b32_e32 v21, 0xff800000, v109, vcc_lo
	v_cmp_eq_u32_e32 vcc_lo, 0, v22
	s_delay_alu instid0(VALU_DEP_2)
	v_cndmask_b32_e32 v21, 0x7f800001, v21, vcc_lo
; %bb.5502:                             ;   in Loop: Header=BB4_4405 Depth=2
	s_or_b32 exec_lo, exec_lo, s41
.LBB4_5503:                             ;   in Loop: Header=BB4_4405 Depth=2
	s_delay_alu instid0(SALU_CYCLE_1)
	s_or_b32 exec_lo, exec_lo, s14
.LBB4_5504:                             ;   in Loop: Header=BB4_4405 Depth=2
	s_delay_alu instid0(SALU_CYCLE_1) | instskip(NEXT) | instid1(SALU_CYCLE_1)
	s_or_b32 exec_lo, exec_lo, s13
	s_mov_b32 s13, exec_lo
	v_cmpx_ne_u16_e32 0, v18
	s_cbranch_execz .LBB4_5514
; %bb.5505:                             ;   in Loop: Header=BB4_4405 Depth=2
	v_bfrev_b32_e32 v19, 1
	s_mov_b32 s14, exec_lo
	v_cmpx_ne_u16_e32 0x80, v18
	s_cbranch_execz .LBB4_5513
; %bb.5506:                             ;   in Loop: Header=BB4_4405 Depth=2
	v_and_b32_e32 v23, 0xffff, v18
	s_delay_alu instid0(VALU_DEP_1) | instskip(SKIP_1) | instid1(VALU_DEP_2)
	v_and_b32_e32 v19, 0x7c, v23
	v_and_b32_e32 v22, 3, v23
	v_cmp_ne_u32_e32 vcc_lo, 0x7c, v19
                                        ; implicit-def: $vgpr19
	s_and_saveexec_b32 s41, vcc_lo
	s_delay_alu instid0(SALU_CYCLE_1)
	s_xor_b32 s41, exec_lo, s41
	s_cbranch_execz .LBB4_5510
; %bb.5507:                             ;   in Loop: Header=BB4_4405 Depth=2
	v_bfe_u32 v19, v23, 2, 5
	s_mov_b32 s42, exec_lo
	s_delay_alu instid0(VALU_DEP_1)
	v_cmpx_eq_u32_e32 0, v19
; %bb.5508:                             ;   in Loop: Header=BB4_4405 Depth=2
	v_clz_i32_u32_e32 v19, v22
	s_delay_alu instid0(VALU_DEP_1) | instskip(SKIP_1) | instid1(VALU_DEP_2)
	v_min_u32_e32 v24, 32, v19
	v_mov_b32_e32 v19, v53
	v_subrev_nc_u32_e32 v22, 29, v24
	s_delay_alu instid0(VALU_DEP_1) | instskip(NEXT) | instid1(VALU_DEP_1)
	v_lshlrev_b64_e32 v[22:23], v22, v[18:19]
	v_dual_sub_nc_u32 v19, 30, v24 :: v_dual_bitop2_b32 v22, 3, v22 bitop3:0x40
; %bb.5509:                             ;   in Loop: Header=BB4_4405 Depth=2
	s_or_b32 exec_lo, exec_lo, s42
	v_lshlrev_b32_e32 v23, 16, v10
	s_delay_alu instid0(VALU_DEP_1) | instskip(NEXT) | instid1(VALU_DEP_1)
	v_and_b32_e32 v23, 0x80000000, v23
	v_lshl_add_u32 v19, v19, 23, v23
	s_delay_alu instid0(VALU_DEP_1) | instskip(NEXT) | instid1(VALU_DEP_1)
	v_lshl_or_b32 v19, v22, 21, v19
                                        ; implicit-def: $vgpr22
	v_add_nc_u32_e32 v19, 0x38000000, v19
.LBB4_5510:                             ;   in Loop: Header=BB4_4405 Depth=2
	s_and_not1_saveexec_b32 s41, s41
; %bb.5511:                             ;   in Loop: Header=BB4_4405 Depth=2
	v_cmp_lt_i16_e32 vcc_lo, -1, v10
	v_cndmask_b32_e32 v19, 0xff800000, v109, vcc_lo
	v_cmp_eq_u32_e32 vcc_lo, 0, v22
	s_delay_alu instid0(VALU_DEP_2)
	v_cndmask_b32_e32 v19, 0x7f800001, v19, vcc_lo
; %bb.5512:                             ;   in Loop: Header=BB4_4405 Depth=2
	s_or_b32 exec_lo, exec_lo, s41
.LBB4_5513:                             ;   in Loop: Header=BB4_4405 Depth=2
	s_delay_alu instid0(SALU_CYCLE_1)
	s_or_b32 exec_lo, exec_lo, s14
.LBB4_5514:                             ;   in Loop: Header=BB4_4405 Depth=2
	s_delay_alu instid0(SALU_CYCLE_1) | instskip(NEXT) | instid1(VALU_DEP_1)
	s_or_b32 exec_lo, exec_lo, s13
	v_dual_max_num_f32 v19, v19, v19 :: v_dual_max_num_f32 v21, v21, v21
	s_mov_b32 s13, 0
	s_delay_alu instid0(VALU_DEP_1)
	v_max_num_f32_e32 v19, v21, v19
.LBB4_5515:                             ;   in Loop: Header=BB4_4405 Depth=2
	s_and_b32 vcc_lo, exec_lo, s13
	s_cbranch_vccz .LBB4_5537
; %bb.5516:                             ;   in Loop: Header=BB4_4405 Depth=2
	v_dual_mov_b32 v19, 0 :: v_dual_mov_b32 v21, 0
	s_and_saveexec_b32 s13, s7
	s_cbranch_execz .LBB4_5526
; %bb.5517:                             ;   in Loop: Header=BB4_4405 Depth=2
	v_bfrev_b32_e32 v21, 1
	s_mov_b32 s7, exec_lo
	v_cmpx_ne_u16_e32 0x80, v52
	s_cbranch_execz .LBB4_5525
; %bb.5518:                             ;   in Loop: Header=BB4_4405 Depth=2
	v_and_b32_e32 v21, 0x7c, v20
	v_and_b32_e32 v22, 3, v20
	s_delay_alu instid0(VALU_DEP_2) | instskip(SKIP_1) | instid1(SALU_CYCLE_1)
	v_cmp_ne_u32_e32 vcc_lo, 0x7c, v21
                                        ; implicit-def: $vgpr21
	s_and_saveexec_b32 s14, vcc_lo
	s_xor_b32 s14, exec_lo, s14
	s_cbranch_execz .LBB4_5522
; %bb.5519:                             ;   in Loop: Header=BB4_4405 Depth=2
	v_bfe_u32 v20, v20, 2, 5
	s_mov_b32 s41, exec_lo
	s_delay_alu instid0(VALU_DEP_1)
	v_cmpx_eq_u32_e32 0, v20
; %bb.5520:                             ;   in Loop: Header=BB4_4405 Depth=2
	v_clz_i32_u32_e32 v20, v22
	s_delay_alu instid0(VALU_DEP_1) | instskip(NEXT) | instid1(VALU_DEP_1)
	v_min_u32_e32 v20, 32, v20
	v_subrev_nc_u32_e32 v21, 29, v20
	s_delay_alu instid0(VALU_DEP_1) | instskip(NEXT) | instid1(VALU_DEP_1)
	v_lshlrev_b64_e32 v[22:23], v21, v[52:53]
	v_dual_sub_nc_u32 v20, 30, v20 :: v_dual_bitop2_b32 v22, 3, v22 bitop3:0x40
; %bb.5521:                             ;   in Loop: Header=BB4_4405 Depth=2
	s_or_b32 exec_lo, exec_lo, s41
	v_lshlrev_b32_e32 v21, 16, v14
	s_delay_alu instid0(VALU_DEP_1) | instskip(NEXT) | instid1(VALU_DEP_1)
	v_and_b32_e32 v21, 0x80000000, v21
	v_lshl_add_u32 v20, v20, 23, v21
	s_delay_alu instid0(VALU_DEP_1) | instskip(NEXT) | instid1(VALU_DEP_1)
	v_lshl_or_b32 v20, v22, 21, v20
                                        ; implicit-def: $vgpr22
	v_add_nc_u32_e32 v21, 0x38000000, v20
.LBB4_5522:                             ;   in Loop: Header=BB4_4405 Depth=2
	s_and_not1_saveexec_b32 s14, s14
; %bb.5523:                             ;   in Loop: Header=BB4_4405 Depth=2
	v_cmp_lt_i16_e32 vcc_lo, -1, v14
	v_cndmask_b32_e32 v20, 0xff800000, v109, vcc_lo
	v_cmp_eq_u32_e32 vcc_lo, 0, v22
	s_delay_alu instid0(VALU_DEP_2)
	v_cndmask_b32_e32 v21, 0x7f800001, v20, vcc_lo
; %bb.5524:                             ;   in Loop: Header=BB4_4405 Depth=2
	s_or_b32 exec_lo, exec_lo, s14
.LBB4_5525:                             ;   in Loop: Header=BB4_4405 Depth=2
	s_delay_alu instid0(SALU_CYCLE_1)
	s_or_b32 exec_lo, exec_lo, s7
.LBB4_5526:                             ;   in Loop: Header=BB4_4405 Depth=2
	s_delay_alu instid0(SALU_CYCLE_1) | instskip(NEXT) | instid1(SALU_CYCLE_1)
	s_or_b32 exec_lo, exec_lo, s13
	s_mov_b32 s7, exec_lo
	v_cmpx_ne_u16_e32 0, v18
	s_cbranch_execz .LBB4_5536
; %bb.5527:                             ;   in Loop: Header=BB4_4405 Depth=2
	v_bfrev_b32_e32 v19, 1
	s_mov_b32 s13, exec_lo
	v_cmpx_ne_u16_e32 0x80, v18
	s_cbranch_execz .LBB4_5535
; %bb.5528:                             ;   in Loop: Header=BB4_4405 Depth=2
	v_and_b32_e32 v22, 0xffff, v18
	s_delay_alu instid0(VALU_DEP_1) | instskip(SKIP_1) | instid1(VALU_DEP_2)
	v_and_b32_e32 v19, 0x7c, v22
	v_and_b32_e32 v20, 3, v22
	v_cmp_ne_u32_e32 vcc_lo, 0x7c, v19
                                        ; implicit-def: $vgpr19
	s_and_saveexec_b32 s14, vcc_lo
	s_delay_alu instid0(SALU_CYCLE_1)
	s_xor_b32 s14, exec_lo, s14
	s_cbranch_execz .LBB4_5532
; %bb.5529:                             ;   in Loop: Header=BB4_4405 Depth=2
	v_bfe_u32 v19, v22, 2, 5
	s_mov_b32 s41, exec_lo
	s_delay_alu instid0(VALU_DEP_1)
	v_cmpx_eq_u32_e32 0, v19
; %bb.5530:                             ;   in Loop: Header=BB4_4405 Depth=2
	v_clz_i32_u32_e32 v19, v20
	s_delay_alu instid0(VALU_DEP_1) | instskip(SKIP_1) | instid1(VALU_DEP_2)
	v_min_u32_e32 v20, 32, v19
	v_mov_b32_e32 v19, v53
	v_subrev_nc_u32_e32 v22, 29, v20
	s_delay_alu instid0(VALU_DEP_1) | instskip(NEXT) | instid1(VALU_DEP_1)
	v_lshlrev_b64_e32 v[18:19], v22, v[18:19]
	v_dual_sub_nc_u32 v19, 30, v20 :: v_dual_bitop2_b32 v20, 3, v18 bitop3:0x40
; %bb.5531:                             ;   in Loop: Header=BB4_4405 Depth=2
	s_or_b32 exec_lo, exec_lo, s41
	v_lshlrev_b32_e32 v18, 16, v10
	s_delay_alu instid0(VALU_DEP_1) | instskip(NEXT) | instid1(VALU_DEP_1)
	v_and_b32_e32 v18, 0x80000000, v18
	v_lshl_add_u32 v18, v19, 23, v18
	s_delay_alu instid0(VALU_DEP_1) | instskip(NEXT) | instid1(VALU_DEP_1)
	v_lshl_or_b32 v18, v20, 21, v18
                                        ; implicit-def: $vgpr20
	v_add_nc_u32_e32 v19, 0x38000000, v18
.LBB4_5532:                             ;   in Loop: Header=BB4_4405 Depth=2
	s_and_not1_saveexec_b32 s14, s14
; %bb.5533:                             ;   in Loop: Header=BB4_4405 Depth=2
	v_cmp_lt_i16_e32 vcc_lo, -1, v10
	v_cndmask_b32_e32 v18, 0xff800000, v109, vcc_lo
	v_cmp_eq_u32_e32 vcc_lo, 0, v20
	s_delay_alu instid0(VALU_DEP_2)
	v_cndmask_b32_e32 v19, 0x7f800001, v18, vcc_lo
; %bb.5534:                             ;   in Loop: Header=BB4_4405 Depth=2
	s_or_b32 exec_lo, exec_lo, s14
.LBB4_5535:                             ;   in Loop: Header=BB4_4405 Depth=2
	s_delay_alu instid0(SALU_CYCLE_1)
	s_or_b32 exec_lo, exec_lo, s13
.LBB4_5536:                             ;   in Loop: Header=BB4_4405 Depth=2
	s_delay_alu instid0(SALU_CYCLE_1) | instskip(NEXT) | instid1(VALU_DEP_1)
	s_or_b32 exec_lo, exec_lo, s7
	v_dual_max_num_f32 v18, v19, v19 :: v_dual_max_num_f32 v19, v21, v21
	s_delay_alu instid0(VALU_DEP_1)
	v_min_num_f32_e32 v19, v19, v18
.LBB4_5537:                             ;   in Loop: Header=BB4_4405 Depth=2
	s_delay_alu instid0(VALU_DEP_1) | instskip(SKIP_3) | instid1(VALU_DEP_2)
	v_and_b32_e32 v20, 0x7f800000, v19
	v_dual_mov_b32 v21, v53 :: v_dual_lshrrev_b32 v18, 24, v19
	v_and_b32_e32 v52, 0x7fffff, v19
                                        ; implicit-def: $vgpr24
	s_mov_b32 s7, exec_lo
	v_cmpx_ne_u64_e32 0x7f800000, v[20:21]
	s_xor_b32 s13, exec_lo, s7
	s_cbranch_execz .LBB4_5551
; %bb.5538:                             ;   in Loop: Header=BB4_4405 Depth=2
	v_and_b32_e32 v20, 0x7fffffff, v19
	v_mov_b32_e32 v21, v53
	v_and_b32_e32 v22, 0x80, v18
                                        ; implicit-def: $vgpr24
	s_mov_b32 s7, exec_lo
	s_delay_alu instid0(VALU_DEP_2)
	v_cmpx_gt_u64_e32 0x47600001, v[20:21]
	s_xor_b32 s14, exec_lo, s7
	s_cbranch_execz .LBB4_5548
; %bb.5539:                             ;   in Loop: Header=BB4_4405 Depth=2
	v_mov_b32_e32 v24, 0
	s_mov_b32 s41, exec_lo
	v_cmpx_ne_u32_e32 0, v19
	s_cbranch_execz .LBB4_5547
; %bb.5540:                             ;   in Loop: Header=BB4_4405 Depth=2
	v_bfe_u32 v23, v19, 23, 8
	v_or_b32_e32 v20, 0x800000, v52
	s_delay_alu instid0(VALU_DEP_2) | instskip(SKIP_1) | instid1(VALU_DEP_2)
	v_sub_nc_u32_e32 v18, 0x71, v23
	v_cmp_gt_u32_e32 vcc_lo, 0x72, v23
	v_cndmask_b32_e32 v18, 0, v18, vcc_lo
	v_cmp_eq_u32_e32 vcc_lo, 0, v23
	s_delay_alu instid0(VALU_DEP_2) | instskip(SKIP_1) | instid1(VALU_DEP_2)
	v_cndmask_b32_e64 v24, v18, 0x70, vcc_lo
	v_cndmask_b32_e32 v52, v20, v52, vcc_lo
	v_dual_add_nc_u32 v18, 21, v24 :: v_dual_add_nc_u32 v21, 20, v24
	s_delay_alu instid0(VALU_DEP_1) | instskip(NEXT) | instid1(VALU_DEP_2)
	v_lshlrev_b64_e64 v[18:19], v18, -1
	v_lshlrev_b64_e64 v[20:21], v21, 1
	s_delay_alu instid0(VALU_DEP_2) | instskip(NEXT) | instid1(VALU_DEP_3)
	v_bfi_b32 v47, v19, 0, 0
	v_bfi_b32 v46, v18, 0, v52
	v_lshrrev_b64 v[18:19], v24, v[52:53]
	s_delay_alu instid0(VALU_DEP_2) | instskip(NEXT) | instid1(VALU_DEP_2)
	v_cmp_eq_u64_e64 s7, v[46:47], v[20:21]
	v_mov_b64_e32 v[20:21], v[18:19]
	s_and_saveexec_b32 s42, s7
; %bb.5541:                             ;   in Loop: Header=BB4_4405 Depth=2
	v_bfe_u32 v52, v18, 21, 1
	s_delay_alu instid0(VALU_DEP_1) | instskip(NEXT) | instid1(VALU_DEP_1)
	v_add_nc_u64_e32 v[20:21], v[18:19], v[52:53]
	v_add_nc_u64_e32 v[20:21], -1, v[20:21]
; %bb.5542:                             ;   in Loop: Header=BB4_4405 Depth=2
	s_or_b32 exec_lo, exec_lo, s42
	v_add_nc_u32_e32 v19, 0xffffff81, v23
	v_lshrrev_b32_e32 v21, 23, v18
	s_mov_b32 s7, exec_lo
	s_delay_alu instid0(VALU_DEP_2) | instskip(NEXT) | instid1(VALU_DEP_1)
	v_cndmask_b32_e64 v19, v19, 0xffffff82, vcc_lo
	v_add3_u32 v21, v24, v19, v21
	v_and_b32_e32 v19, 0x1fffff, v20
                                        ; implicit-def: $vgpr20
	s_delay_alu instid0(VALU_DEP_1) | instskip(NEXT) | instid1(VALU_DEP_1)
	v_dual_add_nc_u32 v23, 14, v21 :: v_dual_add_nc_u32 v52, v19, v18
                                        ; implicit-def: $vgpr18_vgpr19
	v_cmpx_ne_u32_e32 0, v23
	s_xor_b32 s7, exec_lo, s7
; %bb.5543:                             ;   in Loop: Header=BB4_4405 Depth=2
	s_delay_alu instid0(VALU_DEP_2) | instskip(SKIP_1) | instid1(VALU_DEP_1)
	v_cmp_lt_u64_e32 vcc_lo, 0xffffff, v[52:53]
	v_add_nc_u32_e32 v18, 15, v21
	v_cndmask_b32_e32 v20, v23, v18, vcc_lo
	v_cndmask_b32_e64 v18, 0, 1, vcc_lo
	s_delay_alu instid0(VALU_DEP_1)
	v_lshrrev_b64 v[18:19], v18, v[52:53]
; %bb.5544:                             ;   in Loop: Header=BB4_4405 Depth=2
	s_and_not1_saveexec_b32 s7, s7
; %bb.5545:                             ;   in Loop: Header=BB4_4405 Depth=2
	v_mov_b64_e32 v[18:19], v[52:53]
	v_bfe_u32 v20, v52, 23, 1
; %bb.5546:                             ;   in Loop: Header=BB4_4405 Depth=2
	s_or_b32 exec_lo, exec_lo, s7
	s_delay_alu instid0(VALU_DEP_2) | instskip(NEXT) | instid1(VALU_DEP_2)
	v_lshrrev_b64 v[18:19], 21, v[18:19]
	v_cmp_gt_i32_e32 vcc_lo, 32, v20
	v_min_i32_e32 v21, 31, v20
	v_cmp_eq_u32_e64 s7, 0, v20
	s_delay_alu instid0(VALU_DEP_2) | instskip(SKIP_1) | instid1(VALU_DEP_2)
	v_dual_cndmask_b32 v19, 0, v19, vcc_lo :: v_dual_lshlrev_b32 v21, 2, v21
	v_cndmask_b32_e32 v18, 3, v18, vcc_lo
	v_and_b32_e32 v21, 0xfc, v21
	s_delay_alu instid0(VALU_DEP_2) | instskip(NEXT) | instid1(VALU_DEP_2)
	v_cmp_eq_u64_e32 vcc_lo, 0, v[18:19]
	v_and_or_b32 v18, v18, 3, v21
	s_and_b32 s7, s7, vcc_lo
	s_delay_alu instid0(VALU_DEP_1) | instid1(SALU_CYCLE_1)
	v_cndmask_b32_e64 v18, v18, 0, s7
	s_delay_alu instid0(VALU_DEP_1)
	v_or_b32_e32 v24, v18, v22
.LBB4_5547:                             ;   in Loop: Header=BB4_4405 Depth=2
	s_or_b32 exec_lo, exec_lo, s41
                                        ; implicit-def: $vgpr22
.LBB4_5548:                             ;   in Loop: Header=BB4_4405 Depth=2
	s_and_not1_saveexec_b32 s7, s14
; %bb.5549:                             ;   in Loop: Header=BB4_4405 Depth=2
	v_or_b32_e32 v24, 0x7b, v22
; %bb.5550:                             ;   in Loop: Header=BB4_4405 Depth=2
	s_or_b32 exec_lo, exec_lo, s7
                                        ; implicit-def: $vgpr19
                                        ; implicit-def: $vgpr18
.LBB4_5551:                             ;   in Loop: Header=BB4_4405 Depth=2
	s_and_not1_saveexec_b32 s7, s13
	s_cbranch_execz .LBB4_5557
; %bb.5552:                             ;   in Loop: Header=BB4_4405 Depth=2
	s_mov_b32 s13, exec_lo
                                        ; implicit-def: $vgpr24
	v_cmpx_ne_u64_e32 0, v[52:53]
	s_xor_b32 s13, exec_lo, s13
; %bb.5553:                             ;   in Loop: Header=BB4_4405 Depth=2
	v_or_b32_e32 v24, 0x7f, v18
                                        ; implicit-def: $vgpr19
; %bb.5554:                             ;   in Loop: Header=BB4_4405 Depth=2
	s_and_not1_saveexec_b32 s13, s13
; %bb.5555:                             ;   in Loop: Header=BB4_4405 Depth=2
	v_cmp_lt_i32_e32 vcc_lo, -1, v19
	v_cndmask_b32_e32 v24, 0xfc, v110, vcc_lo
; %bb.5556:                             ;   in Loop: Header=BB4_4405 Depth=2
	s_or_b32 exec_lo, exec_lo, s13
.LBB4_5557:                             ;   in Loop: Header=BB4_4405 Depth=2
	s_delay_alu instid0(SALU_CYCLE_1) | instskip(SKIP_4) | instid1(VALU_DEP_2)
	s_or_b32 exec_lo, exec_lo, s7
	v_lshrrev_b32_e32 v20, 16, v14
	v_lshrrev_b32_e32 v18, 16, v10
	s_and_not1_b32 vcc_lo, exec_lo, s12
	s_mov_b32 s13, -1
                                        ; implicit-def: $vgpr21
	v_and_b32_e32 v19, 0xff, v20
	s_delay_alu instid0(VALU_DEP_1)
	v_cmp_ne_u16_e64 s7, 0, v19
	s_cbranch_vccnz .LBB4_5579
; %bb.5558:                             ;   in Loop: Header=BB4_4405 Depth=2
	v_dual_mov_b32 v22, 0 :: v_dual_mov_b32 v21, 0
	s_and_saveexec_b32 s13, s7
	s_cbranch_execz .LBB4_5568
; %bb.5559:                             ;   in Loop: Header=BB4_4405 Depth=2
	v_bfrev_b32_e32 v21, 1
	s_mov_b32 s14, exec_lo
	v_cmpx_ne_u16_e32 0x80, v19
	s_cbranch_execz .LBB4_5567
; %bb.5560:                             ;   in Loop: Header=BB4_4405 Depth=2
	v_and_b32_e32 v21, 0x7c0000, v14
	v_bfe_u32 v23, v14, 16, 2
	s_delay_alu instid0(VALU_DEP_2) | instskip(SKIP_1) | instid1(SALU_CYCLE_1)
	v_cmp_ne_u32_e32 vcc_lo, 0x7c0000, v21
                                        ; implicit-def: $vgpr21
	s_and_saveexec_b32 s41, vcc_lo
	s_xor_b32 s41, exec_lo, s41
	s_cbranch_execz .LBB4_5564
; %bb.5561:                             ;   in Loop: Header=BB4_4405 Depth=2
	v_bfe_u32 v21, v14, 18, 5
	s_mov_b32 s42, exec_lo
	s_delay_alu instid0(VALU_DEP_1)
	v_cmpx_eq_u32_e32 0, v21
; %bb.5562:                             ;   in Loop: Header=BB4_4405 Depth=2
	v_clz_i32_u32_e32 v21, v23
	s_delay_alu instid0(VALU_DEP_1) | instskip(NEXT) | instid1(VALU_DEP_1)
	v_min_u32_e32 v21, 32, v21
	v_subrev_nc_u32_e32 v23, 29, v21
	s_delay_alu instid0(VALU_DEP_1) | instskip(NEXT) | instid1(VALU_DEP_1)
	v_lshlrev_b64_e32 v[46:47], v23, v[20:21]
	v_dual_sub_nc_u32 v21, 30, v21 :: v_dual_bitop2_b32 v23, 3, v46 bitop3:0x40
; %bb.5563:                             ;   in Loop: Header=BB4_4405 Depth=2
	s_or_b32 exec_lo, exec_lo, s42
	v_lshlrev_b32_e32 v25, 24, v20
	s_delay_alu instid0(VALU_DEP_1) | instskip(NEXT) | instid1(VALU_DEP_1)
	v_and_b32_e32 v25, 0x80000000, v25
	v_lshl_add_u32 v21, v21, 23, v25
	s_delay_alu instid0(VALU_DEP_1) | instskip(NEXT) | instid1(VALU_DEP_1)
	v_lshl_or_b32 v21, v23, 21, v21
                                        ; implicit-def: $vgpr23
	v_add_nc_u32_e32 v21, 0x38000000, v21
.LBB4_5564:                             ;   in Loop: Header=BB4_4405 Depth=2
	s_and_not1_saveexec_b32 s41, s41
; %bb.5565:                             ;   in Loop: Header=BB4_4405 Depth=2
	v_bfe_i32 v21, v20, 0, 8
	s_delay_alu instid0(VALU_DEP_1) | instskip(SKIP_2) | instid1(VALU_DEP_2)
	v_cmp_lt_i16_e32 vcc_lo, -1, v21
	v_cndmask_b32_e32 v21, 0xff800000, v109, vcc_lo
	v_cmp_eq_u32_e32 vcc_lo, 0, v23
	v_cndmask_b32_e32 v21, 0x7f800001, v21, vcc_lo
; %bb.5566:                             ;   in Loop: Header=BB4_4405 Depth=2
	s_or_b32 exec_lo, exec_lo, s41
.LBB4_5567:                             ;   in Loop: Header=BB4_4405 Depth=2
	s_delay_alu instid0(SALU_CYCLE_1)
	s_or_b32 exec_lo, exec_lo, s14
.LBB4_5568:                             ;   in Loop: Header=BB4_4405 Depth=2
	s_delay_alu instid0(SALU_CYCLE_1) | instskip(SKIP_2) | instid1(VALU_DEP_1)
	s_or_b32 exec_lo, exec_lo, s13
	v_and_b32_e32 v23, 0xff, v18
	s_mov_b32 s13, exec_lo
	v_cmpx_ne_u16_e32 0, v23
	s_cbranch_execz .LBB4_5578
; %bb.5569:                             ;   in Loop: Header=BB4_4405 Depth=2
	v_bfrev_b32_e32 v22, 1
	s_mov_b32 s14, exec_lo
	v_cmpx_ne_u16_e32 0x80, v23
	s_cbranch_execz .LBB4_5577
; %bb.5570:                             ;   in Loop: Header=BB4_4405 Depth=2
	v_and_b32_e32 v22, 0x7c0000, v10
	v_bfe_u32 v23, v10, 16, 2
	s_delay_alu instid0(VALU_DEP_2) | instskip(SKIP_1) | instid1(SALU_CYCLE_1)
	v_cmp_ne_u32_e32 vcc_lo, 0x7c0000, v22
                                        ; implicit-def: $vgpr22
	s_and_saveexec_b32 s41, vcc_lo
	s_xor_b32 s41, exec_lo, s41
	s_cbranch_execz .LBB4_5574
; %bb.5571:                             ;   in Loop: Header=BB4_4405 Depth=2
	v_bfe_u32 v22, v10, 18, 5
	s_mov_b32 s42, exec_lo
	s_delay_alu instid0(VALU_DEP_1)
	v_cmpx_eq_u32_e32 0, v22
; %bb.5572:                             ;   in Loop: Header=BB4_4405 Depth=2
	v_clz_i32_u32_e32 v22, v23
	s_delay_alu instid0(VALU_DEP_1) | instskip(NEXT) | instid1(VALU_DEP_1)
	v_min_u32_e32 v22, 32, v22
	v_subrev_nc_u32_e32 v23, 29, v22
	v_sub_nc_u32_e32 v22, 30, v22
	s_delay_alu instid0(VALU_DEP_2) | instskip(NEXT) | instid1(VALU_DEP_1)
	v_lshlrev_b64_e32 v[46:47], v23, v[18:19]
	v_and_b32_e32 v23, 3, v46
; %bb.5573:                             ;   in Loop: Header=BB4_4405 Depth=2
	s_or_b32 exec_lo, exec_lo, s42
	v_lshlrev_b32_e32 v25, 24, v18
	s_delay_alu instid0(VALU_DEP_1) | instskip(NEXT) | instid1(VALU_DEP_1)
	v_and_b32_e32 v25, 0x80000000, v25
	v_lshl_add_u32 v22, v22, 23, v25
	s_delay_alu instid0(VALU_DEP_1) | instskip(NEXT) | instid1(VALU_DEP_1)
	v_lshl_or_b32 v22, v23, 21, v22
                                        ; implicit-def: $vgpr23
	v_add_nc_u32_e32 v22, 0x38000000, v22
.LBB4_5574:                             ;   in Loop: Header=BB4_4405 Depth=2
	s_and_not1_saveexec_b32 s41, s41
; %bb.5575:                             ;   in Loop: Header=BB4_4405 Depth=2
	v_bfe_i32 v22, v18, 0, 8
	s_delay_alu instid0(VALU_DEP_1) | instskip(SKIP_2) | instid1(VALU_DEP_2)
	v_cmp_lt_i16_e32 vcc_lo, -1, v22
	v_cndmask_b32_e32 v22, 0xff800000, v109, vcc_lo
	v_cmp_eq_u32_e32 vcc_lo, 0, v23
	v_cndmask_b32_e32 v22, 0x7f800001, v22, vcc_lo
; %bb.5576:                             ;   in Loop: Header=BB4_4405 Depth=2
	s_or_b32 exec_lo, exec_lo, s41
.LBB4_5577:                             ;   in Loop: Header=BB4_4405 Depth=2
	s_delay_alu instid0(SALU_CYCLE_1)
	s_or_b32 exec_lo, exec_lo, s14
.LBB4_5578:                             ;   in Loop: Header=BB4_4405 Depth=2
	s_delay_alu instid0(SALU_CYCLE_1) | instskip(NEXT) | instid1(VALU_DEP_1)
	s_or_b32 exec_lo, exec_lo, s13
	v_dual_max_num_f32 v22, v22, v22 :: v_dual_max_num_f32 v21, v21, v21
	s_mov_b32 s13, 0
	s_delay_alu instid0(VALU_DEP_1)
	v_max_num_f32_e32 v21, v21, v22
.LBB4_5579:                             ;   in Loop: Header=BB4_4405 Depth=2
	s_and_b32 vcc_lo, exec_lo, s13
	s_cbranch_vccz .LBB4_5601
; %bb.5580:                             ;   in Loop: Header=BB4_4405 Depth=2
	v_dual_mov_b32 v22, 0 :: v_dual_mov_b32 v21, 0
	s_and_saveexec_b32 s13, s7
	s_cbranch_execz .LBB4_5590
; %bb.5581:                             ;   in Loop: Header=BB4_4405 Depth=2
	v_bfrev_b32_e32 v21, 1
	s_mov_b32 s7, exec_lo
	v_cmpx_ne_u16_e32 0x80, v19
	s_cbranch_execz .LBB4_5589
; %bb.5582:                             ;   in Loop: Header=BB4_4405 Depth=2
	v_and_b32_e32 v21, 0x7c0000, v14
	v_bfe_u32 v19, v14, 16, 2
	s_delay_alu instid0(VALU_DEP_2) | instskip(SKIP_1) | instid1(SALU_CYCLE_1)
	v_cmp_ne_u32_e32 vcc_lo, 0x7c0000, v21
                                        ; implicit-def: $vgpr21
	s_and_saveexec_b32 s14, vcc_lo
	s_xor_b32 s14, exec_lo, s14
	s_cbranch_execz .LBB4_5586
; %bb.5583:                             ;   in Loop: Header=BB4_4405 Depth=2
	v_bfe_u32 v21, v14, 18, 5
	s_mov_b32 s41, exec_lo
	s_delay_alu instid0(VALU_DEP_1)
	v_cmpx_eq_u32_e32 0, v21
; %bb.5584:                             ;   in Loop: Header=BB4_4405 Depth=2
	v_clz_i32_u32_e32 v19, v19
	s_delay_alu instid0(VALU_DEP_1) | instskip(NEXT) | instid1(VALU_DEP_1)
	v_min_u32_e32 v19, 32, v19
	v_subrev_nc_u32_e32 v21, 29, v19
	s_delay_alu instid0(VALU_DEP_1) | instskip(NEXT) | instid1(VALU_DEP_1)
	v_lshlrev_b64_e32 v[46:47], v21, v[20:21]
	v_dual_sub_nc_u32 v21, 30, v19 :: v_dual_bitop2_b32 v19, 3, v46 bitop3:0x40
; %bb.5585:                             ;   in Loop: Header=BB4_4405 Depth=2
	s_or_b32 exec_lo, exec_lo, s41
	v_lshlrev_b32_e32 v20, 24, v20
	s_delay_alu instid0(VALU_DEP_1) | instskip(NEXT) | instid1(VALU_DEP_1)
	v_and_b32_e32 v20, 0x80000000, v20
	v_lshl_add_u32 v20, v21, 23, v20
	s_delay_alu instid0(VALU_DEP_1) | instskip(NEXT) | instid1(VALU_DEP_1)
	v_lshl_or_b32 v19, v19, 21, v20
                                        ; implicit-def: $vgpr20
	v_add_nc_u32_e32 v21, 0x38000000, v19
                                        ; implicit-def: $vgpr19
.LBB4_5586:                             ;   in Loop: Header=BB4_4405 Depth=2
	s_and_not1_saveexec_b32 s14, s14
; %bb.5587:                             ;   in Loop: Header=BB4_4405 Depth=2
	v_bfe_i32 v20, v20, 0, 8
	s_delay_alu instid0(VALU_DEP_1) | instskip(SKIP_2) | instid1(VALU_DEP_2)
	v_cmp_lt_i16_e32 vcc_lo, -1, v20
	v_cndmask_b32_e32 v20, 0xff800000, v109, vcc_lo
	v_cmp_eq_u32_e32 vcc_lo, 0, v19
	v_cndmask_b32_e32 v21, 0x7f800001, v20, vcc_lo
; %bb.5588:                             ;   in Loop: Header=BB4_4405 Depth=2
	s_or_b32 exec_lo, exec_lo, s14
.LBB4_5589:                             ;   in Loop: Header=BB4_4405 Depth=2
	s_delay_alu instid0(SALU_CYCLE_1)
	s_or_b32 exec_lo, exec_lo, s7
.LBB4_5590:                             ;   in Loop: Header=BB4_4405 Depth=2
	s_delay_alu instid0(SALU_CYCLE_1) | instskip(SKIP_2) | instid1(VALU_DEP_1)
	s_or_b32 exec_lo, exec_lo, s13
	v_and_b32_e32 v19, 0xff, v18
	s_mov_b32 s7, exec_lo
	v_cmpx_ne_u16_e32 0, v19
	s_cbranch_execz .LBB4_5600
; %bb.5591:                             ;   in Loop: Header=BB4_4405 Depth=2
	v_bfrev_b32_e32 v22, 1
	s_mov_b32 s13, exec_lo
	v_cmpx_ne_u16_e32 0x80, v19
	s_cbranch_execz .LBB4_5599
; %bb.5592:                             ;   in Loop: Header=BB4_4405 Depth=2
	v_and_b32_e32 v20, 0x7c0000, v10
	v_bfe_u32 v19, v10, 16, 2
	s_mov_b32 s14, exec_lo
                                        ; implicit-def: $vgpr22
	s_delay_alu instid0(VALU_DEP_2)
	v_cmpx_ne_u32_e32 0x7c0000, v20
	s_xor_b32 s14, exec_lo, s14
	s_cbranch_execz .LBB4_5596
; %bb.5593:                             ;   in Loop: Header=BB4_4405 Depth=2
	v_bfe_u32 v20, v10, 18, 5
	s_mov_b32 s41, exec_lo
	s_delay_alu instid0(VALU_DEP_1)
	v_cmpx_eq_u32_e32 0, v20
; %bb.5594:                             ;   in Loop: Header=BB4_4405 Depth=2
	v_clz_i32_u32_e32 v19, v19
	s_delay_alu instid0(VALU_DEP_1) | instskip(NEXT) | instid1(VALU_DEP_1)
	v_min_u32_e32 v19, 32, v19
	v_subrev_nc_u32_e32 v20, 29, v19
	s_delay_alu instid0(VALU_DEP_1) | instskip(NEXT) | instid1(VALU_DEP_1)
	v_lshlrev_b64_e32 v[22:23], v20, v[18:19]
	v_dual_sub_nc_u32 v20, 30, v19 :: v_dual_bitop2_b32 v19, 3, v22 bitop3:0x40
; %bb.5595:                             ;   in Loop: Header=BB4_4405 Depth=2
	s_or_b32 exec_lo, exec_lo, s41
	v_lshlrev_b32_e32 v18, 24, v18
	s_delay_alu instid0(VALU_DEP_1) | instskip(NEXT) | instid1(VALU_DEP_1)
	v_and_b32_e32 v18, 0x80000000, v18
	v_lshl_add_u32 v18, v20, 23, v18
	s_delay_alu instid0(VALU_DEP_1) | instskip(NEXT) | instid1(VALU_DEP_1)
	v_lshl_or_b32 v18, v19, 21, v18
                                        ; implicit-def: $vgpr19
	v_add_nc_u32_e32 v22, 0x38000000, v18
                                        ; implicit-def: $vgpr18
.LBB4_5596:                             ;   in Loop: Header=BB4_4405 Depth=2
	s_and_not1_saveexec_b32 s14, s14
; %bb.5597:                             ;   in Loop: Header=BB4_4405 Depth=2
	v_bfe_i32 v18, v18, 0, 8
	s_delay_alu instid0(VALU_DEP_1) | instskip(SKIP_2) | instid1(VALU_DEP_2)
	v_cmp_lt_i16_e32 vcc_lo, -1, v18
	v_cndmask_b32_e32 v18, 0xff800000, v109, vcc_lo
	v_cmp_eq_u32_e32 vcc_lo, 0, v19
	v_cndmask_b32_e32 v22, 0x7f800001, v18, vcc_lo
; %bb.5598:                             ;   in Loop: Header=BB4_4405 Depth=2
	s_or_b32 exec_lo, exec_lo, s14
.LBB4_5599:                             ;   in Loop: Header=BB4_4405 Depth=2
	s_delay_alu instid0(SALU_CYCLE_1)
	s_or_b32 exec_lo, exec_lo, s13
.LBB4_5600:                             ;   in Loop: Header=BB4_4405 Depth=2
	s_delay_alu instid0(SALU_CYCLE_1) | instskip(NEXT) | instid1(VALU_DEP_1)
	s_or_b32 exec_lo, exec_lo, s7
	v_dual_max_num_f32 v18, v22, v22 :: v_dual_max_num_f32 v19, v21, v21
	s_delay_alu instid0(VALU_DEP_1)
	v_min_num_f32_e32 v21, v19, v18
.LBB4_5601:                             ;   in Loop: Header=BB4_4405 Depth=2
	s_delay_alu instid0(VALU_DEP_1) | instskip(SKIP_2) | instid1(VALU_DEP_2)
	v_and_b32_e32 v18, 0x7f800000, v21
	v_mov_b32_e32 v19, v53
	v_and_b32_e32 v52, 0x7fffff, v21
                                        ; implicit-def: $vgpr25
	v_cmp_ne_u64_e32 vcc_lo, 0x7f800000, v[18:19]
	v_lshrrev_b32_e32 v18, 24, v21
	s_and_saveexec_b32 s7, vcc_lo
	s_delay_alu instid0(SALU_CYCLE_1)
	s_xor_b32 s13, exec_lo, s7
	s_cbranch_execz .LBB4_5615
; %bb.5602:                             ;   in Loop: Header=BB4_4405 Depth=2
	v_and_b32_e32 v22, 0x7fffffff, v21
	v_mov_b32_e32 v23, v53
                                        ; implicit-def: $vgpr25
	s_delay_alu instid0(VALU_DEP_1) | instskip(SKIP_2) | instid1(SALU_CYCLE_1)
	v_cmp_gt_u64_e32 vcc_lo, 0x47600001, v[22:23]
	v_and_b32_e32 v22, 0x80, v18
	s_and_saveexec_b32 s7, vcc_lo
	s_xor_b32 s14, exec_lo, s7
	s_cbranch_execz .LBB4_5612
; %bb.5603:                             ;   in Loop: Header=BB4_4405 Depth=2
	v_mov_b32_e32 v25, 0
	s_mov_b32 s41, exec_lo
	v_cmpx_ne_u32_e32 0, v21
	s_cbranch_execz .LBB4_5611
; %bb.5604:                             ;   in Loop: Header=BB4_4405 Depth=2
	v_bfe_u32 v23, v21, 23, 8
	v_or_b32_e32 v20, 0x800000, v52
	s_delay_alu instid0(VALU_DEP_2) | instskip(SKIP_1) | instid1(VALU_DEP_2)
	v_sub_nc_u32_e32 v18, 0x71, v23
	v_cmp_gt_u32_e32 vcc_lo, 0x72, v23
	v_cndmask_b32_e32 v18, 0, v18, vcc_lo
	v_cmp_eq_u32_e32 vcc_lo, 0, v23
	s_delay_alu instid0(VALU_DEP_2) | instskip(NEXT) | instid1(VALU_DEP_1)
	v_cndmask_b32_e64 v25, v18, 0x70, vcc_lo
	v_dual_cndmask_b32 v52, v20, v52, vcc_lo :: v_dual_add_nc_u32 v18, 21, v25
	v_add_nc_u32_e32 v21, 20, v25
	s_delay_alu instid0(VALU_DEP_2) | instskip(NEXT) | instid1(VALU_DEP_2)
	v_lshlrev_b64_e64 v[18:19], v18, -1
	v_lshlrev_b64_e64 v[20:21], v21, 1
	s_delay_alu instid0(VALU_DEP_2) | instskip(NEXT) | instid1(VALU_DEP_3)
	v_bfi_b32 v47, v19, 0, 0
	v_bfi_b32 v46, v18, 0, v52
	v_lshrrev_b64 v[18:19], v25, v[52:53]
	s_delay_alu instid0(VALU_DEP_2) | instskip(NEXT) | instid1(VALU_DEP_2)
	v_cmp_eq_u64_e64 s7, v[46:47], v[20:21]
	v_mov_b64_e32 v[20:21], v[18:19]
	s_and_saveexec_b32 s42, s7
; %bb.5605:                             ;   in Loop: Header=BB4_4405 Depth=2
	v_bfe_u32 v52, v18, 21, 1
	s_delay_alu instid0(VALU_DEP_1) | instskip(NEXT) | instid1(VALU_DEP_1)
	v_add_nc_u64_e32 v[20:21], v[18:19], v[52:53]
	v_add_nc_u64_e32 v[20:21], -1, v[20:21]
; %bb.5606:                             ;   in Loop: Header=BB4_4405 Depth=2
	s_or_b32 exec_lo, exec_lo, s42
	v_add_nc_u32_e32 v19, 0xffffff81, v23
	v_lshrrev_b32_e32 v21, 23, v18
	s_mov_b32 s7, exec_lo
	s_delay_alu instid0(VALU_DEP_2) | instskip(NEXT) | instid1(VALU_DEP_1)
	v_cndmask_b32_e64 v19, v19, 0xffffff82, vcc_lo
	v_add3_u32 v21, v25, v19, v21
	v_and_b32_e32 v19, 0x1fffff, v20
                                        ; implicit-def: $vgpr20
	s_delay_alu instid0(VALU_DEP_1) | instskip(NEXT) | instid1(VALU_DEP_1)
	v_dual_add_nc_u32 v23, 14, v21 :: v_dual_add_nc_u32 v52, v19, v18
                                        ; implicit-def: $vgpr18_vgpr19
	v_cmpx_ne_u32_e32 0, v23
	s_xor_b32 s7, exec_lo, s7
; %bb.5607:                             ;   in Loop: Header=BB4_4405 Depth=2
	s_delay_alu instid0(VALU_DEP_2) | instskip(SKIP_1) | instid1(VALU_DEP_1)
	v_cmp_lt_u64_e32 vcc_lo, 0xffffff, v[52:53]
	v_add_nc_u32_e32 v18, 15, v21
	v_cndmask_b32_e32 v20, v23, v18, vcc_lo
	v_cndmask_b32_e64 v18, 0, 1, vcc_lo
	s_delay_alu instid0(VALU_DEP_1)
	v_lshrrev_b64 v[18:19], v18, v[52:53]
; %bb.5608:                             ;   in Loop: Header=BB4_4405 Depth=2
	s_and_not1_saveexec_b32 s7, s7
; %bb.5609:                             ;   in Loop: Header=BB4_4405 Depth=2
	v_mov_b64_e32 v[18:19], v[52:53]
	v_bfe_u32 v20, v52, 23, 1
; %bb.5610:                             ;   in Loop: Header=BB4_4405 Depth=2
	s_or_b32 exec_lo, exec_lo, s7
	s_delay_alu instid0(VALU_DEP_2) | instskip(NEXT) | instid1(VALU_DEP_2)
	v_lshrrev_b64 v[18:19], 21, v[18:19]
	v_cmp_gt_i32_e32 vcc_lo, 32, v20
	v_min_i32_e32 v21, 31, v20
	v_cmp_eq_u32_e64 s7, 0, v20
	s_delay_alu instid0(VALU_DEP_2) | instskip(SKIP_1) | instid1(VALU_DEP_2)
	v_dual_cndmask_b32 v19, 0, v19, vcc_lo :: v_dual_lshlrev_b32 v21, 2, v21
	v_cndmask_b32_e32 v18, 3, v18, vcc_lo
	v_and_b32_e32 v21, 0xfc, v21
	s_delay_alu instid0(VALU_DEP_2) | instskip(NEXT) | instid1(VALU_DEP_2)
	v_cmp_eq_u64_e32 vcc_lo, 0, v[18:19]
	v_and_or_b32 v18, v18, 3, v21
	s_and_b32 s7, s7, vcc_lo
	s_delay_alu instid0(VALU_DEP_1) | instid1(SALU_CYCLE_1)
	v_cndmask_b32_e64 v18, v18, 0, s7
	s_delay_alu instid0(VALU_DEP_1)
	v_or_b32_e32 v25, v18, v22
.LBB4_5611:                             ;   in Loop: Header=BB4_4405 Depth=2
	s_or_b32 exec_lo, exec_lo, s41
                                        ; implicit-def: $vgpr22
.LBB4_5612:                             ;   in Loop: Header=BB4_4405 Depth=2
	s_and_not1_saveexec_b32 s7, s14
; %bb.5613:                             ;   in Loop: Header=BB4_4405 Depth=2
	v_or_b32_e32 v25, 0x7b, v22
; %bb.5614:                             ;   in Loop: Header=BB4_4405 Depth=2
	s_or_b32 exec_lo, exec_lo, s7
                                        ; implicit-def: $vgpr21
                                        ; implicit-def: $vgpr18
.LBB4_5615:                             ;   in Loop: Header=BB4_4405 Depth=2
	s_and_not1_saveexec_b32 s7, s13
	s_cbranch_execz .LBB4_5621
; %bb.5616:                             ;   in Loop: Header=BB4_4405 Depth=2
	s_mov_b32 s13, exec_lo
                                        ; implicit-def: $vgpr25
	v_cmpx_ne_u64_e32 0, v[52:53]
	s_xor_b32 s13, exec_lo, s13
; %bb.5617:                             ;   in Loop: Header=BB4_4405 Depth=2
	v_or_b32_e32 v25, 0x7f, v18
                                        ; implicit-def: $vgpr21
; %bb.5618:                             ;   in Loop: Header=BB4_4405 Depth=2
	s_and_not1_saveexec_b32 s13, s13
; %bb.5619:                             ;   in Loop: Header=BB4_4405 Depth=2
	v_cmp_lt_i32_e32 vcc_lo, -1, v21
	v_cndmask_b32_e32 v25, 0xfc, v110, vcc_lo
; %bb.5620:                             ;   in Loop: Header=BB4_4405 Depth=2
	s_or_b32 exec_lo, exec_lo, s13
.LBB4_5621:                             ;   in Loop: Header=BB4_4405 Depth=2
	s_delay_alu instid0(SALU_CYCLE_1)
	s_or_b32 exec_lo, exec_lo, s7
	v_lshrrev_b32_e32 v20, 24, v14
	v_lshrrev_b32_e32 v18, 24, v10
	v_cmp_lt_u32_e64 s7, 0xffffff, v14
	s_and_not1_b32 vcc_lo, exec_lo, s12
	s_mov_b32 s13, -1
                                        ; implicit-def: $vgpr19
	s_cbranch_vccnz .LBB4_5643
; %bb.5622:                             ;   in Loop: Header=BB4_4405 Depth=2
	v_dual_mov_b32 v21, 0 :: v_dual_mov_b32 v19, 0
	s_and_saveexec_b32 s13, s7
	s_cbranch_execz .LBB4_5632
; %bb.5623:                             ;   in Loop: Header=BB4_4405 Depth=2
	v_bfrev_b32_e32 v19, 1
	s_mov_b32 s14, exec_lo
	v_cmpx_ne_u32_e32 0x80, v20
	s_cbranch_execz .LBB4_5631
; %bb.5624:                             ;   in Loop: Header=BB4_4405 Depth=2
	v_and_b32_e32 v19, 0x7c000000, v14
	v_bfe_u32 v22, v14, 24, 2
	s_delay_alu instid0(VALU_DEP_2) | instskip(SKIP_1) | instid1(SALU_CYCLE_1)
	v_cmp_ne_u32_e32 vcc_lo, 0x7c000000, v19
                                        ; implicit-def: $vgpr19
	s_and_saveexec_b32 s41, vcc_lo
	s_xor_b32 s41, exec_lo, s41
	s_cbranch_execz .LBB4_5628
; %bb.5625:                             ;   in Loop: Header=BB4_4405 Depth=2
	v_bfe_u32 v19, v14, 26, 5
	s_mov_b32 s42, exec_lo
	s_delay_alu instid0(VALU_DEP_1)
	v_cmpx_eq_u32_e32 0, v19
; %bb.5626:                             ;   in Loop: Header=BB4_4405 Depth=2
	v_clz_i32_u32_e32 v19, v22
	s_delay_alu instid0(VALU_DEP_1) | instskip(NEXT) | instid1(VALU_DEP_1)
	v_min_u32_e32 v19, 32, v19
	v_subrev_nc_u32_e32 v22, 29, v19
	s_delay_alu instid0(VALU_DEP_1) | instskip(NEXT) | instid1(VALU_DEP_1)
	v_lshlrev_b64_e32 v[22:23], v22, v[20:21]
	v_dual_sub_nc_u32 v19, 30, v19 :: v_dual_bitop2_b32 v22, 3, v22 bitop3:0x40
; %bb.5627:                             ;   in Loop: Header=BB4_4405 Depth=2
	s_or_b32 exec_lo, exec_lo, s42
	v_and_b32_e32 v23, 0x80000000, v14
	s_delay_alu instid0(VALU_DEP_1) | instskip(NEXT) | instid1(VALU_DEP_1)
	v_lshl_add_u32 v19, v19, 23, v23
	v_lshl_or_b32 v19, v22, 21, v19
                                        ; implicit-def: $vgpr22
	s_delay_alu instid0(VALU_DEP_1)
	v_add_nc_u32_e32 v19, 0x38000000, v19
.LBB4_5628:                             ;   in Loop: Header=BB4_4405 Depth=2
	s_and_not1_saveexec_b32 s41, s41
; %bb.5629:                             ;   in Loop: Header=BB4_4405 Depth=2
	v_cmp_lt_i32_e32 vcc_lo, -1, v14
	v_cndmask_b32_e32 v19, 0xff800000, v109, vcc_lo
	v_cmp_eq_u32_e32 vcc_lo, 0, v22
	s_delay_alu instid0(VALU_DEP_2)
	v_cndmask_b32_e32 v19, 0x7f800001, v19, vcc_lo
; %bb.5630:                             ;   in Loop: Header=BB4_4405 Depth=2
	s_or_b32 exec_lo, exec_lo, s41
.LBB4_5631:                             ;   in Loop: Header=BB4_4405 Depth=2
	s_delay_alu instid0(SALU_CYCLE_1)
	s_or_b32 exec_lo, exec_lo, s14
.LBB4_5632:                             ;   in Loop: Header=BB4_4405 Depth=2
	s_delay_alu instid0(SALU_CYCLE_1) | instskip(NEXT) | instid1(SALU_CYCLE_1)
	s_or_b32 exec_lo, exec_lo, s13
	s_mov_b32 s13, exec_lo
	v_cmpx_lt_u32_e32 0xffffff, v10
	s_cbranch_execz .LBB4_5642
; %bb.5633:                             ;   in Loop: Header=BB4_4405 Depth=2
	v_bfrev_b32_e32 v21, 1
	s_mov_b32 s14, exec_lo
	v_cmpx_ne_u32_e32 0x80, v18
	s_cbranch_execz .LBB4_5641
; %bb.5634:                             ;   in Loop: Header=BB4_4405 Depth=2
	v_and_b32_e32 v21, 0x7c000000, v10
	v_bfe_u32 v22, v10, 24, 2
	s_delay_alu instid0(VALU_DEP_2) | instskip(SKIP_1) | instid1(SALU_CYCLE_1)
	v_cmp_ne_u32_e32 vcc_lo, 0x7c000000, v21
                                        ; implicit-def: $vgpr21
	s_and_saveexec_b32 s41, vcc_lo
	s_xor_b32 s41, exec_lo, s41
	s_cbranch_execz .LBB4_5638
; %bb.5635:                             ;   in Loop: Header=BB4_4405 Depth=2
	v_bfe_u32 v21, v10, 26, 5
	s_mov_b32 s42, exec_lo
	s_delay_alu instid0(VALU_DEP_1)
	v_cmpx_eq_u32_e32 0, v21
; %bb.5636:                             ;   in Loop: Header=BB4_4405 Depth=2
	v_clz_i32_u32_e32 v21, v22
	s_delay_alu instid0(VALU_DEP_1) | instskip(NEXT) | instid1(VALU_DEP_1)
	v_min_u32_e32 v21, 32, v21
	v_subrev_nc_u32_e32 v22, 29, v21
	s_delay_alu instid0(VALU_DEP_1) | instskip(NEXT) | instid1(VALU_DEP_1)
	v_lshlrev_b64_e32 v[22:23], v22, v[18:19]
	v_dual_sub_nc_u32 v21, 30, v21 :: v_dual_bitop2_b32 v22, 3, v22 bitop3:0x40
; %bb.5637:                             ;   in Loop: Header=BB4_4405 Depth=2
	s_or_b32 exec_lo, exec_lo, s42
	v_and_b32_e32 v23, 0x80000000, v10
	s_delay_alu instid0(VALU_DEP_1) | instskip(NEXT) | instid1(VALU_DEP_1)
	v_lshl_add_u32 v21, v21, 23, v23
	v_lshl_or_b32 v21, v22, 21, v21
                                        ; implicit-def: $vgpr22
	s_delay_alu instid0(VALU_DEP_1)
	v_add_nc_u32_e32 v21, 0x38000000, v21
.LBB4_5638:                             ;   in Loop: Header=BB4_4405 Depth=2
	s_and_not1_saveexec_b32 s41, s41
; %bb.5639:                             ;   in Loop: Header=BB4_4405 Depth=2
	v_cmp_lt_i32_e32 vcc_lo, -1, v10
	v_cndmask_b32_e32 v21, 0xff800000, v109, vcc_lo
	v_cmp_eq_u32_e32 vcc_lo, 0, v22
	s_delay_alu instid0(VALU_DEP_2)
	v_cndmask_b32_e32 v21, 0x7f800001, v21, vcc_lo
; %bb.5640:                             ;   in Loop: Header=BB4_4405 Depth=2
	s_or_b32 exec_lo, exec_lo, s41
.LBB4_5641:                             ;   in Loop: Header=BB4_4405 Depth=2
	s_delay_alu instid0(SALU_CYCLE_1)
	s_or_b32 exec_lo, exec_lo, s14
.LBB4_5642:                             ;   in Loop: Header=BB4_4405 Depth=2
	s_delay_alu instid0(SALU_CYCLE_1) | instskip(NEXT) | instid1(VALU_DEP_1)
	s_or_b32 exec_lo, exec_lo, s13
	v_dual_max_num_f32 v21, v21, v21 :: v_dual_max_num_f32 v19, v19, v19
	s_mov_b32 s13, 0
	s_delay_alu instid0(VALU_DEP_1)
	v_max_num_f32_e32 v19, v19, v21
.LBB4_5643:                             ;   in Loop: Header=BB4_4405 Depth=2
	s_and_b32 vcc_lo, exec_lo, s13
	s_cbranch_vccz .LBB4_5665
; %bb.5644:                             ;   in Loop: Header=BB4_4405 Depth=2
	v_dual_mov_b32 v21, 0 :: v_dual_mov_b32 v19, 0
	s_and_saveexec_b32 s13, s7
	s_cbranch_execz .LBB4_5654
; %bb.5645:                             ;   in Loop: Header=BB4_4405 Depth=2
	v_bfrev_b32_e32 v19, 1
	s_mov_b32 s7, exec_lo
	v_cmpx_ne_u32_e32 0x80, v20
	s_cbranch_execz .LBB4_5653
; %bb.5646:                             ;   in Loop: Header=BB4_4405 Depth=2
	v_and_b32_e32 v19, 0x7c000000, v14
	v_bfe_u32 v22, v14, 24, 2
	s_delay_alu instid0(VALU_DEP_2) | instskip(SKIP_1) | instid1(SALU_CYCLE_1)
	v_cmp_ne_u32_e32 vcc_lo, 0x7c000000, v19
                                        ; implicit-def: $vgpr19
	s_and_saveexec_b32 s14, vcc_lo
	s_xor_b32 s14, exec_lo, s14
	s_cbranch_execz .LBB4_5650
; %bb.5647:                             ;   in Loop: Header=BB4_4405 Depth=2
	v_bfe_u32 v19, v14, 26, 5
	s_mov_b32 s41, exec_lo
	s_delay_alu instid0(VALU_DEP_1)
	v_cmpx_eq_u32_e32 0, v19
; %bb.5648:                             ;   in Loop: Header=BB4_4405 Depth=2
	v_clz_i32_u32_e32 v19, v22
	s_delay_alu instid0(VALU_DEP_1) | instskip(NEXT) | instid1(VALU_DEP_1)
	v_min_u32_e32 v19, 32, v19
	v_subrev_nc_u32_e32 v22, 29, v19
	s_delay_alu instid0(VALU_DEP_1) | instskip(NEXT) | instid1(VALU_DEP_1)
	v_lshlrev_b64_e32 v[22:23], v22, v[20:21]
	v_dual_sub_nc_u32 v19, 30, v19 :: v_dual_bitop2_b32 v22, 3, v22 bitop3:0x40
; %bb.5649:                             ;   in Loop: Header=BB4_4405 Depth=2
	s_or_b32 exec_lo, exec_lo, s41
	v_and_b32_e32 v20, 0x80000000, v14
	s_delay_alu instid0(VALU_DEP_1) | instskip(NEXT) | instid1(VALU_DEP_1)
	v_lshl_add_u32 v19, v19, 23, v20
	v_lshl_or_b32 v19, v22, 21, v19
                                        ; implicit-def: $vgpr22
	s_delay_alu instid0(VALU_DEP_1)
	v_add_nc_u32_e32 v19, 0x38000000, v19
.LBB4_5650:                             ;   in Loop: Header=BB4_4405 Depth=2
	s_and_not1_saveexec_b32 s14, s14
; %bb.5651:                             ;   in Loop: Header=BB4_4405 Depth=2
	v_cmp_lt_i32_e32 vcc_lo, -1, v14
	v_cndmask_b32_e32 v19, 0xff800000, v109, vcc_lo
	v_cmp_eq_u32_e32 vcc_lo, 0, v22
	s_delay_alu instid0(VALU_DEP_2)
	v_cndmask_b32_e32 v19, 0x7f800001, v19, vcc_lo
; %bb.5652:                             ;   in Loop: Header=BB4_4405 Depth=2
	s_or_b32 exec_lo, exec_lo, s14
.LBB4_5653:                             ;   in Loop: Header=BB4_4405 Depth=2
	s_delay_alu instid0(SALU_CYCLE_1)
	s_or_b32 exec_lo, exec_lo, s7
.LBB4_5654:                             ;   in Loop: Header=BB4_4405 Depth=2
	s_delay_alu instid0(SALU_CYCLE_1) | instskip(NEXT) | instid1(SALU_CYCLE_1)
	s_or_b32 exec_lo, exec_lo, s13
	s_mov_b32 s7, exec_lo
	v_cmpx_lt_u32_e32 0xffffff, v10
	s_cbranch_execz .LBB4_5664
; %bb.5655:                             ;   in Loop: Header=BB4_4405 Depth=2
	v_bfrev_b32_e32 v21, 1
	s_mov_b32 s13, exec_lo
	v_cmpx_ne_u32_e32 0x80, v18
	s_cbranch_execz .LBB4_5663
; %bb.5656:                             ;   in Loop: Header=BB4_4405 Depth=2
	v_and_b32_e32 v21, 0x7c000000, v10
	v_bfe_u32 v20, v10, 24, 2
	s_delay_alu instid0(VALU_DEP_2) | instskip(SKIP_1) | instid1(SALU_CYCLE_1)
	v_cmp_ne_u32_e32 vcc_lo, 0x7c000000, v21
                                        ; implicit-def: $vgpr21
	s_and_saveexec_b32 s14, vcc_lo
	s_xor_b32 s14, exec_lo, s14
	s_cbranch_execz .LBB4_5660
; %bb.5657:                             ;   in Loop: Header=BB4_4405 Depth=2
	v_bfe_u32 v21, v10, 26, 5
	s_mov_b32 s41, exec_lo
	s_delay_alu instid0(VALU_DEP_1)
	v_cmpx_eq_u32_e32 0, v21
; %bb.5658:                             ;   in Loop: Header=BB4_4405 Depth=2
	v_clz_i32_u32_e32 v20, v20
	s_delay_alu instid0(VALU_DEP_1) | instskip(NEXT) | instid1(VALU_DEP_1)
	v_min_u32_e32 v22, 32, v20
	v_subrev_nc_u32_e32 v20, 29, v22
	s_delay_alu instid0(VALU_DEP_1) | instskip(NEXT) | instid1(VALU_DEP_1)
	v_lshlrev_b64_e32 v[20:21], v20, v[18:19]
	v_dual_sub_nc_u32 v21, 30, v22 :: v_dual_bitop2_b32 v20, 3, v20 bitop3:0x40
; %bb.5659:                             ;   in Loop: Header=BB4_4405 Depth=2
	s_or_b32 exec_lo, exec_lo, s41
	v_and_b32_e32 v18, 0x80000000, v10
	s_delay_alu instid0(VALU_DEP_1) | instskip(NEXT) | instid1(VALU_DEP_1)
	v_lshl_add_u32 v18, v21, 23, v18
	v_lshl_or_b32 v18, v20, 21, v18
                                        ; implicit-def: $vgpr20
	s_delay_alu instid0(VALU_DEP_1)
	v_add_nc_u32_e32 v21, 0x38000000, v18
.LBB4_5660:                             ;   in Loop: Header=BB4_4405 Depth=2
	s_and_not1_saveexec_b32 s14, s14
; %bb.5661:                             ;   in Loop: Header=BB4_4405 Depth=2
	v_cmp_lt_i32_e32 vcc_lo, -1, v10
	v_cndmask_b32_e32 v18, 0xff800000, v109, vcc_lo
	v_cmp_eq_u32_e32 vcc_lo, 0, v20
	s_delay_alu instid0(VALU_DEP_2)
	v_cndmask_b32_e32 v21, 0x7f800001, v18, vcc_lo
; %bb.5662:                             ;   in Loop: Header=BB4_4405 Depth=2
	s_or_b32 exec_lo, exec_lo, s14
.LBB4_5663:                             ;   in Loop: Header=BB4_4405 Depth=2
	s_delay_alu instid0(SALU_CYCLE_1)
	s_or_b32 exec_lo, exec_lo, s13
.LBB4_5664:                             ;   in Loop: Header=BB4_4405 Depth=2
	s_delay_alu instid0(SALU_CYCLE_1) | instskip(NEXT) | instid1(VALU_DEP_1)
	s_or_b32 exec_lo, exec_lo, s7
	v_dual_max_num_f32 v18, v21, v21 :: v_dual_max_num_f32 v19, v19, v19
	s_delay_alu instid0(VALU_DEP_1)
	v_min_num_f32_e32 v19, v19, v18
.LBB4_5665:                             ;   in Loop: Header=BB4_4405 Depth=2
	s_delay_alu instid0(VALU_DEP_1) | instskip(SKIP_3) | instid1(VALU_DEP_2)
	v_and_b32_e32 v20, 0x7f800000, v19
	v_dual_mov_b32 v21, v53 :: v_dual_lshrrev_b32 v18, 24, v19
	v_and_b32_e32 v52, 0x7fffff, v19
                                        ; implicit-def: $vgpr45
	s_mov_b32 s7, exec_lo
	v_cmpx_ne_u64_e32 0x7f800000, v[20:21]
	s_xor_b32 s13, exec_lo, s7
	s_cbranch_execz .LBB4_5679
; %bb.5666:                             ;   in Loop: Header=BB4_4405 Depth=2
	v_and_b32_e32 v20, 0x7fffffff, v19
	v_mov_b32_e32 v21, v53
	v_and_b32_e32 v22, 0x80, v18
                                        ; implicit-def: $vgpr45
	s_mov_b32 s7, exec_lo
	s_delay_alu instid0(VALU_DEP_2)
	v_cmpx_gt_u64_e32 0x47600001, v[20:21]
	s_xor_b32 s14, exec_lo, s7
	s_cbranch_execz .LBB4_5676
; %bb.5667:                             ;   in Loop: Header=BB4_4405 Depth=2
	v_mov_b32_e32 v45, 0
	s_mov_b32 s41, exec_lo
	v_cmpx_ne_u32_e32 0, v19
	s_cbranch_execz .LBB4_5675
; %bb.5668:                             ;   in Loop: Header=BB4_4405 Depth=2
	v_bfe_u32 v23, v19, 23, 8
	v_or_b32_e32 v20, 0x800000, v52
	s_delay_alu instid0(VALU_DEP_2) | instskip(SKIP_1) | instid1(VALU_DEP_2)
	v_sub_nc_u32_e32 v18, 0x71, v23
	v_cmp_gt_u32_e32 vcc_lo, 0x72, v23
	v_cndmask_b32_e32 v18, 0, v18, vcc_lo
	v_cmp_eq_u32_e32 vcc_lo, 0, v23
	s_delay_alu instid0(VALU_DEP_2) | instskip(NEXT) | instid1(VALU_DEP_1)
	v_cndmask_b32_e64 v45, v18, 0x70, vcc_lo
	v_dual_cndmask_b32 v52, v20, v52, vcc_lo :: v_dual_add_nc_u32 v18, 21, v45
	v_add_nc_u32_e32 v21, 20, v45
	s_delay_alu instid0(VALU_DEP_2) | instskip(NEXT) | instid1(VALU_DEP_2)
	v_lshlrev_b64_e64 v[18:19], v18, -1
	v_lshlrev_b64_e64 v[20:21], v21, 1
	s_delay_alu instid0(VALU_DEP_2) | instskip(NEXT) | instid1(VALU_DEP_3)
	v_bfi_b32 v47, v19, 0, 0
	v_bfi_b32 v46, v18, 0, v52
	v_lshrrev_b64 v[18:19], v45, v[52:53]
	s_delay_alu instid0(VALU_DEP_2) | instskip(NEXT) | instid1(VALU_DEP_2)
	v_cmp_eq_u64_e64 s7, v[46:47], v[20:21]
	v_mov_b64_e32 v[20:21], v[18:19]
	s_and_saveexec_b32 s42, s7
; %bb.5669:                             ;   in Loop: Header=BB4_4405 Depth=2
	v_bfe_u32 v52, v18, 21, 1
	s_delay_alu instid0(VALU_DEP_1) | instskip(NEXT) | instid1(VALU_DEP_1)
	v_add_nc_u64_e32 v[20:21], v[18:19], v[52:53]
	v_add_nc_u64_e32 v[20:21], -1, v[20:21]
; %bb.5670:                             ;   in Loop: Header=BB4_4405 Depth=2
	s_or_b32 exec_lo, exec_lo, s42
	v_add_nc_u32_e32 v19, 0xffffff81, v23
	v_lshrrev_b32_e32 v21, 23, v18
	s_mov_b32 s7, exec_lo
	s_delay_alu instid0(VALU_DEP_2) | instskip(NEXT) | instid1(VALU_DEP_1)
	v_cndmask_b32_e64 v19, v19, 0xffffff82, vcc_lo
	v_add3_u32 v21, v45, v19, v21
	v_and_b32_e32 v19, 0x1fffff, v20
                                        ; implicit-def: $vgpr20
	s_delay_alu instid0(VALU_DEP_1) | instskip(NEXT) | instid1(VALU_DEP_1)
	v_dual_add_nc_u32 v23, 14, v21 :: v_dual_add_nc_u32 v52, v19, v18
                                        ; implicit-def: $vgpr18_vgpr19
	v_cmpx_ne_u32_e32 0, v23
	s_xor_b32 s7, exec_lo, s7
; %bb.5671:                             ;   in Loop: Header=BB4_4405 Depth=2
	s_delay_alu instid0(VALU_DEP_2) | instskip(SKIP_1) | instid1(VALU_DEP_1)
	v_cmp_lt_u64_e32 vcc_lo, 0xffffff, v[52:53]
	v_add_nc_u32_e32 v18, 15, v21
	v_cndmask_b32_e32 v20, v23, v18, vcc_lo
	v_cndmask_b32_e64 v18, 0, 1, vcc_lo
	s_delay_alu instid0(VALU_DEP_1)
	v_lshrrev_b64 v[18:19], v18, v[52:53]
; %bb.5672:                             ;   in Loop: Header=BB4_4405 Depth=2
	s_and_not1_saveexec_b32 s7, s7
; %bb.5673:                             ;   in Loop: Header=BB4_4405 Depth=2
	v_mov_b64_e32 v[18:19], v[52:53]
	v_bfe_u32 v20, v52, 23, 1
; %bb.5674:                             ;   in Loop: Header=BB4_4405 Depth=2
	s_or_b32 exec_lo, exec_lo, s7
	s_delay_alu instid0(VALU_DEP_2) | instskip(NEXT) | instid1(VALU_DEP_2)
	v_lshrrev_b64 v[18:19], 21, v[18:19]
	v_cmp_gt_i32_e32 vcc_lo, 32, v20
	v_min_i32_e32 v21, 31, v20
	v_cmp_eq_u32_e64 s7, 0, v20
	s_delay_alu instid0(VALU_DEP_2) | instskip(SKIP_1) | instid1(VALU_DEP_2)
	v_dual_cndmask_b32 v19, 0, v19, vcc_lo :: v_dual_lshlrev_b32 v21, 2, v21
	v_cndmask_b32_e32 v18, 3, v18, vcc_lo
	v_and_b32_e32 v21, 0xfc, v21
	s_delay_alu instid0(VALU_DEP_2) | instskip(NEXT) | instid1(VALU_DEP_2)
	v_cmp_eq_u64_e32 vcc_lo, 0, v[18:19]
	v_and_or_b32 v18, v18, 3, v21
	s_and_b32 s7, s7, vcc_lo
	s_delay_alu instid0(VALU_DEP_1) | instid1(SALU_CYCLE_1)
	v_cndmask_b32_e64 v18, v18, 0, s7
	s_delay_alu instid0(VALU_DEP_1)
	v_or_b32_e32 v45, v18, v22
.LBB4_5675:                             ;   in Loop: Header=BB4_4405 Depth=2
	s_or_b32 exec_lo, exec_lo, s41
                                        ; implicit-def: $vgpr22
.LBB4_5676:                             ;   in Loop: Header=BB4_4405 Depth=2
	s_and_not1_saveexec_b32 s7, s14
; %bb.5677:                             ;   in Loop: Header=BB4_4405 Depth=2
	v_or_b32_e32 v45, 0x7b, v22
; %bb.5678:                             ;   in Loop: Header=BB4_4405 Depth=2
	s_or_b32 exec_lo, exec_lo, s7
                                        ; implicit-def: $vgpr19
                                        ; implicit-def: $vgpr18
.LBB4_5679:                             ;   in Loop: Header=BB4_4405 Depth=2
	s_and_not1_saveexec_b32 s7, s13
	s_cbranch_execz .LBB4_5685
; %bb.5680:                             ;   in Loop: Header=BB4_4405 Depth=2
	s_mov_b32 s13, exec_lo
                                        ; implicit-def: $vgpr45
	v_cmpx_ne_u64_e32 0, v[52:53]
	s_xor_b32 s13, exec_lo, s13
; %bb.5681:                             ;   in Loop: Header=BB4_4405 Depth=2
	v_or_b32_e32 v45, 0x7f, v18
                                        ; implicit-def: $vgpr19
; %bb.5682:                             ;   in Loop: Header=BB4_4405 Depth=2
	s_and_not1_saveexec_b32 s13, s13
; %bb.5683:                             ;   in Loop: Header=BB4_4405 Depth=2
	v_cmp_lt_i32_e32 vcc_lo, -1, v19
	v_cndmask_b32_e32 v45, 0xfc, v110, vcc_lo
; %bb.5684:                             ;   in Loop: Header=BB4_4405 Depth=2
	s_or_b32 exec_lo, exec_lo, s13
.LBB4_5685:                             ;   in Loop: Header=BB4_4405 Depth=2
	s_delay_alu instid0(SALU_CYCLE_1) | instskip(SKIP_4) | instid1(VALU_DEP_3)
	s_or_b32 exec_lo, exec_lo, s7
	v_and_b32_e32 v20, 0xff, v15
	v_dual_mov_b32 v52, v15 :: v_dual_mov_b32 v18, v11
	v_mov_b32_e32 v19, v53
	s_and_not1_b32 vcc_lo, exec_lo, s12
	v_cmp_ne_u16_e64 s7, 0, v20
	s_mov_b32 s13, -1
                                        ; implicit-def: $vgpr22
	s_cbranch_vccnz .LBB4_5707
; %bb.5686:                             ;   in Loop: Header=BB4_4405 Depth=2
	v_dual_mov_b32 v22, 0 :: v_dual_mov_b32 v21, 0
	s_and_saveexec_b32 s13, s7
	s_cbranch_execz .LBB4_5696
; %bb.5687:                             ;   in Loop: Header=BB4_4405 Depth=2
	v_bfrev_b32_e32 v21, 1
	s_mov_b32 s14, exec_lo
	v_cmpx_ne_u16_e32 0x80, v20
	s_cbranch_execz .LBB4_5695
; %bb.5688:                             ;   in Loop: Header=BB4_4405 Depth=2
	v_and_b32_e32 v21, 0x7c, v15
	v_and_b32_e32 v23, 3, v15
	s_delay_alu instid0(VALU_DEP_2) | instskip(SKIP_1) | instid1(SALU_CYCLE_1)
	v_cmp_ne_u32_e32 vcc_lo, 0x7c, v21
                                        ; implicit-def: $vgpr21
	s_and_saveexec_b32 s41, vcc_lo
	s_xor_b32 s41, exec_lo, s41
	s_cbranch_execz .LBB4_5692
; %bb.5689:                             ;   in Loop: Header=BB4_4405 Depth=2
	v_bfe_u32 v21, v15, 2, 5
	s_mov_b32 s42, exec_lo
	s_delay_alu instid0(VALU_DEP_1)
	v_cmpx_eq_u32_e32 0, v21
; %bb.5690:                             ;   in Loop: Header=BB4_4405 Depth=2
	v_clz_i32_u32_e32 v21, v23
	s_delay_alu instid0(VALU_DEP_1) | instskip(NEXT) | instid1(VALU_DEP_1)
	v_min_u32_e32 v21, 32, v21
	v_subrev_nc_u32_e32 v23, 29, v21
	s_delay_alu instid0(VALU_DEP_1) | instskip(NEXT) | instid1(VALU_DEP_1)
	v_lshlrev_b64_e32 v[46:47], v23, v[52:53]
	v_dual_sub_nc_u32 v21, 30, v21 :: v_dual_bitop2_b32 v23, 3, v46 bitop3:0x40
; %bb.5691:                             ;   in Loop: Header=BB4_4405 Depth=2
	s_or_b32 exec_lo, exec_lo, s42
	v_lshlrev_b32_e32 v46, 24, v15
	s_delay_alu instid0(VALU_DEP_1) | instskip(NEXT) | instid1(VALU_DEP_1)
	v_and_b32_e32 v46, 0x80000000, v46
	v_lshl_add_u32 v21, v21, 23, v46
	s_delay_alu instid0(VALU_DEP_1) | instskip(NEXT) | instid1(VALU_DEP_1)
	v_lshl_or_b32 v21, v23, 21, v21
                                        ; implicit-def: $vgpr23
	v_add_nc_u32_e32 v21, 0x38000000, v21
.LBB4_5692:                             ;   in Loop: Header=BB4_4405 Depth=2
	s_and_not1_saveexec_b32 s41, s41
; %bb.5693:                             ;   in Loop: Header=BB4_4405 Depth=2
	v_bfe_i32 v21, v15, 0, 8
	s_delay_alu instid0(VALU_DEP_1) | instskip(SKIP_2) | instid1(VALU_DEP_2)
	v_cmp_lt_i16_e32 vcc_lo, -1, v21
	v_cndmask_b32_e32 v21, 0xff800000, v109, vcc_lo
	v_cmp_eq_u32_e32 vcc_lo, 0, v23
	v_cndmask_b32_e32 v21, 0x7f800001, v21, vcc_lo
; %bb.5694:                             ;   in Loop: Header=BB4_4405 Depth=2
	s_or_b32 exec_lo, exec_lo, s41
.LBB4_5695:                             ;   in Loop: Header=BB4_4405 Depth=2
	s_delay_alu instid0(SALU_CYCLE_1)
	s_or_b32 exec_lo, exec_lo, s14
.LBB4_5696:                             ;   in Loop: Header=BB4_4405 Depth=2
	s_delay_alu instid0(SALU_CYCLE_1) | instskip(SKIP_2) | instid1(VALU_DEP_1)
	s_or_b32 exec_lo, exec_lo, s13
	v_and_b32_e32 v23, 0xff, v11
	s_mov_b32 s13, exec_lo
	v_cmpx_ne_u16_e32 0, v23
	s_cbranch_execz .LBB4_5706
; %bb.5697:                             ;   in Loop: Header=BB4_4405 Depth=2
	v_bfrev_b32_e32 v22, 1
	s_mov_b32 s14, exec_lo
	v_cmpx_ne_u16_e32 0x80, v23
	s_cbranch_execz .LBB4_5705
; %bb.5698:                             ;   in Loop: Header=BB4_4405 Depth=2
	v_and_b32_e32 v22, 0x7c, v11
	v_and_b32_e32 v23, 3, v11
	s_delay_alu instid0(VALU_DEP_2) | instskip(SKIP_1) | instid1(SALU_CYCLE_1)
	v_cmp_ne_u32_e32 vcc_lo, 0x7c, v22
                                        ; implicit-def: $vgpr22
	s_and_saveexec_b32 s41, vcc_lo
	s_xor_b32 s41, exec_lo, s41
	s_cbranch_execz .LBB4_5702
; %bb.5699:                             ;   in Loop: Header=BB4_4405 Depth=2
	v_bfe_u32 v22, v11, 2, 5
	s_mov_b32 s42, exec_lo
	s_delay_alu instid0(VALU_DEP_1)
	v_cmpx_eq_u32_e32 0, v22
; %bb.5700:                             ;   in Loop: Header=BB4_4405 Depth=2
	v_clz_i32_u32_e32 v22, v23
	s_delay_alu instid0(VALU_DEP_1) | instskip(NEXT) | instid1(VALU_DEP_1)
	v_min_u32_e32 v22, 32, v22
	v_subrev_nc_u32_e32 v23, 29, v22
	v_sub_nc_u32_e32 v22, 30, v22
	s_delay_alu instid0(VALU_DEP_2) | instskip(NEXT) | instid1(VALU_DEP_1)
	v_lshlrev_b64_e32 v[46:47], v23, v[18:19]
	v_and_b32_e32 v23, 3, v46
; %bb.5701:                             ;   in Loop: Header=BB4_4405 Depth=2
	s_or_b32 exec_lo, exec_lo, s42
	v_lshlrev_b32_e32 v46, 24, v11
	s_delay_alu instid0(VALU_DEP_1) | instskip(NEXT) | instid1(VALU_DEP_1)
	v_and_b32_e32 v46, 0x80000000, v46
	v_lshl_add_u32 v22, v22, 23, v46
	s_delay_alu instid0(VALU_DEP_1) | instskip(NEXT) | instid1(VALU_DEP_1)
	v_lshl_or_b32 v22, v23, 21, v22
                                        ; implicit-def: $vgpr23
	v_add_nc_u32_e32 v22, 0x38000000, v22
.LBB4_5702:                             ;   in Loop: Header=BB4_4405 Depth=2
	s_and_not1_saveexec_b32 s41, s41
; %bb.5703:                             ;   in Loop: Header=BB4_4405 Depth=2
	v_bfe_i32 v22, v11, 0, 8
	s_delay_alu instid0(VALU_DEP_1) | instskip(SKIP_2) | instid1(VALU_DEP_2)
	v_cmp_lt_i16_e32 vcc_lo, -1, v22
	v_cndmask_b32_e32 v22, 0xff800000, v109, vcc_lo
	v_cmp_eq_u32_e32 vcc_lo, 0, v23
	v_cndmask_b32_e32 v22, 0x7f800001, v22, vcc_lo
; %bb.5704:                             ;   in Loop: Header=BB4_4405 Depth=2
	s_or_b32 exec_lo, exec_lo, s41
.LBB4_5705:                             ;   in Loop: Header=BB4_4405 Depth=2
	s_delay_alu instid0(SALU_CYCLE_1)
	s_or_b32 exec_lo, exec_lo, s14
.LBB4_5706:                             ;   in Loop: Header=BB4_4405 Depth=2
	s_delay_alu instid0(SALU_CYCLE_1) | instskip(NEXT) | instid1(VALU_DEP_1)
	s_or_b32 exec_lo, exec_lo, s13
	v_dual_max_num_f32 v22, v22, v22 :: v_dual_max_num_f32 v21, v21, v21
	s_mov_b32 s13, 0
	s_delay_alu instid0(VALU_DEP_1)
	v_max_num_f32_e32 v22, v21, v22
.LBB4_5707:                             ;   in Loop: Header=BB4_4405 Depth=2
	s_and_b32 vcc_lo, exec_lo, s13
	s_cbranch_vccz .LBB4_5729
; %bb.5708:                             ;   in Loop: Header=BB4_4405 Depth=2
	v_dual_mov_b32 v22, 0 :: v_dual_mov_b32 v21, 0
	s_and_saveexec_b32 s13, s7
	s_cbranch_execz .LBB4_5718
; %bb.5709:                             ;   in Loop: Header=BB4_4405 Depth=2
	v_bfrev_b32_e32 v21, 1
	s_mov_b32 s7, exec_lo
	v_cmpx_ne_u16_e32 0x80, v20
	s_cbranch_execz .LBB4_5717
; %bb.5710:                             ;   in Loop: Header=BB4_4405 Depth=2
	v_and_b32_e32 v21, 0x7c, v15
	v_and_b32_e32 v20, 3, v15
	s_delay_alu instid0(VALU_DEP_2) | instskip(SKIP_1) | instid1(SALU_CYCLE_1)
	v_cmp_ne_u32_e32 vcc_lo, 0x7c, v21
                                        ; implicit-def: $vgpr21
	s_and_saveexec_b32 s14, vcc_lo
	s_xor_b32 s14, exec_lo, s14
	s_cbranch_execz .LBB4_5714
; %bb.5711:                             ;   in Loop: Header=BB4_4405 Depth=2
	v_bfe_u32 v21, v15, 2, 5
	s_mov_b32 s41, exec_lo
	s_delay_alu instid0(VALU_DEP_1)
	v_cmpx_eq_u32_e32 0, v21
; %bb.5712:                             ;   in Loop: Header=BB4_4405 Depth=2
	v_clz_i32_u32_e32 v20, v20
	s_delay_alu instid0(VALU_DEP_1) | instskip(NEXT) | instid1(VALU_DEP_1)
	v_min_u32_e32 v23, 32, v20
	v_subrev_nc_u32_e32 v20, 29, v23
	s_delay_alu instid0(VALU_DEP_1) | instskip(NEXT) | instid1(VALU_DEP_1)
	v_lshlrev_b64_e32 v[20:21], v20, v[52:53]
	v_dual_sub_nc_u32 v21, 30, v23 :: v_dual_bitop2_b32 v20, 3, v20 bitop3:0x40
; %bb.5713:                             ;   in Loop: Header=BB4_4405 Depth=2
	s_or_b32 exec_lo, exec_lo, s41
	v_lshlrev_b32_e32 v23, 24, v15
	s_delay_alu instid0(VALU_DEP_1) | instskip(NEXT) | instid1(VALU_DEP_1)
	v_and_b32_e32 v23, 0x80000000, v23
	v_lshl_add_u32 v21, v21, 23, v23
	s_delay_alu instid0(VALU_DEP_1) | instskip(NEXT) | instid1(VALU_DEP_1)
	v_lshl_or_b32 v20, v20, 21, v21
	v_add_nc_u32_e32 v21, 0x38000000, v20
                                        ; implicit-def: $vgpr20
.LBB4_5714:                             ;   in Loop: Header=BB4_4405 Depth=2
	s_and_not1_saveexec_b32 s14, s14
; %bb.5715:                             ;   in Loop: Header=BB4_4405 Depth=2
	v_bfe_i32 v21, v15, 0, 8
	s_delay_alu instid0(VALU_DEP_1) | instskip(SKIP_2) | instid1(VALU_DEP_2)
	v_cmp_lt_i16_e32 vcc_lo, -1, v21
	v_cndmask_b32_e32 v21, 0xff800000, v109, vcc_lo
	v_cmp_eq_u32_e32 vcc_lo, 0, v20
	v_cndmask_b32_e32 v21, 0x7f800001, v21, vcc_lo
; %bb.5716:                             ;   in Loop: Header=BB4_4405 Depth=2
	s_or_b32 exec_lo, exec_lo, s14
.LBB4_5717:                             ;   in Loop: Header=BB4_4405 Depth=2
	s_delay_alu instid0(SALU_CYCLE_1)
	s_or_b32 exec_lo, exec_lo, s7
.LBB4_5718:                             ;   in Loop: Header=BB4_4405 Depth=2
	s_delay_alu instid0(SALU_CYCLE_1) | instskip(SKIP_2) | instid1(VALU_DEP_1)
	s_or_b32 exec_lo, exec_lo, s13
	v_and_b32_e32 v20, 0xff, v11
	s_mov_b32 s7, exec_lo
	v_cmpx_ne_u16_e32 0, v20
	s_cbranch_execz .LBB4_5728
; %bb.5719:                             ;   in Loop: Header=BB4_4405 Depth=2
	v_bfrev_b32_e32 v22, 1
	s_mov_b32 s13, exec_lo
	v_cmpx_ne_u16_e32 0x80, v20
	s_cbranch_execz .LBB4_5727
; %bb.5720:                             ;   in Loop: Header=BB4_4405 Depth=2
	v_and_b32_e32 v22, 0x7c, v11
	v_and_b32_e32 v20, 3, v11
	s_delay_alu instid0(VALU_DEP_2) | instskip(SKIP_1) | instid1(SALU_CYCLE_1)
	v_cmp_ne_u32_e32 vcc_lo, 0x7c, v22
                                        ; implicit-def: $vgpr22
	s_and_saveexec_b32 s14, vcc_lo
	s_xor_b32 s14, exec_lo, s14
	s_cbranch_execz .LBB4_5724
; %bb.5721:                             ;   in Loop: Header=BB4_4405 Depth=2
	v_bfe_u32 v22, v11, 2, 5
	s_mov_b32 s41, exec_lo
	s_delay_alu instid0(VALU_DEP_1)
	v_cmpx_eq_u32_e32 0, v22
; %bb.5722:                             ;   in Loop: Header=BB4_4405 Depth=2
	v_clz_i32_u32_e32 v20, v20
	s_delay_alu instid0(VALU_DEP_1) | instskip(NEXT) | instid1(VALU_DEP_1)
	v_min_u32_e32 v20, 32, v20
	v_subrev_nc_u32_e32 v22, 29, v20
	s_delay_alu instid0(VALU_DEP_1) | instskip(NEXT) | instid1(VALU_DEP_1)
	v_lshlrev_b64_e32 v[46:47], v22, v[18:19]
	v_dual_sub_nc_u32 v22, 30, v20 :: v_dual_bitop2_b32 v20, 3, v46 bitop3:0x40
; %bb.5723:                             ;   in Loop: Header=BB4_4405 Depth=2
	s_or_b32 exec_lo, exec_lo, s41
	v_lshlrev_b32_e32 v19, 24, v11
	s_delay_alu instid0(VALU_DEP_1) | instskip(NEXT) | instid1(VALU_DEP_1)
	v_and_b32_e32 v19, 0x80000000, v19
	v_lshl_add_u32 v19, v22, 23, v19
	s_delay_alu instid0(VALU_DEP_1) | instskip(NEXT) | instid1(VALU_DEP_1)
	v_lshl_or_b32 v19, v20, 21, v19
                                        ; implicit-def: $vgpr20
	v_add_nc_u32_e32 v22, 0x38000000, v19
.LBB4_5724:                             ;   in Loop: Header=BB4_4405 Depth=2
	s_and_not1_saveexec_b32 s14, s14
; %bb.5725:                             ;   in Loop: Header=BB4_4405 Depth=2
	v_bfe_i32 v19, v11, 0, 8
	s_delay_alu instid0(VALU_DEP_1) | instskip(SKIP_2) | instid1(VALU_DEP_2)
	v_cmp_lt_i16_e32 vcc_lo, -1, v19
	v_cndmask_b32_e32 v19, 0xff800000, v109, vcc_lo
	v_cmp_eq_u32_e32 vcc_lo, 0, v20
	v_cndmask_b32_e32 v22, 0x7f800001, v19, vcc_lo
; %bb.5726:                             ;   in Loop: Header=BB4_4405 Depth=2
	s_or_b32 exec_lo, exec_lo, s14
.LBB4_5727:                             ;   in Loop: Header=BB4_4405 Depth=2
	s_delay_alu instid0(SALU_CYCLE_1)
	s_or_b32 exec_lo, exec_lo, s13
.LBB4_5728:                             ;   in Loop: Header=BB4_4405 Depth=2
	s_delay_alu instid0(SALU_CYCLE_1) | instskip(NEXT) | instid1(VALU_DEP_1)
	s_or_b32 exec_lo, exec_lo, s7
	v_dual_max_num_f32 v19, v22, v22 :: v_dual_max_num_f32 v20, v21, v21
	s_delay_alu instid0(VALU_DEP_1)
	v_min_num_f32_e32 v22, v20, v19
.LBB4_5729:                             ;   in Loop: Header=BB4_4405 Depth=2
	s_delay_alu instid0(VALU_DEP_1) | instskip(SKIP_3) | instid1(VALU_DEP_3)
	v_and_b32_e32 v46, 0x7f800000, v22
	v_dual_mov_b32 v47, v53 :: v_dual_mov_b32 v21, v53
	v_and_b32_e32 v20, 0x7fffff, v22
	v_lshrrev_b32_e32 v19, 24, v22
	v_cmp_ne_u64_e32 vcc_lo, 0x7f800000, v[46:47]
                                        ; implicit-def: $vgpr46
	s_and_saveexec_b32 s7, vcc_lo
	s_delay_alu instid0(SALU_CYCLE_1)
	s_xor_b32 s13, exec_lo, s7
	s_cbranch_execz .LBB4_5743
; %bb.5730:                             ;   in Loop: Header=BB4_4405 Depth=2
	v_and_b32_e32 v46, 0x7fffffff, v22
	v_mov_b32_e32 v47, v53
	v_and_b32_e32 v19, 0x80, v19
	s_delay_alu instid0(VALU_DEP_2) | instskip(SKIP_1) | instid1(SALU_CYCLE_1)
	v_cmp_gt_u64_e32 vcc_lo, 0x47600001, v[46:47]
                                        ; implicit-def: $vgpr46
	s_and_saveexec_b32 s7, vcc_lo
	s_xor_b32 s14, exec_lo, s7
	s_cbranch_execz .LBB4_5740
; %bb.5731:                             ;   in Loop: Header=BB4_4405 Depth=2
	v_mov_b32_e32 v46, 0
	s_mov_b32 s41, exec_lo
	v_cmpx_ne_u32_e32 0, v22
	s_cbranch_execz .LBB4_5739
; %bb.5732:                             ;   in Loop: Header=BB4_4405 Depth=2
	v_bfe_u32 v46, v22, 23, 8
	v_or_b32_e32 v56, 0x800000, v20
	s_delay_alu instid0(VALU_DEP_2) | instskip(SKIP_1) | instid1(VALU_DEP_2)
	v_sub_nc_u32_e32 v22, 0x71, v46
	v_cmp_gt_u32_e32 vcc_lo, 0x72, v46
	v_cndmask_b32_e32 v22, 0, v22, vcc_lo
	v_cmp_eq_u32_e32 vcc_lo, 0, v46
	s_delay_alu instid0(VALU_DEP_2) | instskip(NEXT) | instid1(VALU_DEP_1)
	v_cndmask_b32_e64 v47, v22, 0x70, vcc_lo
	v_dual_cndmask_b32 v20, v56, v20, vcc_lo :: v_dual_add_nc_u32 v22, 21, v47
	v_add_nc_u32_e32 v57, 20, v47
	s_delay_alu instid0(VALU_DEP_2) | instskip(NEXT) | instid1(VALU_DEP_2)
	v_lshlrev_b64_e64 v[22:23], v22, -1
	v_lshlrev_b64_e64 v[56:57], v57, 1
	s_delay_alu instid0(VALU_DEP_2) | instskip(SKIP_1) | instid1(VALU_DEP_4)
	v_bfi_b32 v22, v22, 0, v20
	v_lshrrev_b64 v[20:21], v47, v[20:21]
	v_bfi_b32 v23, v23, 0, 0
	s_delay_alu instid0(VALU_DEP_1) | instskip(NEXT) | instid1(VALU_DEP_3)
	v_cmp_eq_u64_e64 s7, v[22:23], v[56:57]
	v_mov_b64_e32 v[22:23], v[20:21]
	s_and_saveexec_b32 s42, s7
; %bb.5733:                             ;   in Loop: Header=BB4_4405 Depth=2
	v_bfe_u32 v22, v20, 21, 1
	v_mov_b32_e32 v23, v53
	s_delay_alu instid0(VALU_DEP_1) | instskip(NEXT) | instid1(VALU_DEP_1)
	v_add_nc_u64_e32 v[22:23], v[20:21], v[22:23]
	v_add_nc_u64_e32 v[22:23], -1, v[22:23]
; %bb.5734:                             ;   in Loop: Header=BB4_4405 Depth=2
	s_or_b32 exec_lo, exec_lo, s42
	v_add_nc_u32_e32 v21, 0xffffff81, v46
	v_lshrrev_b32_e32 v23, 23, v20
	s_mov_b32 s7, exec_lo
	s_delay_alu instid0(VALU_DEP_2) | instskip(NEXT) | instid1(VALU_DEP_1)
	v_cndmask_b32_e64 v21, v21, 0xffffff82, vcc_lo
	v_add3_u32 v23, v47, v21, v23
	v_and_b32_e32 v21, 0x1fffff, v22
                                        ; implicit-def: $vgpr22
	s_delay_alu instid0(VALU_DEP_1) | instskip(SKIP_1) | instid1(VALU_DEP_2)
	v_dual_add_nc_u32 v46, 14, v23 :: v_dual_add_nc_u32 v20, v21, v20
	v_mov_b32_e32 v21, v53
	v_cmpx_ne_u32_e32 0, v46
	s_xor_b32 s7, exec_lo, s7
; %bb.5735:                             ;   in Loop: Header=BB4_4405 Depth=2
	s_delay_alu instid0(VALU_DEP_2) | instskip(SKIP_2) | instid1(VALU_DEP_2)
	v_cmp_lt_u64_e32 vcc_lo, 0xffffff, v[20:21]
	v_add_nc_u32_e32 v22, 15, v23
	v_cndmask_b32_e64 v23, 0, 1, vcc_lo
	v_cndmask_b32_e32 v22, v46, v22, vcc_lo
	s_delay_alu instid0(VALU_DEP_2)
	v_lshrrev_b64 v[20:21], v23, v[20:21]
; %bb.5736:                             ;   in Loop: Header=BB4_4405 Depth=2
	s_and_not1_saveexec_b32 s7, s7
; %bb.5737:                             ;   in Loop: Header=BB4_4405 Depth=2
	s_delay_alu instid0(VALU_DEP_1)
	v_bfe_u32 v22, v20, 23, 1
; %bb.5738:                             ;   in Loop: Header=BB4_4405 Depth=2
	s_or_b32 exec_lo, exec_lo, s7
	s_delay_alu instid0(VALU_DEP_2) | instskip(NEXT) | instid1(VALU_DEP_2)
	v_lshrrev_b64 v[20:21], 21, v[20:21]
	v_cmp_gt_i32_e32 vcc_lo, 32, v22
	v_min_i32_e32 v23, 31, v22
	v_cmp_eq_u32_e64 s7, 0, v22
	s_delay_alu instid0(VALU_DEP_2) | instskip(SKIP_1) | instid1(VALU_DEP_2)
	v_dual_cndmask_b32 v21, 0, v21, vcc_lo :: v_dual_lshlrev_b32 v23, 2, v23
	v_cndmask_b32_e32 v20, 3, v20, vcc_lo
	v_and_b32_e32 v23, 0xfc, v23
	s_delay_alu instid0(VALU_DEP_2) | instskip(NEXT) | instid1(VALU_DEP_2)
	v_cmp_eq_u64_e32 vcc_lo, 0, v[20:21]
	v_and_or_b32 v20, v20, 3, v23
	s_and_b32 s7, s7, vcc_lo
	s_delay_alu instid0(VALU_DEP_1) | instid1(SALU_CYCLE_1)
	v_cndmask_b32_e64 v20, v20, 0, s7
	s_delay_alu instid0(VALU_DEP_1)
	v_or_b32_e32 v46, v20, v19
.LBB4_5739:                             ;   in Loop: Header=BB4_4405 Depth=2
	s_or_b32 exec_lo, exec_lo, s41
                                        ; implicit-def: $vgpr19
.LBB4_5740:                             ;   in Loop: Header=BB4_4405 Depth=2
	s_and_not1_saveexec_b32 s7, s14
; %bb.5741:                             ;   in Loop: Header=BB4_4405 Depth=2
	v_or_b32_e32 v46, 0x7b, v19
; %bb.5742:                             ;   in Loop: Header=BB4_4405 Depth=2
	s_or_b32 exec_lo, exec_lo, s7
                                        ; implicit-def: $vgpr22
                                        ; implicit-def: $vgpr20_vgpr21
                                        ; implicit-def: $vgpr19
.LBB4_5743:                             ;   in Loop: Header=BB4_4405 Depth=2
	s_and_not1_saveexec_b32 s7, s13
	s_cbranch_execz .LBB4_5749
; %bb.5744:                             ;   in Loop: Header=BB4_4405 Depth=2
	s_mov_b32 s13, exec_lo
                                        ; implicit-def: $vgpr46
	v_cmpx_ne_u64_e32 0, v[20:21]
	s_xor_b32 s13, exec_lo, s13
; %bb.5745:                             ;   in Loop: Header=BB4_4405 Depth=2
	v_or_b32_e32 v46, 0x7f, v19
                                        ; implicit-def: $vgpr22
; %bb.5746:                             ;   in Loop: Header=BB4_4405 Depth=2
	s_and_not1_saveexec_b32 s13, s13
; %bb.5747:                             ;   in Loop: Header=BB4_4405 Depth=2
	v_cmp_lt_i32_e32 vcc_lo, -1, v22
	v_cndmask_b32_e32 v46, 0xfc, v110, vcc_lo
; %bb.5748:                             ;   in Loop: Header=BB4_4405 Depth=2
	s_or_b32 exec_lo, exec_lo, s13
.LBB4_5749:                             ;   in Loop: Header=BB4_4405 Depth=2
	s_delay_alu instid0(SALU_CYCLE_1) | instskip(SKIP_4) | instid1(VALU_DEP_2)
	s_or_b32 exec_lo, exec_lo, s7
	v_lshrrev_b16 v22, 8, v52
	v_lshrrev_b16 v20, 8, v18
	s_and_not1_b32 vcc_lo, exec_lo, s12
	s_mov_b32 s13, -1
                                        ; implicit-def: $vgpr21
	v_and_b32_e32 v19, 0xffff, v22
	v_cmp_ne_u16_e64 s7, 0, v22
	s_cbranch_vccnz .LBB4_5771
; %bb.5750:                             ;   in Loop: Header=BB4_4405 Depth=2
	v_dual_mov_b32 v21, 0 :: v_dual_mov_b32 v23, 0
	s_and_saveexec_b32 s13, s7
	s_cbranch_execz .LBB4_5760
; %bb.5751:                             ;   in Loop: Header=BB4_4405 Depth=2
	v_bfrev_b32_e32 v23, 1
	s_mov_b32 s14, exec_lo
	v_cmpx_ne_u16_e32 0x80, v22
	s_cbranch_execz .LBB4_5759
; %bb.5752:                             ;   in Loop: Header=BB4_4405 Depth=2
	v_and_b32_e32 v23, 0x7c, v19
	v_and_b32_e32 v47, 3, v19
	s_delay_alu instid0(VALU_DEP_2) | instskip(SKIP_1) | instid1(SALU_CYCLE_1)
	v_cmp_ne_u32_e32 vcc_lo, 0x7c, v23
                                        ; implicit-def: $vgpr23
	s_and_saveexec_b32 s41, vcc_lo
	s_xor_b32 s41, exec_lo, s41
	s_cbranch_execz .LBB4_5756
; %bb.5753:                             ;   in Loop: Header=BB4_4405 Depth=2
	v_bfe_u32 v23, v19, 2, 5
	s_mov_b32 s42, exec_lo
	s_delay_alu instid0(VALU_DEP_1)
	v_cmpx_eq_u32_e32 0, v23
; %bb.5754:                             ;   in Loop: Header=BB4_4405 Depth=2
	v_clz_i32_u32_e32 v23, v47
	s_delay_alu instid0(VALU_DEP_1) | instskip(SKIP_1) | instid1(VALU_DEP_2)
	v_min_u32_e32 v47, 32, v23
	v_mov_b32_e32 v23, v53
	v_subrev_nc_u32_e32 v56, 29, v47
	s_delay_alu instid0(VALU_DEP_1) | instskip(NEXT) | instid1(VALU_DEP_1)
	v_lshlrev_b64_e32 v[56:57], v56, v[22:23]
	v_dual_sub_nc_u32 v23, 30, v47 :: v_dual_bitop2_b32 v47, 3, v56 bitop3:0x40
; %bb.5755:                             ;   in Loop: Header=BB4_4405 Depth=2
	s_or_b32 exec_lo, exec_lo, s42
	v_lshlrev_b32_e32 v56, 16, v52
	s_delay_alu instid0(VALU_DEP_1) | instskip(NEXT) | instid1(VALU_DEP_1)
	v_and_b32_e32 v56, 0x80000000, v56
	v_lshl_add_u32 v23, v23, 23, v56
	s_delay_alu instid0(VALU_DEP_1) | instskip(NEXT) | instid1(VALU_DEP_1)
	v_lshl_or_b32 v23, v47, 21, v23
                                        ; implicit-def: $vgpr47
	v_add_nc_u32_e32 v23, 0x38000000, v23
.LBB4_5756:                             ;   in Loop: Header=BB4_4405 Depth=2
	s_and_not1_saveexec_b32 s41, s41
; %bb.5757:                             ;   in Loop: Header=BB4_4405 Depth=2
	v_cmp_lt_i16_e32 vcc_lo, -1, v52
	v_cndmask_b32_e32 v23, 0xff800000, v109, vcc_lo
	v_cmp_eq_u32_e32 vcc_lo, 0, v47
	s_delay_alu instid0(VALU_DEP_2)
	v_cndmask_b32_e32 v23, 0x7f800001, v23, vcc_lo
; %bb.5758:                             ;   in Loop: Header=BB4_4405 Depth=2
	s_or_b32 exec_lo, exec_lo, s41
.LBB4_5759:                             ;   in Loop: Header=BB4_4405 Depth=2
	s_delay_alu instid0(SALU_CYCLE_1)
	s_or_b32 exec_lo, exec_lo, s14
.LBB4_5760:                             ;   in Loop: Header=BB4_4405 Depth=2
	s_delay_alu instid0(SALU_CYCLE_1) | instskip(NEXT) | instid1(SALU_CYCLE_1)
	s_or_b32 exec_lo, exec_lo, s13
	s_mov_b32 s13, exec_lo
	v_cmpx_ne_u16_e32 0, v20
	s_cbranch_execz .LBB4_5770
; %bb.5761:                             ;   in Loop: Header=BB4_4405 Depth=2
	v_bfrev_b32_e32 v21, 1
	s_mov_b32 s14, exec_lo
	v_cmpx_ne_u16_e32 0x80, v20
	s_cbranch_execz .LBB4_5769
; %bb.5762:                             ;   in Loop: Header=BB4_4405 Depth=2
	v_and_b32_e32 v56, 0xffff, v20
	s_delay_alu instid0(VALU_DEP_1) | instskip(SKIP_1) | instid1(VALU_DEP_2)
	v_and_b32_e32 v21, 0x7c, v56
	v_and_b32_e32 v47, 3, v56
	v_cmp_ne_u32_e32 vcc_lo, 0x7c, v21
                                        ; implicit-def: $vgpr21
	s_and_saveexec_b32 s41, vcc_lo
	s_delay_alu instid0(SALU_CYCLE_1)
	s_xor_b32 s41, exec_lo, s41
	s_cbranch_execz .LBB4_5766
; %bb.5763:                             ;   in Loop: Header=BB4_4405 Depth=2
	v_bfe_u32 v21, v56, 2, 5
	s_mov_b32 s42, exec_lo
	s_delay_alu instid0(VALU_DEP_1)
	v_cmpx_eq_u32_e32 0, v21
; %bb.5764:                             ;   in Loop: Header=BB4_4405 Depth=2
	v_clz_i32_u32_e32 v21, v47
	s_delay_alu instid0(VALU_DEP_1) | instskip(SKIP_1) | instid1(VALU_DEP_2)
	v_min_u32_e32 v47, 32, v21
	v_mov_b32_e32 v21, v53
	v_subrev_nc_u32_e32 v56, 29, v47
	s_delay_alu instid0(VALU_DEP_1) | instskip(NEXT) | instid1(VALU_DEP_1)
	v_lshlrev_b64_e32 v[56:57], v56, v[20:21]
	v_dual_sub_nc_u32 v21, 30, v47 :: v_dual_bitop2_b32 v47, 3, v56 bitop3:0x40
; %bb.5765:                             ;   in Loop: Header=BB4_4405 Depth=2
	s_or_b32 exec_lo, exec_lo, s42
	v_lshlrev_b32_e32 v56, 16, v18
	s_delay_alu instid0(VALU_DEP_1) | instskip(NEXT) | instid1(VALU_DEP_1)
	v_and_b32_e32 v56, 0x80000000, v56
	v_lshl_add_u32 v21, v21, 23, v56
	s_delay_alu instid0(VALU_DEP_1) | instskip(NEXT) | instid1(VALU_DEP_1)
	v_lshl_or_b32 v21, v47, 21, v21
                                        ; implicit-def: $vgpr47
	v_add_nc_u32_e32 v21, 0x38000000, v21
.LBB4_5766:                             ;   in Loop: Header=BB4_4405 Depth=2
	s_and_not1_saveexec_b32 s41, s41
; %bb.5767:                             ;   in Loop: Header=BB4_4405 Depth=2
	v_cmp_lt_i16_e32 vcc_lo, -1, v18
	v_cndmask_b32_e32 v21, 0xff800000, v109, vcc_lo
	v_cmp_eq_u32_e32 vcc_lo, 0, v47
	s_delay_alu instid0(VALU_DEP_2)
	v_cndmask_b32_e32 v21, 0x7f800001, v21, vcc_lo
; %bb.5768:                             ;   in Loop: Header=BB4_4405 Depth=2
	s_or_b32 exec_lo, exec_lo, s41
.LBB4_5769:                             ;   in Loop: Header=BB4_4405 Depth=2
	s_delay_alu instid0(SALU_CYCLE_1)
	s_or_b32 exec_lo, exec_lo, s14
.LBB4_5770:                             ;   in Loop: Header=BB4_4405 Depth=2
	s_delay_alu instid0(SALU_CYCLE_1) | instskip(NEXT) | instid1(VALU_DEP_1)
	s_or_b32 exec_lo, exec_lo, s13
	v_dual_max_num_f32 v21, v21, v21 :: v_dual_max_num_f32 v23, v23, v23
	s_mov_b32 s13, 0
	s_delay_alu instid0(VALU_DEP_1)
	v_max_num_f32_e32 v21, v23, v21
.LBB4_5771:                             ;   in Loop: Header=BB4_4405 Depth=2
	s_and_b32 vcc_lo, exec_lo, s13
	s_cbranch_vccz .LBB4_5793
; %bb.5772:                             ;   in Loop: Header=BB4_4405 Depth=2
	v_dual_mov_b32 v21, 0 :: v_dual_mov_b32 v23, 0
	s_and_saveexec_b32 s13, s7
	s_cbranch_execz .LBB4_5782
; %bb.5773:                             ;   in Loop: Header=BB4_4405 Depth=2
	v_bfrev_b32_e32 v23, 1
	s_mov_b32 s7, exec_lo
	v_cmpx_ne_u16_e32 0x80, v22
	s_cbranch_execz .LBB4_5781
; %bb.5774:                             ;   in Loop: Header=BB4_4405 Depth=2
	v_and_b32_e32 v23, 0x7c, v19
	v_and_b32_e32 v47, 3, v19
	s_delay_alu instid0(VALU_DEP_2) | instskip(SKIP_1) | instid1(SALU_CYCLE_1)
	v_cmp_ne_u32_e32 vcc_lo, 0x7c, v23
                                        ; implicit-def: $vgpr23
	s_and_saveexec_b32 s14, vcc_lo
	s_xor_b32 s14, exec_lo, s14
	s_cbranch_execz .LBB4_5778
; %bb.5775:                             ;   in Loop: Header=BB4_4405 Depth=2
	v_bfe_u32 v19, v19, 2, 5
	s_mov_b32 s41, exec_lo
	s_delay_alu instid0(VALU_DEP_1)
	v_cmpx_eq_u32_e32 0, v19
	s_cbranch_execz .LBB4_5777
; %bb.5776:                             ;   in Loop: Header=BB4_4405 Depth=2
	v_clz_i32_u32_e32 v19, v47
	s_delay_alu instid0(VALU_DEP_1) | instskip(SKIP_1) | instid1(VALU_DEP_2)
	v_min_u32_e32 v19, 32, v19
	v_mov_b32_e32 v23, v53
	v_subrev_nc_u32_e32 v47, 29, v19
	v_sub_nc_u32_e32 v19, 30, v19
	s_delay_alu instid0(VALU_DEP_2) | instskip(NEXT) | instid1(VALU_DEP_1)
	v_lshlrev_b64_e32 v[22:23], v47, v[22:23]
	v_and_b32_e32 v47, 3, v22
.LBB4_5777:                             ;   in Loop: Header=BB4_4405 Depth=2
	s_or_b32 exec_lo, exec_lo, s41
	v_lshlrev_b32_e32 v22, 16, v52
	s_delay_alu instid0(VALU_DEP_1) | instskip(NEXT) | instid1(VALU_DEP_1)
	v_and_b32_e32 v22, 0x80000000, v22
	v_lshl_add_u32 v19, v19, 23, v22
	s_delay_alu instid0(VALU_DEP_1) | instskip(NEXT) | instid1(VALU_DEP_1)
	v_lshl_or_b32 v19, v47, 21, v19
                                        ; implicit-def: $vgpr47
	v_add_nc_u32_e32 v23, 0x38000000, v19
.LBB4_5778:                             ;   in Loop: Header=BB4_4405 Depth=2
	s_and_not1_saveexec_b32 s14, s14
; %bb.5779:                             ;   in Loop: Header=BB4_4405 Depth=2
	v_cmp_lt_i16_e32 vcc_lo, -1, v52
	v_cndmask_b32_e32 v19, 0xff800000, v109, vcc_lo
	v_cmp_eq_u32_e32 vcc_lo, 0, v47
	s_delay_alu instid0(VALU_DEP_2)
	v_cndmask_b32_e32 v23, 0x7f800001, v19, vcc_lo
; %bb.5780:                             ;   in Loop: Header=BB4_4405 Depth=2
	s_or_b32 exec_lo, exec_lo, s14
.LBB4_5781:                             ;   in Loop: Header=BB4_4405 Depth=2
	s_delay_alu instid0(SALU_CYCLE_1)
	s_or_b32 exec_lo, exec_lo, s7
.LBB4_5782:                             ;   in Loop: Header=BB4_4405 Depth=2
	s_delay_alu instid0(SALU_CYCLE_1) | instskip(NEXT) | instid1(SALU_CYCLE_1)
	s_or_b32 exec_lo, exec_lo, s13
	s_mov_b32 s7, exec_lo
	v_cmpx_ne_u16_e32 0, v20
	s_cbranch_execz .LBB4_5792
; %bb.5783:                             ;   in Loop: Header=BB4_4405 Depth=2
	v_bfrev_b32_e32 v21, 1
	s_mov_b32 s13, exec_lo
	v_cmpx_ne_u16_e32 0x80, v20
	s_cbranch_execz .LBB4_5791
; %bb.5784:                             ;   in Loop: Header=BB4_4405 Depth=2
	v_and_b32_e32 v19, 0xffff, v20
	s_delay_alu instid0(VALU_DEP_1) | instskip(SKIP_1) | instid1(VALU_DEP_2)
	v_and_b32_e32 v21, 0x7c, v19
	v_and_b32_e32 v22, 3, v19
	v_cmp_ne_u32_e32 vcc_lo, 0x7c, v21
                                        ; implicit-def: $vgpr21
	s_and_saveexec_b32 s14, vcc_lo
	s_delay_alu instid0(SALU_CYCLE_1)
	s_xor_b32 s14, exec_lo, s14
	s_cbranch_execz .LBB4_5788
; %bb.5785:                             ;   in Loop: Header=BB4_4405 Depth=2
	v_bfe_u32 v19, v19, 2, 5
	s_mov_b32 s41, exec_lo
	s_delay_alu instid0(VALU_DEP_1)
	v_cmpx_eq_u32_e32 0, v19
	s_cbranch_execz .LBB4_5787
; %bb.5786:                             ;   in Loop: Header=BB4_4405 Depth=2
	v_clz_i32_u32_e32 v19, v22
	s_delay_alu instid0(VALU_DEP_1) | instskip(SKIP_1) | instid1(VALU_DEP_2)
	v_min_u32_e32 v19, 32, v19
	v_mov_b32_e32 v21, v53
	v_subrev_nc_u32_e32 v22, 29, v19
	v_sub_nc_u32_e32 v19, 30, v19
	s_delay_alu instid0(VALU_DEP_2) | instskip(NEXT) | instid1(VALU_DEP_1)
	v_lshlrev_b64_e32 v[20:21], v22, v[20:21]
	v_and_b32_e32 v22, 3, v20
.LBB4_5787:                             ;   in Loop: Header=BB4_4405 Depth=2
	s_or_b32 exec_lo, exec_lo, s41
	v_lshlrev_b32_e32 v18, 16, v18
	s_delay_alu instid0(VALU_DEP_1) | instskip(NEXT) | instid1(VALU_DEP_1)
	v_and_b32_e32 v18, 0x80000000, v18
	v_lshl_add_u32 v18, v19, 23, v18
	s_delay_alu instid0(VALU_DEP_1) | instskip(NEXT) | instid1(VALU_DEP_1)
	v_lshl_or_b32 v18, v22, 21, v18
                                        ; implicit-def: $vgpr22
	v_add_nc_u32_e32 v21, 0x38000000, v18
                                        ; implicit-def: $vgpr18_vgpr19
.LBB4_5788:                             ;   in Loop: Header=BB4_4405 Depth=2
	s_and_not1_saveexec_b32 s14, s14
; %bb.5789:                             ;   in Loop: Header=BB4_4405 Depth=2
	v_cmp_lt_i16_e32 vcc_lo, -1, v18
	v_cndmask_b32_e32 v18, 0xff800000, v109, vcc_lo
	v_cmp_eq_u32_e32 vcc_lo, 0, v22
	s_delay_alu instid0(VALU_DEP_2)
	v_cndmask_b32_e32 v21, 0x7f800001, v18, vcc_lo
; %bb.5790:                             ;   in Loop: Header=BB4_4405 Depth=2
	s_or_b32 exec_lo, exec_lo, s14
.LBB4_5791:                             ;   in Loop: Header=BB4_4405 Depth=2
	s_delay_alu instid0(SALU_CYCLE_1)
	s_or_b32 exec_lo, exec_lo, s13
.LBB4_5792:                             ;   in Loop: Header=BB4_4405 Depth=2
	s_delay_alu instid0(SALU_CYCLE_1) | instskip(NEXT) | instid1(VALU_DEP_1)
	s_or_b32 exec_lo, exec_lo, s7
	v_dual_max_num_f32 v18, v21, v21 :: v_dual_max_num_f32 v19, v23, v23
	s_delay_alu instid0(VALU_DEP_1)
	v_min_num_f32_e32 v21, v19, v18
.LBB4_5793:                             ;   in Loop: Header=BB4_4405 Depth=2
	s_delay_alu instid0(VALU_DEP_1) | instskip(SKIP_2) | instid1(VALU_DEP_2)
	v_and_b32_e32 v18, 0x7f800000, v21
	v_mov_b32_e32 v19, v53
	v_and_b32_e32 v52, 0x7fffff, v21
                                        ; implicit-def: $vgpr22
	v_cmp_ne_u64_e32 vcc_lo, 0x7f800000, v[18:19]
	v_lshrrev_b32_e32 v18, 24, v21
	s_and_saveexec_b32 s7, vcc_lo
	s_delay_alu instid0(SALU_CYCLE_1)
	s_xor_b32 s13, exec_lo, s7
	s_cbranch_execz .LBB4_5807
; %bb.5794:                             ;   in Loop: Header=BB4_4405 Depth=2
	v_and_b32_e32 v22, 0x7fffffff, v21
	v_mov_b32_e32 v23, v53
	s_delay_alu instid0(VALU_DEP_1) | instskip(SKIP_2) | instid1(SALU_CYCLE_1)
	v_cmp_gt_u64_e32 vcc_lo, 0x47600001, v[22:23]
	v_and_b32_e32 v23, 0x80, v18
                                        ; implicit-def: $vgpr22
	s_and_saveexec_b32 s7, vcc_lo
	s_xor_b32 s14, exec_lo, s7
	s_cbranch_execz .LBB4_5804
; %bb.5795:                             ;   in Loop: Header=BB4_4405 Depth=2
	v_mov_b32_e32 v22, 0
	s_mov_b32 s41, exec_lo
	v_cmpx_ne_u32_e32 0, v21
	s_cbranch_execz .LBB4_5803
; %bb.5796:                             ;   in Loop: Header=BB4_4405 Depth=2
	v_bfe_u32 v22, v21, 23, 8
	v_or_b32_e32 v20, 0x800000, v52
	s_delay_alu instid0(VALU_DEP_2) | instskip(SKIP_1) | instid1(VALU_DEP_2)
	v_sub_nc_u32_e32 v18, 0x71, v22
	v_cmp_gt_u32_e32 vcc_lo, 0x72, v22
	v_cndmask_b32_e32 v18, 0, v18, vcc_lo
	v_cmp_eq_u32_e32 vcc_lo, 0, v22
	s_delay_alu instid0(VALU_DEP_2) | instskip(NEXT) | instid1(VALU_DEP_1)
	v_cndmask_b32_e64 v47, v18, 0x70, vcc_lo
	v_dual_cndmask_b32 v52, v20, v52, vcc_lo :: v_dual_add_nc_u32 v18, 21, v47
	v_add_nc_u32_e32 v21, 20, v47
	s_delay_alu instid0(VALU_DEP_2) | instskip(NEXT) | instid1(VALU_DEP_2)
	v_lshlrev_b64_e64 v[18:19], v18, -1
	v_lshlrev_b64_e64 v[20:21], v21, 1
	s_delay_alu instid0(VALU_DEP_2) | instskip(NEXT) | instid1(VALU_DEP_3)
	v_bfi_b32 v57, v19, 0, 0
	v_bfi_b32 v56, v18, 0, v52
	v_lshrrev_b64 v[18:19], v47, v[52:53]
	s_delay_alu instid0(VALU_DEP_2) | instskip(NEXT) | instid1(VALU_DEP_2)
	v_cmp_eq_u64_e64 s7, v[56:57], v[20:21]
	v_mov_b64_e32 v[20:21], v[18:19]
	s_and_saveexec_b32 s42, s7
; %bb.5797:                             ;   in Loop: Header=BB4_4405 Depth=2
	v_bfe_u32 v52, v18, 21, 1
	s_delay_alu instid0(VALU_DEP_1) | instskip(NEXT) | instid1(VALU_DEP_1)
	v_add_nc_u64_e32 v[20:21], v[18:19], v[52:53]
	v_add_nc_u64_e32 v[20:21], -1, v[20:21]
; %bb.5798:                             ;   in Loop: Header=BB4_4405 Depth=2
	s_or_b32 exec_lo, exec_lo, s42
	v_add_nc_u32_e32 v19, 0xffffff81, v22
	v_lshrrev_b32_e32 v21, 23, v18
	s_mov_b32 s7, exec_lo
	s_delay_alu instid0(VALU_DEP_2) | instskip(NEXT) | instid1(VALU_DEP_1)
	v_cndmask_b32_e64 v19, v19, 0xffffff82, vcc_lo
	v_add3_u32 v21, v47, v19, v21
	v_and_b32_e32 v19, 0x1fffff, v20
                                        ; implicit-def: $vgpr20
	s_delay_alu instid0(VALU_DEP_1) | instskip(NEXT) | instid1(VALU_DEP_1)
	v_dual_add_nc_u32 v22, 14, v21 :: v_dual_add_nc_u32 v52, v19, v18
                                        ; implicit-def: $vgpr18_vgpr19
	v_cmpx_ne_u32_e32 0, v22
	s_xor_b32 s7, exec_lo, s7
; %bb.5799:                             ;   in Loop: Header=BB4_4405 Depth=2
	s_delay_alu instid0(VALU_DEP_2) | instskip(SKIP_1) | instid1(VALU_DEP_1)
	v_cmp_lt_u64_e32 vcc_lo, 0xffffff, v[52:53]
	v_add_nc_u32_e32 v18, 15, v21
	v_cndmask_b32_e32 v20, v22, v18, vcc_lo
	v_cndmask_b32_e64 v18, 0, 1, vcc_lo
	s_delay_alu instid0(VALU_DEP_1)
	v_lshrrev_b64 v[18:19], v18, v[52:53]
; %bb.5800:                             ;   in Loop: Header=BB4_4405 Depth=2
	s_and_not1_saveexec_b32 s7, s7
; %bb.5801:                             ;   in Loop: Header=BB4_4405 Depth=2
	v_mov_b64_e32 v[18:19], v[52:53]
	v_bfe_u32 v20, v52, 23, 1
; %bb.5802:                             ;   in Loop: Header=BB4_4405 Depth=2
	s_or_b32 exec_lo, exec_lo, s7
	s_delay_alu instid0(VALU_DEP_2) | instskip(NEXT) | instid1(VALU_DEP_2)
	v_lshrrev_b64 v[18:19], 21, v[18:19]
	v_cmp_gt_i32_e32 vcc_lo, 32, v20
	v_min_i32_e32 v21, 31, v20
	v_cmp_eq_u32_e64 s7, 0, v20
	s_delay_alu instid0(VALU_DEP_2) | instskip(SKIP_1) | instid1(VALU_DEP_2)
	v_dual_cndmask_b32 v19, 0, v19, vcc_lo :: v_dual_lshlrev_b32 v21, 2, v21
	v_cndmask_b32_e32 v18, 3, v18, vcc_lo
	v_and_b32_e32 v21, 0xfc, v21
	s_delay_alu instid0(VALU_DEP_2) | instskip(NEXT) | instid1(VALU_DEP_2)
	v_cmp_eq_u64_e32 vcc_lo, 0, v[18:19]
	v_and_or_b32 v18, v18, 3, v21
	s_and_b32 s7, s7, vcc_lo
	s_delay_alu instid0(VALU_DEP_1) | instid1(SALU_CYCLE_1)
	v_cndmask_b32_e64 v18, v18, 0, s7
	s_delay_alu instid0(VALU_DEP_1)
	v_or_b32_e32 v22, v18, v23
.LBB4_5803:                             ;   in Loop: Header=BB4_4405 Depth=2
	s_or_b32 exec_lo, exec_lo, s41
                                        ; implicit-def: $vgpr23
.LBB4_5804:                             ;   in Loop: Header=BB4_4405 Depth=2
	s_and_not1_saveexec_b32 s7, s14
; %bb.5805:                             ;   in Loop: Header=BB4_4405 Depth=2
	v_or_b32_e32 v22, 0x7b, v23
; %bb.5806:                             ;   in Loop: Header=BB4_4405 Depth=2
	s_or_b32 exec_lo, exec_lo, s7
                                        ; implicit-def: $vgpr21
                                        ; implicit-def: $vgpr18
.LBB4_5807:                             ;   in Loop: Header=BB4_4405 Depth=2
	s_and_not1_saveexec_b32 s7, s13
	s_cbranch_execz .LBB4_5813
; %bb.5808:                             ;   in Loop: Header=BB4_4405 Depth=2
	s_mov_b32 s13, exec_lo
                                        ; implicit-def: $vgpr22
	v_cmpx_ne_u64_e32 0, v[52:53]
	s_xor_b32 s13, exec_lo, s13
; %bb.5809:                             ;   in Loop: Header=BB4_4405 Depth=2
	v_or_b32_e32 v22, 0x7f, v18
                                        ; implicit-def: $vgpr21
; %bb.5810:                             ;   in Loop: Header=BB4_4405 Depth=2
	s_and_not1_saveexec_b32 s13, s13
; %bb.5811:                             ;   in Loop: Header=BB4_4405 Depth=2
	v_cmp_lt_i32_e32 vcc_lo, -1, v21
	v_cndmask_b32_e32 v22, 0xfc, v110, vcc_lo
; %bb.5812:                             ;   in Loop: Header=BB4_4405 Depth=2
	s_or_b32 exec_lo, exec_lo, s13
.LBB4_5813:                             ;   in Loop: Header=BB4_4405 Depth=2
	s_delay_alu instid0(SALU_CYCLE_1) | instskip(SKIP_4) | instid1(VALU_DEP_2)
	s_or_b32 exec_lo, exec_lo, s7
	v_lshrrev_b32_e32 v20, 16, v15
	v_lshrrev_b32_e32 v18, 16, v11
	s_and_not1_b32 vcc_lo, exec_lo, s12
	s_mov_b32 s13, -1
                                        ; implicit-def: $vgpr47
	v_and_b32_e32 v19, 0xff, v20
	s_delay_alu instid0(VALU_DEP_1)
	v_cmp_ne_u16_e64 s7, 0, v19
	s_cbranch_vccnz .LBB4_5835
; %bb.5814:                             ;   in Loop: Header=BB4_4405 Depth=2
	v_dual_mov_b32 v23, 0 :: v_dual_mov_b32 v21, 0
	s_and_saveexec_b32 s13, s7
	s_cbranch_execz .LBB4_5824
; %bb.5815:                             ;   in Loop: Header=BB4_4405 Depth=2
	v_bfrev_b32_e32 v21, 1
	s_mov_b32 s14, exec_lo
	v_cmpx_ne_u16_e32 0x80, v19
	s_cbranch_execz .LBB4_5823
; %bb.5816:                             ;   in Loop: Header=BB4_4405 Depth=2
	v_and_b32_e32 v21, 0x7c0000, v15
	v_bfe_u32 v52, v15, 16, 2
	s_delay_alu instid0(VALU_DEP_2) | instskip(SKIP_1) | instid1(SALU_CYCLE_1)
	v_cmp_ne_u32_e32 vcc_lo, 0x7c0000, v21
                                        ; implicit-def: $vgpr21
	s_and_saveexec_b32 s41, vcc_lo
	s_xor_b32 s41, exec_lo, s41
	s_cbranch_execz .LBB4_5820
; %bb.5817:                             ;   in Loop: Header=BB4_4405 Depth=2
	v_bfe_u32 v21, v15, 18, 5
	s_mov_b32 s42, exec_lo
	s_delay_alu instid0(VALU_DEP_1)
	v_cmpx_eq_u32_e32 0, v21
; %bb.5818:                             ;   in Loop: Header=BB4_4405 Depth=2
	v_clz_i32_u32_e32 v21, v52
	s_delay_alu instid0(VALU_DEP_1) | instskip(NEXT) | instid1(VALU_DEP_1)
	v_min_u32_e32 v21, 32, v21
	v_subrev_nc_u32_e32 v52, 29, v21
	s_delay_alu instid0(VALU_DEP_1) | instskip(NEXT) | instid1(VALU_DEP_1)
	v_lshlrev_b64_e32 v[56:57], v52, v[20:21]
	v_dual_sub_nc_u32 v21, 30, v21 :: v_dual_bitop2_b32 v52, 3, v56 bitop3:0x40
; %bb.5819:                             ;   in Loop: Header=BB4_4405 Depth=2
	s_or_b32 exec_lo, exec_lo, s42
	v_lshlrev_b32_e32 v47, 24, v20
	s_delay_alu instid0(VALU_DEP_1) | instskip(NEXT) | instid1(VALU_DEP_1)
	v_and_b32_e32 v47, 0x80000000, v47
	v_lshl_add_u32 v21, v21, 23, v47
	s_delay_alu instid0(VALU_DEP_1) | instskip(NEXT) | instid1(VALU_DEP_1)
	v_lshl_or_b32 v21, v52, 21, v21
                                        ; implicit-def: $vgpr52
	v_add_nc_u32_e32 v21, 0x38000000, v21
.LBB4_5820:                             ;   in Loop: Header=BB4_4405 Depth=2
	s_and_not1_saveexec_b32 s41, s41
; %bb.5821:                             ;   in Loop: Header=BB4_4405 Depth=2
	v_bfe_i32 v21, v20, 0, 8
	s_delay_alu instid0(VALU_DEP_1) | instskip(SKIP_2) | instid1(VALU_DEP_2)
	v_cmp_lt_i16_e32 vcc_lo, -1, v21
	v_cndmask_b32_e32 v21, 0xff800000, v109, vcc_lo
	v_cmp_eq_u32_e32 vcc_lo, 0, v52
	v_cndmask_b32_e32 v21, 0x7f800001, v21, vcc_lo
; %bb.5822:                             ;   in Loop: Header=BB4_4405 Depth=2
	s_or_b32 exec_lo, exec_lo, s41
.LBB4_5823:                             ;   in Loop: Header=BB4_4405 Depth=2
	s_delay_alu instid0(SALU_CYCLE_1)
	s_or_b32 exec_lo, exec_lo, s14
.LBB4_5824:                             ;   in Loop: Header=BB4_4405 Depth=2
	s_delay_alu instid0(SALU_CYCLE_1) | instskip(SKIP_2) | instid1(VALU_DEP_1)
	s_or_b32 exec_lo, exec_lo, s13
	v_and_b32_e32 v52, 0xff, v18
	s_mov_b32 s13, exec_lo
	v_cmpx_ne_u16_e32 0, v52
	s_cbranch_execz .LBB4_5834
; %bb.5825:                             ;   in Loop: Header=BB4_4405 Depth=2
	v_bfrev_b32_e32 v23, 1
	s_mov_b32 s14, exec_lo
	v_cmpx_ne_u16_e32 0x80, v52
	s_cbranch_execz .LBB4_5833
; %bb.5826:                             ;   in Loop: Header=BB4_4405 Depth=2
	v_and_b32_e32 v23, 0x7c0000, v11
	v_bfe_u32 v52, v11, 16, 2
	s_delay_alu instid0(VALU_DEP_2) | instskip(SKIP_1) | instid1(SALU_CYCLE_1)
	v_cmp_ne_u32_e32 vcc_lo, 0x7c0000, v23
                                        ; implicit-def: $vgpr23
	s_and_saveexec_b32 s41, vcc_lo
	s_xor_b32 s41, exec_lo, s41
	s_cbranch_execz .LBB4_5830
; %bb.5827:                             ;   in Loop: Header=BB4_4405 Depth=2
	v_bfe_u32 v23, v11, 18, 5
	s_mov_b32 s42, exec_lo
	s_delay_alu instid0(VALU_DEP_1)
	v_cmpx_eq_u32_e32 0, v23
; %bb.5828:                             ;   in Loop: Header=BB4_4405 Depth=2
	v_clz_i32_u32_e32 v23, v52
	s_delay_alu instid0(VALU_DEP_1) | instskip(NEXT) | instid1(VALU_DEP_1)
	v_min_u32_e32 v23, 32, v23
	v_subrev_nc_u32_e32 v52, 29, v23
	s_delay_alu instid0(VALU_DEP_1) | instskip(NEXT) | instid1(VALU_DEP_1)
	v_lshlrev_b64_e32 v[56:57], v52, v[18:19]
	v_dual_sub_nc_u32 v23, 30, v23 :: v_dual_bitop2_b32 v52, 3, v56 bitop3:0x40
; %bb.5829:                             ;   in Loop: Header=BB4_4405 Depth=2
	s_or_b32 exec_lo, exec_lo, s42
	v_lshlrev_b32_e32 v47, 24, v18
	s_delay_alu instid0(VALU_DEP_1) | instskip(NEXT) | instid1(VALU_DEP_1)
	v_and_b32_e32 v47, 0x80000000, v47
	v_lshl_add_u32 v23, v23, 23, v47
	s_delay_alu instid0(VALU_DEP_1) | instskip(NEXT) | instid1(VALU_DEP_1)
	v_lshl_or_b32 v23, v52, 21, v23
                                        ; implicit-def: $vgpr52
	v_add_nc_u32_e32 v23, 0x38000000, v23
.LBB4_5830:                             ;   in Loop: Header=BB4_4405 Depth=2
	s_and_not1_saveexec_b32 s41, s41
; %bb.5831:                             ;   in Loop: Header=BB4_4405 Depth=2
	v_bfe_i32 v23, v18, 0, 8
	s_delay_alu instid0(VALU_DEP_1) | instskip(SKIP_2) | instid1(VALU_DEP_2)
	v_cmp_lt_i16_e32 vcc_lo, -1, v23
	v_cndmask_b32_e32 v23, 0xff800000, v109, vcc_lo
	v_cmp_eq_u32_e32 vcc_lo, 0, v52
	v_cndmask_b32_e32 v23, 0x7f800001, v23, vcc_lo
; %bb.5832:                             ;   in Loop: Header=BB4_4405 Depth=2
	s_or_b32 exec_lo, exec_lo, s41
.LBB4_5833:                             ;   in Loop: Header=BB4_4405 Depth=2
	s_delay_alu instid0(SALU_CYCLE_1)
	s_or_b32 exec_lo, exec_lo, s14
.LBB4_5834:                             ;   in Loop: Header=BB4_4405 Depth=2
	s_delay_alu instid0(SALU_CYCLE_1) | instskip(NEXT) | instid1(VALU_DEP_1)
	s_or_b32 exec_lo, exec_lo, s13
	v_dual_max_num_f32 v23, v23, v23 :: v_dual_max_num_f32 v21, v21, v21
	s_mov_b32 s13, 0
	s_delay_alu instid0(VALU_DEP_1)
	v_max_num_f32_e32 v47, v21, v23
.LBB4_5835:                             ;   in Loop: Header=BB4_4405 Depth=2
	s_and_b32 vcc_lo, exec_lo, s13
	s_cbranch_vccz .LBB4_5857
; %bb.5836:                             ;   in Loop: Header=BB4_4405 Depth=2
	v_dual_mov_b32 v23, 0 :: v_dual_mov_b32 v21, 0
	s_and_saveexec_b32 s13, s7
	s_cbranch_execz .LBB4_5846
; %bb.5837:                             ;   in Loop: Header=BB4_4405 Depth=2
	v_bfrev_b32_e32 v21, 1
	s_mov_b32 s7, exec_lo
	v_cmpx_ne_u16_e32 0x80, v19
	s_cbranch_execz .LBB4_5845
; %bb.5838:                             ;   in Loop: Header=BB4_4405 Depth=2
	v_and_b32_e32 v21, 0x7c0000, v15
	v_bfe_u32 v19, v15, 16, 2
	s_delay_alu instid0(VALU_DEP_2) | instskip(SKIP_1) | instid1(SALU_CYCLE_1)
	v_cmp_ne_u32_e32 vcc_lo, 0x7c0000, v21
                                        ; implicit-def: $vgpr21
	s_and_saveexec_b32 s14, vcc_lo
	s_xor_b32 s14, exec_lo, s14
	s_cbranch_execz .LBB4_5842
; %bb.5839:                             ;   in Loop: Header=BB4_4405 Depth=2
	v_bfe_u32 v21, v15, 18, 5
	s_mov_b32 s41, exec_lo
	s_delay_alu instid0(VALU_DEP_1)
	v_cmpx_eq_u32_e32 0, v21
; %bb.5840:                             ;   in Loop: Header=BB4_4405 Depth=2
	v_clz_i32_u32_e32 v19, v19
	s_delay_alu instid0(VALU_DEP_1) | instskip(NEXT) | instid1(VALU_DEP_1)
	v_min_u32_e32 v19, 32, v19
	v_subrev_nc_u32_e32 v21, 29, v19
	s_delay_alu instid0(VALU_DEP_1) | instskip(NEXT) | instid1(VALU_DEP_1)
	v_lshlrev_b64_e32 v[56:57], v21, v[20:21]
	v_dual_sub_nc_u32 v21, 30, v19 :: v_dual_bitop2_b32 v19, 3, v56 bitop3:0x40
; %bb.5841:                             ;   in Loop: Header=BB4_4405 Depth=2
	s_or_b32 exec_lo, exec_lo, s41
	v_lshlrev_b32_e32 v20, 24, v20
	s_delay_alu instid0(VALU_DEP_1) | instskip(NEXT) | instid1(VALU_DEP_1)
	v_and_b32_e32 v20, 0x80000000, v20
	v_lshl_add_u32 v20, v21, 23, v20
	s_delay_alu instid0(VALU_DEP_1) | instskip(NEXT) | instid1(VALU_DEP_1)
	v_lshl_or_b32 v19, v19, 21, v20
                                        ; implicit-def: $vgpr20
	v_add_nc_u32_e32 v21, 0x38000000, v19
                                        ; implicit-def: $vgpr19
.LBB4_5842:                             ;   in Loop: Header=BB4_4405 Depth=2
	s_and_not1_saveexec_b32 s14, s14
; %bb.5843:                             ;   in Loop: Header=BB4_4405 Depth=2
	v_bfe_i32 v20, v20, 0, 8
	s_delay_alu instid0(VALU_DEP_1) | instskip(SKIP_2) | instid1(VALU_DEP_2)
	v_cmp_lt_i16_e32 vcc_lo, -1, v20
	v_cndmask_b32_e32 v20, 0xff800000, v109, vcc_lo
	v_cmp_eq_u32_e32 vcc_lo, 0, v19
	v_cndmask_b32_e32 v21, 0x7f800001, v20, vcc_lo
; %bb.5844:                             ;   in Loop: Header=BB4_4405 Depth=2
	s_or_b32 exec_lo, exec_lo, s14
.LBB4_5845:                             ;   in Loop: Header=BB4_4405 Depth=2
	s_delay_alu instid0(SALU_CYCLE_1)
	s_or_b32 exec_lo, exec_lo, s7
.LBB4_5846:                             ;   in Loop: Header=BB4_4405 Depth=2
	s_delay_alu instid0(SALU_CYCLE_1) | instskip(SKIP_2) | instid1(VALU_DEP_1)
	s_or_b32 exec_lo, exec_lo, s13
	v_and_b32_e32 v19, 0xff, v18
	s_mov_b32 s7, exec_lo
	v_cmpx_ne_u16_e32 0, v19
	s_cbranch_execz .LBB4_5856
; %bb.5847:                             ;   in Loop: Header=BB4_4405 Depth=2
	v_bfrev_b32_e32 v23, 1
	s_mov_b32 s13, exec_lo
	v_cmpx_ne_u16_e32 0x80, v19
	s_cbranch_execz .LBB4_5855
; %bb.5848:                             ;   in Loop: Header=BB4_4405 Depth=2
	v_and_b32_e32 v20, 0x7c0000, v11
	v_bfe_u32 v19, v11, 16, 2
	s_mov_b32 s14, exec_lo
                                        ; implicit-def: $vgpr23
	s_delay_alu instid0(VALU_DEP_2)
	v_cmpx_ne_u32_e32 0x7c0000, v20
	s_xor_b32 s14, exec_lo, s14
	s_cbranch_execz .LBB4_5852
; %bb.5849:                             ;   in Loop: Header=BB4_4405 Depth=2
	v_bfe_u32 v20, v11, 18, 5
	s_mov_b32 s41, exec_lo
	s_delay_alu instid0(VALU_DEP_1)
	v_cmpx_eq_u32_e32 0, v20
; %bb.5850:                             ;   in Loop: Header=BB4_4405 Depth=2
	v_clz_i32_u32_e32 v19, v19
	s_delay_alu instid0(VALU_DEP_1) | instskip(NEXT) | instid1(VALU_DEP_1)
	v_min_u32_e32 v19, 32, v19
	v_subrev_nc_u32_e32 v20, 29, v19
	s_delay_alu instid0(VALU_DEP_1) | instskip(NEXT) | instid1(VALU_DEP_1)
	v_lshlrev_b64_e32 v[56:57], v20, v[18:19]
	v_dual_sub_nc_u32 v20, 30, v19 :: v_dual_bitop2_b32 v19, 3, v56 bitop3:0x40
; %bb.5851:                             ;   in Loop: Header=BB4_4405 Depth=2
	s_or_b32 exec_lo, exec_lo, s41
	v_lshlrev_b32_e32 v18, 24, v18
	s_delay_alu instid0(VALU_DEP_1) | instskip(NEXT) | instid1(VALU_DEP_1)
	v_and_b32_e32 v18, 0x80000000, v18
	v_lshl_add_u32 v18, v20, 23, v18
	s_delay_alu instid0(VALU_DEP_1) | instskip(NEXT) | instid1(VALU_DEP_1)
	v_lshl_or_b32 v18, v19, 21, v18
                                        ; implicit-def: $vgpr19
	v_add_nc_u32_e32 v23, 0x38000000, v18
                                        ; implicit-def: $vgpr18
.LBB4_5852:                             ;   in Loop: Header=BB4_4405 Depth=2
	s_and_not1_saveexec_b32 s14, s14
; %bb.5853:                             ;   in Loop: Header=BB4_4405 Depth=2
	v_bfe_i32 v18, v18, 0, 8
	s_delay_alu instid0(VALU_DEP_1) | instskip(SKIP_2) | instid1(VALU_DEP_2)
	v_cmp_lt_i16_e32 vcc_lo, -1, v18
	v_cndmask_b32_e32 v18, 0xff800000, v109, vcc_lo
	v_cmp_eq_u32_e32 vcc_lo, 0, v19
	v_cndmask_b32_e32 v23, 0x7f800001, v18, vcc_lo
; %bb.5854:                             ;   in Loop: Header=BB4_4405 Depth=2
	s_or_b32 exec_lo, exec_lo, s14
.LBB4_5855:                             ;   in Loop: Header=BB4_4405 Depth=2
	s_delay_alu instid0(SALU_CYCLE_1)
	s_or_b32 exec_lo, exec_lo, s13
.LBB4_5856:                             ;   in Loop: Header=BB4_4405 Depth=2
	s_delay_alu instid0(SALU_CYCLE_1) | instskip(NEXT) | instid1(VALU_DEP_1)
	s_or_b32 exec_lo, exec_lo, s7
	v_dual_max_num_f32 v18, v23, v23 :: v_dual_max_num_f32 v19, v21, v21
	s_delay_alu instid0(VALU_DEP_1)
	v_min_num_f32_e32 v47, v19, v18
.LBB4_5857:                             ;   in Loop: Header=BB4_4405 Depth=2
	s_delay_alu instid0(VALU_DEP_1) | instskip(SKIP_2) | instid1(VALU_DEP_2)
	v_and_b32_e32 v18, 0x7f800000, v47
	v_mov_b32_e32 v19, v53
	v_and_b32_e32 v52, 0x7fffff, v47
                                        ; implicit-def: $vgpr21
	v_cmp_ne_u64_e32 vcc_lo, 0x7f800000, v[18:19]
	v_lshrrev_b32_e32 v18, 24, v47
	s_and_saveexec_b32 s7, vcc_lo
	s_delay_alu instid0(SALU_CYCLE_1)
	s_xor_b32 s13, exec_lo, s7
	s_cbranch_execz .LBB4_5871
; %bb.5858:                             ;   in Loop: Header=BB4_4405 Depth=2
	v_and_b32_e32 v20, 0x7fffffff, v47
	v_mov_b32_e32 v21, v53
	v_and_b32_e32 v23, 0x80, v18
	s_delay_alu instid0(VALU_DEP_2) | instskip(SKIP_1) | instid1(SALU_CYCLE_1)
	v_cmp_gt_u64_e32 vcc_lo, 0x47600001, v[20:21]
                                        ; implicit-def: $vgpr21
	s_and_saveexec_b32 s7, vcc_lo
	s_xor_b32 s14, exec_lo, s7
	s_cbranch_execz .LBB4_5868
; %bb.5859:                             ;   in Loop: Header=BB4_4405 Depth=2
	v_mov_b32_e32 v21, 0
	s_mov_b32 s41, exec_lo
	v_cmpx_ne_u32_e32 0, v47
	s_cbranch_execz .LBB4_5867
; %bb.5860:                             ;   in Loop: Header=BB4_4405 Depth=2
	v_bfe_u32 v47, v47, 23, 8
	v_or_b32_e32 v20, 0x800000, v52
	s_delay_alu instid0(VALU_DEP_2) | instskip(SKIP_1) | instid1(VALU_DEP_2)
	v_sub_nc_u32_e32 v18, 0x71, v47
	v_cmp_gt_u32_e32 vcc_lo, 0x72, v47
	v_cndmask_b32_e32 v18, 0, v18, vcc_lo
	v_cmp_eq_u32_e32 vcc_lo, 0, v47
	s_delay_alu instid0(VALU_DEP_2) | instskip(SKIP_1) | instid1(VALU_DEP_2)
	v_cndmask_b32_e64 v56, v18, 0x70, vcc_lo
	v_cndmask_b32_e32 v52, v20, v52, vcc_lo
	v_dual_add_nc_u32 v18, 21, v56 :: v_dual_add_nc_u32 v21, 20, v56
	s_delay_alu instid0(VALU_DEP_1) | instskip(NEXT) | instid1(VALU_DEP_2)
	v_lshlrev_b64_e64 v[18:19], v18, -1
	v_lshlrev_b64_e64 v[20:21], v21, 1
	s_delay_alu instid0(VALU_DEP_2) | instskip(NEXT) | instid1(VALU_DEP_3)
	v_bfi_b32 v59, v19, 0, 0
	v_bfi_b32 v58, v18, 0, v52
	v_lshrrev_b64 v[18:19], v56, v[52:53]
	s_delay_alu instid0(VALU_DEP_2) | instskip(NEXT) | instid1(VALU_DEP_2)
	v_cmp_eq_u64_e64 s7, v[58:59], v[20:21]
	v_mov_b64_e32 v[20:21], v[18:19]
	s_and_saveexec_b32 s42, s7
; %bb.5861:                             ;   in Loop: Header=BB4_4405 Depth=2
	v_bfe_u32 v52, v18, 21, 1
	s_delay_alu instid0(VALU_DEP_1) | instskip(NEXT) | instid1(VALU_DEP_1)
	v_add_nc_u64_e32 v[20:21], v[18:19], v[52:53]
	v_add_nc_u64_e32 v[20:21], -1, v[20:21]
; %bb.5862:                             ;   in Loop: Header=BB4_4405 Depth=2
	s_or_b32 exec_lo, exec_lo, s42
	v_add_nc_u32_e32 v19, 0xffffff81, v47
	v_lshrrev_b32_e32 v21, 23, v18
	s_mov_b32 s7, exec_lo
	s_delay_alu instid0(VALU_DEP_2) | instskip(NEXT) | instid1(VALU_DEP_1)
	v_cndmask_b32_e64 v19, v19, 0xffffff82, vcc_lo
	v_add3_u32 v21, v56, v19, v21
	v_and_b32_e32 v19, 0x1fffff, v20
                                        ; implicit-def: $vgpr20
	s_delay_alu instid0(VALU_DEP_1) | instskip(NEXT) | instid1(VALU_DEP_1)
	v_dual_add_nc_u32 v47, 14, v21 :: v_dual_add_nc_u32 v52, v19, v18
                                        ; implicit-def: $vgpr18_vgpr19
	v_cmpx_ne_u32_e32 0, v47
	s_xor_b32 s7, exec_lo, s7
; %bb.5863:                             ;   in Loop: Header=BB4_4405 Depth=2
	s_delay_alu instid0(VALU_DEP_2) | instskip(SKIP_1) | instid1(VALU_DEP_1)
	v_cmp_lt_u64_e32 vcc_lo, 0xffffff, v[52:53]
	v_add_nc_u32_e32 v18, 15, v21
	v_cndmask_b32_e32 v20, v47, v18, vcc_lo
	v_cndmask_b32_e64 v18, 0, 1, vcc_lo
	s_delay_alu instid0(VALU_DEP_1)
	v_lshrrev_b64 v[18:19], v18, v[52:53]
; %bb.5864:                             ;   in Loop: Header=BB4_4405 Depth=2
	s_and_not1_saveexec_b32 s7, s7
; %bb.5865:                             ;   in Loop: Header=BB4_4405 Depth=2
	v_mov_b64_e32 v[18:19], v[52:53]
	v_bfe_u32 v20, v52, 23, 1
; %bb.5866:                             ;   in Loop: Header=BB4_4405 Depth=2
	s_or_b32 exec_lo, exec_lo, s7
	s_delay_alu instid0(VALU_DEP_2) | instskip(NEXT) | instid1(VALU_DEP_2)
	v_lshrrev_b64 v[18:19], 21, v[18:19]
	v_cmp_gt_i32_e32 vcc_lo, 32, v20
	v_min_i32_e32 v21, 31, v20
	v_cmp_eq_u32_e64 s7, 0, v20
	s_delay_alu instid0(VALU_DEP_2) | instskip(SKIP_1) | instid1(VALU_DEP_2)
	v_dual_cndmask_b32 v19, 0, v19, vcc_lo :: v_dual_lshlrev_b32 v21, 2, v21
	v_cndmask_b32_e32 v18, 3, v18, vcc_lo
	v_and_b32_e32 v21, 0xfc, v21
	s_delay_alu instid0(VALU_DEP_2) | instskip(NEXT) | instid1(VALU_DEP_2)
	v_cmp_eq_u64_e32 vcc_lo, 0, v[18:19]
	v_and_or_b32 v18, v18, 3, v21
	s_and_b32 s7, s7, vcc_lo
	s_delay_alu instid0(VALU_DEP_1) | instid1(SALU_CYCLE_1)
	v_cndmask_b32_e64 v18, v18, 0, s7
	s_delay_alu instid0(VALU_DEP_1)
	v_or_b32_e32 v21, v18, v23
.LBB4_5867:                             ;   in Loop: Header=BB4_4405 Depth=2
	s_or_b32 exec_lo, exec_lo, s41
                                        ; implicit-def: $vgpr23
.LBB4_5868:                             ;   in Loop: Header=BB4_4405 Depth=2
	s_and_not1_saveexec_b32 s7, s14
; %bb.5869:                             ;   in Loop: Header=BB4_4405 Depth=2
	v_or_b32_e32 v21, 0x7b, v23
; %bb.5870:                             ;   in Loop: Header=BB4_4405 Depth=2
	s_or_b32 exec_lo, exec_lo, s7
                                        ; implicit-def: $vgpr47
                                        ; implicit-def: $vgpr18
.LBB4_5871:                             ;   in Loop: Header=BB4_4405 Depth=2
	s_and_not1_saveexec_b32 s7, s13
	s_cbranch_execz .LBB4_5877
; %bb.5872:                             ;   in Loop: Header=BB4_4405 Depth=2
	s_mov_b32 s13, exec_lo
                                        ; implicit-def: $vgpr21
	v_cmpx_ne_u64_e32 0, v[52:53]
	s_xor_b32 s13, exec_lo, s13
; %bb.5873:                             ;   in Loop: Header=BB4_4405 Depth=2
	v_or_b32_e32 v21, 0x7f, v18
                                        ; implicit-def: $vgpr47
; %bb.5874:                             ;   in Loop: Header=BB4_4405 Depth=2
	s_and_not1_saveexec_b32 s13, s13
; %bb.5875:                             ;   in Loop: Header=BB4_4405 Depth=2
	v_cmp_lt_i32_e32 vcc_lo, -1, v47
	v_cndmask_b32_e32 v21, 0xfc, v110, vcc_lo
; %bb.5876:                             ;   in Loop: Header=BB4_4405 Depth=2
	s_or_b32 exec_lo, exec_lo, s13
.LBB4_5877:                             ;   in Loop: Header=BB4_4405 Depth=2
	s_delay_alu instid0(SALU_CYCLE_1)
	s_or_b32 exec_lo, exec_lo, s7
	v_cmp_lt_u64_e64 s7, s[16:17], v[14:15]
	v_lshrrev_b32_e32 v20, 24, v15
	v_lshrrev_b32_e32 v18, 24, v11
	s_and_not1_b32 vcc_lo, exec_lo, s12
	s_mov_b32 s13, -1
                                        ; implicit-def: $vgpr19
	s_cbranch_vccnz .LBB4_5899
; %bb.5878:                             ;   in Loop: Header=BB4_4405 Depth=2
	v_dual_mov_b32 v23, 0 :: v_dual_mov_b32 v19, 0
	s_and_saveexec_b32 s13, s7
	s_cbranch_execz .LBB4_5888
; %bb.5879:                             ;   in Loop: Header=BB4_4405 Depth=2
	v_bfrev_b32_e32 v19, 1
	s_mov_b32 s14, exec_lo
	v_cmpx_ne_u32_e32 0x80, v20
	s_cbranch_execz .LBB4_5887
; %bb.5880:                             ;   in Loop: Header=BB4_4405 Depth=2
	v_and_b32_e32 v19, 0x7c000000, v15
	v_bfe_u32 v52, v15, 24, 2
	s_delay_alu instid0(VALU_DEP_2) | instskip(SKIP_1) | instid1(SALU_CYCLE_1)
	v_cmp_ne_u32_e32 vcc_lo, 0x7c000000, v19
                                        ; implicit-def: $vgpr19
	s_and_saveexec_b32 s41, vcc_lo
	s_xor_b32 s41, exec_lo, s41
	s_cbranch_execz .LBB4_5884
; %bb.5881:                             ;   in Loop: Header=BB4_4405 Depth=2
	v_bfe_u32 v19, v15, 26, 5
	s_mov_b32 s42, exec_lo
	s_delay_alu instid0(VALU_DEP_1)
	v_cmpx_eq_u32_e32 0, v19
; %bb.5882:                             ;   in Loop: Header=BB4_4405 Depth=2
	v_clz_i32_u32_e32 v19, v52
	s_delay_alu instid0(VALU_DEP_1) | instskip(NEXT) | instid1(VALU_DEP_1)
	v_min_u32_e32 v19, 32, v19
	v_subrev_nc_u32_e32 v52, 29, v19
	s_delay_alu instid0(VALU_DEP_1) | instskip(NEXT) | instid1(VALU_DEP_1)
	v_lshlrev_b64_e32 v[56:57], v52, v[20:21]
	v_dual_sub_nc_u32 v19, 30, v19 :: v_dual_bitop2_b32 v52, 3, v56 bitop3:0x40
; %bb.5883:                             ;   in Loop: Header=BB4_4405 Depth=2
	s_or_b32 exec_lo, exec_lo, s42
	v_and_b32_e32 v47, 0x80000000, v15
	s_delay_alu instid0(VALU_DEP_1) | instskip(NEXT) | instid1(VALU_DEP_1)
	v_lshl_add_u32 v19, v19, 23, v47
	v_lshl_or_b32 v19, v52, 21, v19
                                        ; implicit-def: $vgpr52
	s_delay_alu instid0(VALU_DEP_1)
	v_add_nc_u32_e32 v19, 0x38000000, v19
.LBB4_5884:                             ;   in Loop: Header=BB4_4405 Depth=2
	s_and_not1_saveexec_b32 s41, s41
; %bb.5885:                             ;   in Loop: Header=BB4_4405 Depth=2
	v_cmp_lt_i64_e32 vcc_lo, -1, v[14:15]
	v_cndmask_b32_e32 v19, 0xff800000, v109, vcc_lo
	v_cmp_eq_u32_e32 vcc_lo, 0, v52
	s_delay_alu instid0(VALU_DEP_2)
	v_cndmask_b32_e32 v19, 0x7f800001, v19, vcc_lo
; %bb.5886:                             ;   in Loop: Header=BB4_4405 Depth=2
	s_or_b32 exec_lo, exec_lo, s41
.LBB4_5887:                             ;   in Loop: Header=BB4_4405 Depth=2
	s_delay_alu instid0(SALU_CYCLE_1)
	s_or_b32 exec_lo, exec_lo, s14
.LBB4_5888:                             ;   in Loop: Header=BB4_4405 Depth=2
	s_delay_alu instid0(SALU_CYCLE_1) | instskip(NEXT) | instid1(SALU_CYCLE_1)
	s_or_b32 exec_lo, exec_lo, s13
	s_mov_b32 s13, exec_lo
	v_cmpx_lt_u64_e64 s[16:17], v[10:11]
	s_cbranch_execz .LBB4_5898
; %bb.5889:                             ;   in Loop: Header=BB4_4405 Depth=2
	v_bfrev_b32_e32 v23, 1
	s_mov_b32 s14, exec_lo
	v_cmpx_ne_u32_e32 0x80, v18
	s_cbranch_execz .LBB4_5897
; %bb.5890:                             ;   in Loop: Header=BB4_4405 Depth=2
	v_and_b32_e32 v23, 0x7c000000, v11
	v_bfe_u32 v52, v11, 24, 2
	s_delay_alu instid0(VALU_DEP_2) | instskip(SKIP_1) | instid1(SALU_CYCLE_1)
	v_cmp_ne_u32_e32 vcc_lo, 0x7c000000, v23
                                        ; implicit-def: $vgpr23
	s_and_saveexec_b32 s41, vcc_lo
	s_xor_b32 s41, exec_lo, s41
	s_cbranch_execz .LBB4_5894
; %bb.5891:                             ;   in Loop: Header=BB4_4405 Depth=2
	v_bfe_u32 v23, v11, 26, 5
	s_mov_b32 s42, exec_lo
	s_delay_alu instid0(VALU_DEP_1)
	v_cmpx_eq_u32_e32 0, v23
; %bb.5892:                             ;   in Loop: Header=BB4_4405 Depth=2
	v_clz_i32_u32_e32 v23, v52
	s_delay_alu instid0(VALU_DEP_1) | instskip(NEXT) | instid1(VALU_DEP_1)
	v_min_u32_e32 v23, 32, v23
	v_subrev_nc_u32_e32 v52, 29, v23
	s_delay_alu instid0(VALU_DEP_1) | instskip(NEXT) | instid1(VALU_DEP_1)
	v_lshlrev_b64_e32 v[56:57], v52, v[18:19]
	v_dual_sub_nc_u32 v23, 30, v23 :: v_dual_bitop2_b32 v52, 3, v56 bitop3:0x40
; %bb.5893:                             ;   in Loop: Header=BB4_4405 Depth=2
	s_or_b32 exec_lo, exec_lo, s42
	v_and_b32_e32 v47, 0x80000000, v11
	s_delay_alu instid0(VALU_DEP_1) | instskip(NEXT) | instid1(VALU_DEP_1)
	v_lshl_add_u32 v23, v23, 23, v47
	v_lshl_or_b32 v23, v52, 21, v23
                                        ; implicit-def: $vgpr52
	s_delay_alu instid0(VALU_DEP_1)
	v_add_nc_u32_e32 v23, 0x38000000, v23
.LBB4_5894:                             ;   in Loop: Header=BB4_4405 Depth=2
	s_and_not1_saveexec_b32 s41, s41
; %bb.5895:                             ;   in Loop: Header=BB4_4405 Depth=2
	v_cmp_lt_i64_e32 vcc_lo, -1, v[10:11]
	v_cndmask_b32_e32 v23, 0xff800000, v109, vcc_lo
	v_cmp_eq_u32_e32 vcc_lo, 0, v52
	s_delay_alu instid0(VALU_DEP_2)
	v_cndmask_b32_e32 v23, 0x7f800001, v23, vcc_lo
; %bb.5896:                             ;   in Loop: Header=BB4_4405 Depth=2
	s_or_b32 exec_lo, exec_lo, s41
.LBB4_5897:                             ;   in Loop: Header=BB4_4405 Depth=2
	s_delay_alu instid0(SALU_CYCLE_1)
	s_or_b32 exec_lo, exec_lo, s14
.LBB4_5898:                             ;   in Loop: Header=BB4_4405 Depth=2
	s_delay_alu instid0(SALU_CYCLE_1) | instskip(NEXT) | instid1(VALU_DEP_1)
	s_or_b32 exec_lo, exec_lo, s13
	v_max_num_f32_e32 v23, v23, v23
	v_max_num_f32_e32 v19, v19, v19
	s_mov_b32 s13, 0
	s_delay_alu instid0(VALU_DEP_1)
	v_max_num_f32_e32 v19, v19, v23
.LBB4_5899:                             ;   in Loop: Header=BB4_4405 Depth=2
	s_and_b32 vcc_lo, exec_lo, s13
	s_cbranch_vccz .LBB4_5921
; %bb.5900:                             ;   in Loop: Header=BB4_4405 Depth=2
	v_dual_mov_b32 v23, 0 :: v_dual_mov_b32 v19, 0
	s_and_saveexec_b32 s13, s7
	s_cbranch_execz .LBB4_5910
; %bb.5901:                             ;   in Loop: Header=BB4_4405 Depth=2
	v_bfrev_b32_e32 v19, 1
	s_mov_b32 s7, exec_lo
	v_cmpx_ne_u32_e32 0x80, v20
	s_cbranch_execz .LBB4_5909
; %bb.5902:                             ;   in Loop: Header=BB4_4405 Depth=2
	v_and_b32_e32 v19, 0x7c000000, v15
	v_bfe_u32 v52, v15, 24, 2
	s_delay_alu instid0(VALU_DEP_2) | instskip(SKIP_1) | instid1(SALU_CYCLE_1)
	v_cmp_ne_u32_e32 vcc_lo, 0x7c000000, v19
                                        ; implicit-def: $vgpr19
	s_and_saveexec_b32 s14, vcc_lo
	s_xor_b32 s14, exec_lo, s14
	s_cbranch_execz .LBB4_5906
; %bb.5903:                             ;   in Loop: Header=BB4_4405 Depth=2
	v_bfe_u32 v19, v15, 26, 5
	s_mov_b32 s41, exec_lo
	s_delay_alu instid0(VALU_DEP_1)
	v_cmpx_eq_u32_e32 0, v19
; %bb.5904:                             ;   in Loop: Header=BB4_4405 Depth=2
	v_clz_i32_u32_e32 v19, v52
	s_delay_alu instid0(VALU_DEP_1) | instskip(NEXT) | instid1(VALU_DEP_1)
	v_min_u32_e32 v19, 32, v19
	v_subrev_nc_u32_e32 v52, 29, v19
	s_delay_alu instid0(VALU_DEP_1) | instskip(NEXT) | instid1(VALU_DEP_1)
	v_lshlrev_b64_e32 v[56:57], v52, v[20:21]
	v_dual_sub_nc_u32 v19, 30, v19 :: v_dual_bitop2_b32 v52, 3, v56 bitop3:0x40
; %bb.5905:                             ;   in Loop: Header=BB4_4405 Depth=2
	s_or_b32 exec_lo, exec_lo, s41
	v_and_b32_e32 v20, 0x80000000, v15
	s_delay_alu instid0(VALU_DEP_1) | instskip(NEXT) | instid1(VALU_DEP_1)
	v_lshl_add_u32 v19, v19, 23, v20
	v_lshl_or_b32 v19, v52, 21, v19
                                        ; implicit-def: $vgpr52
	s_delay_alu instid0(VALU_DEP_1)
	v_add_nc_u32_e32 v19, 0x38000000, v19
.LBB4_5906:                             ;   in Loop: Header=BB4_4405 Depth=2
	s_and_not1_saveexec_b32 s14, s14
; %bb.5907:                             ;   in Loop: Header=BB4_4405 Depth=2
	v_cmp_lt_i64_e32 vcc_lo, -1, v[14:15]
	v_cndmask_b32_e32 v14, 0xff800000, v109, vcc_lo
	v_cmp_eq_u32_e32 vcc_lo, 0, v52
	s_delay_alu instid0(VALU_DEP_2)
	v_cndmask_b32_e32 v19, 0x7f800001, v14, vcc_lo
; %bb.5908:                             ;   in Loop: Header=BB4_4405 Depth=2
	s_or_b32 exec_lo, exec_lo, s14
.LBB4_5909:                             ;   in Loop: Header=BB4_4405 Depth=2
	s_delay_alu instid0(SALU_CYCLE_1)
	s_or_b32 exec_lo, exec_lo, s7
.LBB4_5910:                             ;   in Loop: Header=BB4_4405 Depth=2
	s_delay_alu instid0(SALU_CYCLE_1) | instskip(NEXT) | instid1(SALU_CYCLE_1)
	s_or_b32 exec_lo, exec_lo, s13
	s_mov_b32 s7, exec_lo
	v_cmpx_lt_u64_e64 s[16:17], v[10:11]
	s_cbranch_execz .LBB4_5920
; %bb.5911:                             ;   in Loop: Header=BB4_4405 Depth=2
	v_bfrev_b32_e32 v23, 1
	s_mov_b32 s13, exec_lo
	v_cmpx_ne_u32_e32 0x80, v18
	s_cbranch_execz .LBB4_5919
; %bb.5912:                             ;   in Loop: Header=BB4_4405 Depth=2
	v_and_b32_e32 v15, 0x7c000000, v11
	v_bfe_u32 v14, v11, 24, 2
	s_mov_b32 s14, exec_lo
                                        ; implicit-def: $vgpr23
	s_delay_alu instid0(VALU_DEP_2)
	v_cmpx_ne_u32_e32 0x7c000000, v15
	s_xor_b32 s14, exec_lo, s14
	s_cbranch_execz .LBB4_5916
; %bb.5913:                             ;   in Loop: Header=BB4_4405 Depth=2
	v_bfe_u32 v15, v11, 26, 5
	s_mov_b32 s41, exec_lo
	s_delay_alu instid0(VALU_DEP_1)
	v_cmpx_eq_u32_e32 0, v15
; %bb.5914:                             ;   in Loop: Header=BB4_4405 Depth=2
	v_clz_i32_u32_e32 v14, v14
	s_delay_alu instid0(VALU_DEP_1) | instskip(NEXT) | instid1(VALU_DEP_1)
	v_min_u32_e32 v20, 32, v14
	v_subrev_nc_u32_e32 v14, 29, v20
	s_delay_alu instid0(VALU_DEP_1) | instskip(NEXT) | instid1(VALU_DEP_1)
	v_lshlrev_b64_e32 v[14:15], v14, v[18:19]
	v_dual_sub_nc_u32 v15, 30, v20 :: v_dual_bitop2_b32 v14, 3, v14 bitop3:0x40
; %bb.5915:                             ;   in Loop: Header=BB4_4405 Depth=2
	s_or_b32 exec_lo, exec_lo, s41
	v_and_b32_e32 v18, 0x80000000, v11
	s_delay_alu instid0(VALU_DEP_1) | instskip(NEXT) | instid1(VALU_DEP_1)
	v_lshl_add_u32 v15, v15, 23, v18
	v_lshl_or_b32 v14, v14, 21, v15
	s_delay_alu instid0(VALU_DEP_1)
	v_add_nc_u32_e32 v23, 0x38000000, v14
                                        ; implicit-def: $vgpr14
.LBB4_5916:                             ;   in Loop: Header=BB4_4405 Depth=2
	s_and_not1_saveexec_b32 s14, s14
; %bb.5917:                             ;   in Loop: Header=BB4_4405 Depth=2
	v_cmp_lt_i64_e32 vcc_lo, -1, v[10:11]
	v_cndmask_b32_e32 v10, 0xff800000, v109, vcc_lo
	v_cmp_eq_u32_e32 vcc_lo, 0, v14
	s_delay_alu instid0(VALU_DEP_2)
	v_cndmask_b32_e32 v23, 0x7f800001, v10, vcc_lo
; %bb.5918:                             ;   in Loop: Header=BB4_4405 Depth=2
	s_or_b32 exec_lo, exec_lo, s14
.LBB4_5919:                             ;   in Loop: Header=BB4_4405 Depth=2
	s_delay_alu instid0(SALU_CYCLE_1)
	s_or_b32 exec_lo, exec_lo, s13
.LBB4_5920:                             ;   in Loop: Header=BB4_4405 Depth=2
	s_delay_alu instid0(SALU_CYCLE_1) | instskip(NEXT) | instid1(VALU_DEP_1)
	s_or_b32 exec_lo, exec_lo, s7
	v_max_num_f32_e32 v10, v23, v23
	v_max_num_f32_e32 v11, v19, v19
	s_delay_alu instid0(VALU_DEP_1)
	v_min_num_f32_e32 v19, v11, v10
.LBB4_5921:                             ;   in Loop: Header=BB4_4405 Depth=2
	s_delay_alu instid0(VALU_DEP_1) | instskip(SKIP_2) | instid1(VALU_DEP_2)
	v_and_b32_e32 v10, 0x7f800000, v19
	v_mov_b32_e32 v11, v53
	v_and_b32_e32 v52, 0x7fffff, v19
                                        ; implicit-def: $vgpr20
	v_cmp_ne_u64_e32 vcc_lo, 0x7f800000, v[10:11]
	v_lshrrev_b32_e32 v10, 24, v19
	s_and_saveexec_b32 s7, vcc_lo
	s_delay_alu instid0(SALU_CYCLE_1)
	s_xor_b32 s13, exec_lo, s7
	s_cbranch_execz .LBB4_5935
; %bb.5922:                             ;   in Loop: Header=BB4_4405 Depth=2
	v_and_b32_e32 v14, 0x7fffffff, v19
	v_mov_b32_e32 v15, v53
	v_and_b32_e32 v18, 0x80, v10
                                        ; implicit-def: $vgpr20
	s_mov_b32 s7, exec_lo
	s_delay_alu instid0(VALU_DEP_2)
	v_cmpx_gt_u64_e32 0x47600001, v[14:15]
	s_xor_b32 s14, exec_lo, s7
	s_cbranch_execz .LBB4_5932
; %bb.5923:                             ;   in Loop: Header=BB4_4405 Depth=2
	v_mov_b32_e32 v20, 0
	s_mov_b32 s41, exec_lo
	v_cmpx_ne_u32_e32 0, v19
	s_cbranch_execz .LBB4_5931
; %bb.5924:                             ;   in Loop: Header=BB4_4405 Depth=2
	v_bfe_u32 v19, v19, 23, 8
	v_or_b32_e32 v14, 0x800000, v52
	s_delay_alu instid0(VALU_DEP_2) | instskip(SKIP_1) | instid1(VALU_DEP_2)
	v_sub_nc_u32_e32 v10, 0x71, v19
	v_cmp_gt_u32_e32 vcc_lo, 0x72, v19
	v_cndmask_b32_e32 v10, 0, v10, vcc_lo
	v_cmp_eq_u32_e32 vcc_lo, 0, v19
	s_delay_alu instid0(VALU_DEP_2) | instskip(SKIP_1) | instid1(VALU_DEP_2)
	v_cndmask_b32_e64 v20, v10, 0x70, vcc_lo
	v_cndmask_b32_e32 v52, v14, v52, vcc_lo
	v_dual_add_nc_u32 v10, 21, v20 :: v_dual_add_nc_u32 v15, 20, v20
	s_delay_alu instid0(VALU_DEP_1) | instskip(NEXT) | instid1(VALU_DEP_2)
	v_lshlrev_b64_e64 v[10:11], v10, -1
	v_lshlrev_b64_e64 v[14:15], v15, 1
	s_delay_alu instid0(VALU_DEP_2) | instskip(NEXT) | instid1(VALU_DEP_3)
	v_bfi_b32 v57, v11, 0, 0
	v_bfi_b32 v56, v10, 0, v52
	v_lshrrev_b64 v[10:11], v20, v[52:53]
	s_delay_alu instid0(VALU_DEP_2) | instskip(NEXT) | instid1(VALU_DEP_2)
	v_cmp_eq_u64_e64 s7, v[56:57], v[14:15]
	v_mov_b64_e32 v[14:15], v[10:11]
	s_and_saveexec_b32 s42, s7
; %bb.5925:                             ;   in Loop: Header=BB4_4405 Depth=2
	v_bfe_u32 v52, v10, 21, 1
	s_delay_alu instid0(VALU_DEP_1) | instskip(NEXT) | instid1(VALU_DEP_1)
	v_add_nc_u64_e32 v[14:15], v[10:11], v[52:53]
	v_add_nc_u64_e32 v[14:15], -1, v[14:15]
; %bb.5926:                             ;   in Loop: Header=BB4_4405 Depth=2
	s_or_b32 exec_lo, exec_lo, s42
	v_add_nc_u32_e32 v11, 0xffffff81, v19
	v_lshrrev_b32_e32 v15, 23, v10
	s_mov_b32 s7, exec_lo
	s_delay_alu instid0(VALU_DEP_2) | instskip(NEXT) | instid1(VALU_DEP_1)
	v_cndmask_b32_e64 v11, v11, 0xffffff82, vcc_lo
	v_add3_u32 v15, v20, v11, v15
	v_and_b32_e32 v11, 0x1fffff, v14
                                        ; implicit-def: $vgpr14
	s_delay_alu instid0(VALU_DEP_1) | instskip(NEXT) | instid1(VALU_DEP_1)
	v_dual_add_nc_u32 v19, 14, v15 :: v_dual_add_nc_u32 v52, v11, v10
                                        ; implicit-def: $vgpr10_vgpr11
	v_cmpx_ne_u32_e32 0, v19
	s_xor_b32 s7, exec_lo, s7
; %bb.5927:                             ;   in Loop: Header=BB4_4405 Depth=2
	s_delay_alu instid0(VALU_DEP_2) | instskip(SKIP_1) | instid1(VALU_DEP_1)
	v_cmp_lt_u64_e32 vcc_lo, 0xffffff, v[52:53]
	v_add_nc_u32_e32 v10, 15, v15
	v_cndmask_b32_e32 v14, v19, v10, vcc_lo
	v_cndmask_b32_e64 v10, 0, 1, vcc_lo
	s_delay_alu instid0(VALU_DEP_1)
	v_lshrrev_b64 v[10:11], v10, v[52:53]
; %bb.5928:                             ;   in Loop: Header=BB4_4405 Depth=2
	s_and_not1_saveexec_b32 s7, s7
; %bb.5929:                             ;   in Loop: Header=BB4_4405 Depth=2
	v_mov_b64_e32 v[10:11], v[52:53]
	v_bfe_u32 v14, v52, 23, 1
; %bb.5930:                             ;   in Loop: Header=BB4_4405 Depth=2
	s_or_b32 exec_lo, exec_lo, s7
	s_delay_alu instid0(VALU_DEP_2) | instskip(NEXT) | instid1(VALU_DEP_2)
	v_lshrrev_b64 v[10:11], 21, v[10:11]
	v_cmp_gt_i32_e32 vcc_lo, 32, v14
	v_min_i32_e32 v15, 31, v14
	v_cmp_eq_u32_e64 s7, 0, v14
	s_delay_alu instid0(VALU_DEP_4) | instskip(NEXT) | instid1(VALU_DEP_3)
	v_cndmask_b32_e32 v11, 0, v11, vcc_lo
	v_dual_cndmask_b32 v10, 3, v10 :: v_dual_lshlrev_b32 v15, 2, v15
	s_delay_alu instid0(VALU_DEP_1) | instskip(NEXT) | instid1(VALU_DEP_2)
	v_and_b32_e32 v15, 0xfc, v15
	v_cmp_eq_u64_e32 vcc_lo, 0, v[10:11]
	s_delay_alu instid0(VALU_DEP_2)
	v_and_or_b32 v10, v10, 3, v15
	s_and_b32 s7, s7, vcc_lo
	s_delay_alu instid0(VALU_DEP_1) | instid1(SALU_CYCLE_1)
	v_cndmask_b32_e64 v10, v10, 0, s7
	s_delay_alu instid0(VALU_DEP_1)
	v_or_b32_e32 v20, v10, v18
.LBB4_5931:                             ;   in Loop: Header=BB4_4405 Depth=2
	s_or_b32 exec_lo, exec_lo, s41
                                        ; implicit-def: $vgpr18
.LBB4_5932:                             ;   in Loop: Header=BB4_4405 Depth=2
	s_and_not1_saveexec_b32 s7, s14
; %bb.5933:                             ;   in Loop: Header=BB4_4405 Depth=2
	v_or_b32_e32 v20, 0x7b, v18
; %bb.5934:                             ;   in Loop: Header=BB4_4405 Depth=2
	s_or_b32 exec_lo, exec_lo, s7
                                        ; implicit-def: $vgpr19
                                        ; implicit-def: $vgpr10
.LBB4_5935:                             ;   in Loop: Header=BB4_4405 Depth=2
	s_and_not1_saveexec_b32 s7, s13
	s_cbranch_execz .LBB4_5941
; %bb.5936:                             ;   in Loop: Header=BB4_4405 Depth=2
	s_mov_b32 s13, exec_lo
                                        ; implicit-def: $vgpr20
	v_cmpx_ne_u64_e32 0, v[52:53]
	s_xor_b32 s13, exec_lo, s13
; %bb.5937:                             ;   in Loop: Header=BB4_4405 Depth=2
	v_or_b32_e32 v20, 0x7f, v10
                                        ; implicit-def: $vgpr19
; %bb.5938:                             ;   in Loop: Header=BB4_4405 Depth=2
	s_and_not1_saveexec_b32 s13, s13
; %bb.5939:                             ;   in Loop: Header=BB4_4405 Depth=2
	v_cmp_lt_i32_e32 vcc_lo, -1, v19
	v_cndmask_b32_e32 v20, 0xfc, v110, vcc_lo
; %bb.5940:                             ;   in Loop: Header=BB4_4405 Depth=2
	s_or_b32 exec_lo, exec_lo, s13
.LBB4_5941:                             ;   in Loop: Header=BB4_4405 Depth=2
	s_delay_alu instid0(SALU_CYCLE_1)
	s_or_b32 exec_lo, exec_lo, s7
	v_and_b32_e32 v14, 0xff, v16
	v_bfe_i32 v11, v16, 0, 8
	v_bfe_i32 v10, v12, 0, 8
	s_and_not1_b32 vcc_lo, exec_lo, s12
	s_mov_b32 s13, -1
	v_cmp_ne_u16_e64 s7, 0, v14
                                        ; implicit-def: $vgpr14
	s_cbranch_vccnz .LBB4_5963
; %bb.5942:                             ;   in Loop: Header=BB4_4405 Depth=2
	v_dual_mov_b32 v15, 0 :: v_dual_mov_b32 v14, 0
	s_and_saveexec_b32 s13, s7
	s_cbranch_execz .LBB4_5952
; %bb.5943:                             ;   in Loop: Header=BB4_4405 Depth=2
	v_bfrev_b32_e32 v14, 1
	s_mov_b32 s14, exec_lo
	v_cmpx_ne_u16_e32 0xff80, v11
	s_cbranch_execz .LBB4_5951
; %bb.5944:                             ;   in Loop: Header=BB4_4405 Depth=2
	v_and_b32_e32 v14, 0x7c, v16
	v_and_b32_e32 v18, 3, v16
	s_delay_alu instid0(VALU_DEP_2) | instskip(SKIP_1) | instid1(SALU_CYCLE_1)
	v_cmp_ne_u32_e32 vcc_lo, 0x7c, v14
                                        ; implicit-def: $vgpr14
	s_and_saveexec_b32 s41, vcc_lo
	s_xor_b32 s41, exec_lo, s41
	s_cbranch_execz .LBB4_5948
; %bb.5945:                             ;   in Loop: Header=BB4_4405 Depth=2
	v_bfe_u32 v14, v16, 2, 5
	s_mov_b32 s42, exec_lo
	s_delay_alu instid0(VALU_DEP_1)
	v_cmpx_eq_u32_e32 0, v14
; %bb.5946:                             ;   in Loop: Header=BB4_4405 Depth=2
	v_clz_i32_u32_e32 v14, v18
	s_delay_alu instid0(VALU_DEP_1) | instskip(NEXT) | instid1(VALU_DEP_1)
	v_min_u32_e32 v14, 32, v14
	v_subrev_nc_u32_e32 v18, 29, v14
	v_sub_nc_u32_e32 v14, 30, v14
	s_delay_alu instid0(VALU_DEP_2) | instskip(NEXT) | instid1(VALU_DEP_1)
	v_lshlrev_b64_e32 v[18:19], v18, v[16:17]
	v_and_b32_e32 v18, 3, v18
; %bb.5947:                             ;   in Loop: Header=BB4_4405 Depth=2
	s_or_b32 exec_lo, exec_lo, s42
	v_lshlrev_b32_e32 v19, 24, v16
	s_delay_alu instid0(VALU_DEP_1) | instskip(NEXT) | instid1(VALU_DEP_1)
	v_and_b32_e32 v19, 0x80000000, v19
	v_lshl_add_u32 v14, v14, 23, v19
	s_delay_alu instid0(VALU_DEP_1) | instskip(NEXT) | instid1(VALU_DEP_1)
	v_lshl_or_b32 v14, v18, 21, v14
                                        ; implicit-def: $vgpr18
	v_add_nc_u32_e32 v14, 0x38000000, v14
.LBB4_5948:                             ;   in Loop: Header=BB4_4405 Depth=2
	s_and_not1_saveexec_b32 s41, s41
; %bb.5949:                             ;   in Loop: Header=BB4_4405 Depth=2
	v_cmp_lt_i16_e32 vcc_lo, -1, v11
	v_cndmask_b32_e32 v14, 0xff800000, v109, vcc_lo
	v_cmp_eq_u32_e32 vcc_lo, 0, v18
	s_delay_alu instid0(VALU_DEP_2)
	v_cndmask_b32_e32 v14, 0x7f800001, v14, vcc_lo
; %bb.5950:                             ;   in Loop: Header=BB4_4405 Depth=2
	s_or_b32 exec_lo, exec_lo, s41
.LBB4_5951:                             ;   in Loop: Header=BB4_4405 Depth=2
	s_delay_alu instid0(SALU_CYCLE_1)
	s_or_b32 exec_lo, exec_lo, s14
.LBB4_5952:                             ;   in Loop: Header=BB4_4405 Depth=2
	s_delay_alu instid0(SALU_CYCLE_1) | instskip(NEXT) | instid1(SALU_CYCLE_1)
	s_or_b32 exec_lo, exec_lo, s13
	s_mov_b32 s13, exec_lo
	v_cmpx_ne_u16_e32 0, v10
	s_cbranch_execz .LBB4_5962
; %bb.5953:                             ;   in Loop: Header=BB4_4405 Depth=2
	v_bfrev_b32_e32 v15, 1
	s_mov_b32 s14, exec_lo
	v_cmpx_ne_u16_e32 0xff80, v10
	s_cbranch_execz .LBB4_5961
; %bb.5954:                             ;   in Loop: Header=BB4_4405 Depth=2
	v_and_b32_e32 v15, 0x7c, v12
	v_and_b32_e32 v18, 3, v12
	s_delay_alu instid0(VALU_DEP_2) | instskip(SKIP_1) | instid1(SALU_CYCLE_1)
	v_cmp_ne_u32_e32 vcc_lo, 0x7c, v15
                                        ; implicit-def: $vgpr15
	s_and_saveexec_b32 s41, vcc_lo
	s_xor_b32 s41, exec_lo, s41
	s_cbranch_execz .LBB4_5958
; %bb.5955:                             ;   in Loop: Header=BB4_4405 Depth=2
	v_bfe_u32 v15, v12, 2, 5
	s_mov_b32 s42, exec_lo
	s_delay_alu instid0(VALU_DEP_1)
	v_cmpx_eq_u32_e32 0, v15
; %bb.5956:                             ;   in Loop: Header=BB4_4405 Depth=2
	v_clz_i32_u32_e32 v15, v18
	s_delay_alu instid0(VALU_DEP_1) | instskip(NEXT) | instid1(VALU_DEP_1)
	v_min_u32_e32 v15, 32, v15
	v_subrev_nc_u32_e32 v18, 29, v15
	s_delay_alu instid0(VALU_DEP_1) | instskip(NEXT) | instid1(VALU_DEP_1)
	v_lshlrev_b64_e32 v[18:19], v18, v[12:13]
	v_dual_sub_nc_u32 v15, 30, v15 :: v_dual_bitop2_b32 v18, 3, v18 bitop3:0x40
; %bb.5957:                             ;   in Loop: Header=BB4_4405 Depth=2
	s_or_b32 exec_lo, exec_lo, s42
	v_lshlrev_b32_e32 v19, 24, v12
	s_delay_alu instid0(VALU_DEP_1) | instskip(NEXT) | instid1(VALU_DEP_1)
	v_and_b32_e32 v19, 0x80000000, v19
	v_lshl_add_u32 v15, v15, 23, v19
	s_delay_alu instid0(VALU_DEP_1) | instskip(NEXT) | instid1(VALU_DEP_1)
	v_lshl_or_b32 v15, v18, 21, v15
                                        ; implicit-def: $vgpr18
	v_add_nc_u32_e32 v15, 0x38000000, v15
.LBB4_5958:                             ;   in Loop: Header=BB4_4405 Depth=2
	s_and_not1_saveexec_b32 s41, s41
; %bb.5959:                             ;   in Loop: Header=BB4_4405 Depth=2
	v_cmp_lt_i16_e32 vcc_lo, -1, v10
	v_cndmask_b32_e32 v15, 0xff800000, v109, vcc_lo
	v_cmp_eq_u32_e32 vcc_lo, 0, v18
	s_delay_alu instid0(VALU_DEP_2)
	v_cndmask_b32_e32 v15, 0x7f800001, v15, vcc_lo
; %bb.5960:                             ;   in Loop: Header=BB4_4405 Depth=2
	s_or_b32 exec_lo, exec_lo, s41
.LBB4_5961:                             ;   in Loop: Header=BB4_4405 Depth=2
	s_delay_alu instid0(SALU_CYCLE_1)
	s_or_b32 exec_lo, exec_lo, s14
.LBB4_5962:                             ;   in Loop: Header=BB4_4405 Depth=2
	s_delay_alu instid0(SALU_CYCLE_1) | instskip(NEXT) | instid1(VALU_DEP_1)
	s_or_b32 exec_lo, exec_lo, s13
	v_dual_max_num_f32 v15, v15, v15 :: v_dual_max_num_f32 v14, v14, v14
	s_mov_b32 s13, 0
	s_delay_alu instid0(VALU_DEP_1)
	v_max_num_f32_e32 v14, v14, v15
.LBB4_5963:                             ;   in Loop: Header=BB4_4405 Depth=2
	s_and_b32 vcc_lo, exec_lo, s13
	s_cbranch_vccz .LBB4_5985
; %bb.5964:                             ;   in Loop: Header=BB4_4405 Depth=2
	v_dual_mov_b32 v15, 0 :: v_dual_mov_b32 v14, 0
	s_and_saveexec_b32 s13, s7
	s_cbranch_execz .LBB4_5974
; %bb.5965:                             ;   in Loop: Header=BB4_4405 Depth=2
	v_bfrev_b32_e32 v14, 1
	s_mov_b32 s7, exec_lo
	v_cmpx_ne_u16_e32 0xff80, v11
	s_cbranch_execz .LBB4_5973
; %bb.5966:                             ;   in Loop: Header=BB4_4405 Depth=2
	v_and_b32_e32 v14, 0x7c, v16
	v_and_b32_e32 v18, 3, v16
	s_delay_alu instid0(VALU_DEP_2) | instskip(SKIP_1) | instid1(SALU_CYCLE_1)
	v_cmp_ne_u32_e32 vcc_lo, 0x7c, v14
                                        ; implicit-def: $vgpr14
	s_and_saveexec_b32 s14, vcc_lo
	s_xor_b32 s14, exec_lo, s14
	s_cbranch_execz .LBB4_5970
; %bb.5967:                             ;   in Loop: Header=BB4_4405 Depth=2
	v_bfe_u32 v11, v16, 2, 5
	s_mov_b32 s41, exec_lo
	s_delay_alu instid0(VALU_DEP_1)
	v_cmpx_eq_u32_e32 0, v11
; %bb.5968:                             ;   in Loop: Header=BB4_4405 Depth=2
	v_clz_i32_u32_e32 v11, v18
	s_delay_alu instid0(VALU_DEP_1) | instskip(NEXT) | instid1(VALU_DEP_1)
	v_min_u32_e32 v11, 32, v11
	v_subrev_nc_u32_e32 v14, 29, v11
	s_delay_alu instid0(VALU_DEP_1) | instskip(NEXT) | instid1(VALU_DEP_1)
	v_lshlrev_b64_e32 v[18:19], v14, v[16:17]
	v_dual_sub_nc_u32 v11, 30, v11 :: v_dual_bitop2_b32 v18, 3, v18 bitop3:0x40
; %bb.5969:                             ;   in Loop: Header=BB4_4405 Depth=2
	s_or_b32 exec_lo, exec_lo, s41
	v_lshlrev_b32_e32 v14, 24, v16
	s_delay_alu instid0(VALU_DEP_1) | instskip(NEXT) | instid1(VALU_DEP_1)
	v_and_b32_e32 v14, 0x80000000, v14
	v_lshl_add_u32 v11, v11, 23, v14
	s_delay_alu instid0(VALU_DEP_1) | instskip(NEXT) | instid1(VALU_DEP_1)
	v_lshl_or_b32 v11, v18, 21, v11
                                        ; implicit-def: $vgpr18
	v_add_nc_u32_e32 v14, 0x38000000, v11
                                        ; implicit-def: $vgpr11
.LBB4_5970:                             ;   in Loop: Header=BB4_4405 Depth=2
	s_and_not1_saveexec_b32 s14, s14
; %bb.5971:                             ;   in Loop: Header=BB4_4405 Depth=2
	v_cmp_lt_i16_e32 vcc_lo, -1, v11
	v_cndmask_b32_e32 v11, 0xff800000, v109, vcc_lo
	v_cmp_eq_u32_e32 vcc_lo, 0, v18
	s_delay_alu instid0(VALU_DEP_2)
	v_cndmask_b32_e32 v14, 0x7f800001, v11, vcc_lo
; %bb.5972:                             ;   in Loop: Header=BB4_4405 Depth=2
	s_or_b32 exec_lo, exec_lo, s14
.LBB4_5973:                             ;   in Loop: Header=BB4_4405 Depth=2
	s_delay_alu instid0(SALU_CYCLE_1)
	s_or_b32 exec_lo, exec_lo, s7
.LBB4_5974:                             ;   in Loop: Header=BB4_4405 Depth=2
	s_delay_alu instid0(SALU_CYCLE_1) | instskip(NEXT) | instid1(SALU_CYCLE_1)
	s_or_b32 exec_lo, exec_lo, s13
	s_mov_b32 s7, exec_lo
	v_cmpx_ne_u16_e32 0, v10
	s_cbranch_execz .LBB4_5984
; %bb.5975:                             ;   in Loop: Header=BB4_4405 Depth=2
	v_bfrev_b32_e32 v15, 1
	s_mov_b32 s13, exec_lo
	v_cmpx_ne_u16_e32 0xff80, v10
	s_cbranch_execz .LBB4_5983
; %bb.5976:                             ;   in Loop: Header=BB4_4405 Depth=2
	v_and_b32_e32 v15, 0x7c, v12
	v_and_b32_e32 v11, 3, v12
	s_delay_alu instid0(VALU_DEP_2) | instskip(SKIP_1) | instid1(SALU_CYCLE_1)
	v_cmp_ne_u32_e32 vcc_lo, 0x7c, v15
                                        ; implicit-def: $vgpr15
	s_and_saveexec_b32 s14, vcc_lo
	s_xor_b32 s14, exec_lo, s14
	s_cbranch_execz .LBB4_5980
; %bb.5977:                             ;   in Loop: Header=BB4_4405 Depth=2
	v_bfe_u32 v10, v12, 2, 5
	s_mov_b32 s41, exec_lo
	s_delay_alu instid0(VALU_DEP_1)
	v_cmpx_eq_u32_e32 0, v10
; %bb.5978:                             ;   in Loop: Header=BB4_4405 Depth=2
	v_clz_i32_u32_e32 v10, v11
	s_delay_alu instid0(VALU_DEP_1) | instskip(NEXT) | instid1(VALU_DEP_1)
	v_min_u32_e32 v10, 32, v10
	v_subrev_nc_u32_e32 v11, 29, v10
	v_sub_nc_u32_e32 v10, 30, v10
	s_delay_alu instid0(VALU_DEP_2) | instskip(NEXT) | instid1(VALU_DEP_1)
	v_lshlrev_b64_e32 v[18:19], v11, v[12:13]
	v_and_b32_e32 v11, 3, v18
; %bb.5979:                             ;   in Loop: Header=BB4_4405 Depth=2
	s_or_b32 exec_lo, exec_lo, s41
	v_lshlrev_b32_e32 v15, 24, v12
	s_delay_alu instid0(VALU_DEP_1) | instskip(NEXT) | instid1(VALU_DEP_1)
	v_and_b32_e32 v15, 0x80000000, v15
	v_lshl_add_u32 v10, v10, 23, v15
	s_delay_alu instid0(VALU_DEP_1) | instskip(NEXT) | instid1(VALU_DEP_1)
	v_lshl_or_b32 v10, v11, 21, v10
                                        ; implicit-def: $vgpr11
	v_add_nc_u32_e32 v15, 0x38000000, v10
                                        ; implicit-def: $vgpr10
.LBB4_5980:                             ;   in Loop: Header=BB4_4405 Depth=2
	s_and_not1_saveexec_b32 s14, s14
; %bb.5981:                             ;   in Loop: Header=BB4_4405 Depth=2
	v_cmp_lt_i16_e32 vcc_lo, -1, v10
	v_cndmask_b32_e32 v10, 0xff800000, v109, vcc_lo
	v_cmp_eq_u32_e32 vcc_lo, 0, v11
	s_delay_alu instid0(VALU_DEP_2)
	v_cndmask_b32_e32 v15, 0x7f800001, v10, vcc_lo
; %bb.5982:                             ;   in Loop: Header=BB4_4405 Depth=2
	s_or_b32 exec_lo, exec_lo, s14
.LBB4_5983:                             ;   in Loop: Header=BB4_4405 Depth=2
	s_delay_alu instid0(SALU_CYCLE_1)
	s_or_b32 exec_lo, exec_lo, s13
.LBB4_5984:                             ;   in Loop: Header=BB4_4405 Depth=2
	s_delay_alu instid0(SALU_CYCLE_1) | instskip(NEXT) | instid1(VALU_DEP_1)
	s_or_b32 exec_lo, exec_lo, s7
	v_dual_max_num_f32 v10, v15, v15 :: v_dual_max_num_f32 v11, v14, v14
	s_delay_alu instid0(VALU_DEP_1)
	v_min_num_f32_e32 v14, v11, v10
.LBB4_5985:                             ;   in Loop: Header=BB4_4405 Depth=2
	s_delay_alu instid0(VALU_DEP_1) | instskip(SKIP_2) | instid1(VALU_DEP_2)
	v_and_b32_e32 v10, 0x7f800000, v14
	v_mov_b32_e32 v11, v53
	v_and_b32_e32 v52, 0x7fffff, v14
                                        ; implicit-def: $vgpr23
	v_cmp_ne_u64_e32 vcc_lo, 0x7f800000, v[10:11]
	v_lshrrev_b32_e32 v10, 24, v14
	s_and_saveexec_b32 s7, vcc_lo
	s_delay_alu instid0(SALU_CYCLE_1)
	s_xor_b32 s13, exec_lo, s7
	s_cbranch_execz .LBB4_5999
; %bb.5986:                             ;   in Loop: Header=BB4_4405 Depth=2
	v_and_b32_e32 v18, 0x7fffffff, v14
	v_mov_b32_e32 v19, v53
                                        ; implicit-def: $vgpr23
	s_delay_alu instid0(VALU_DEP_1) | instskip(SKIP_2) | instid1(SALU_CYCLE_1)
	v_cmp_gt_u64_e32 vcc_lo, 0x47600001, v[18:19]
	v_and_b32_e32 v18, 0x80, v10
	s_and_saveexec_b32 s7, vcc_lo
	s_xor_b32 s14, exec_lo, s7
	s_cbranch_execz .LBB4_5996
; %bb.5987:                             ;   in Loop: Header=BB4_4405 Depth=2
	v_mov_b32_e32 v23, 0
	s_mov_b32 s41, exec_lo
	v_cmpx_ne_u32_e32 0, v14
	s_cbranch_execz .LBB4_5995
; %bb.5988:                             ;   in Loop: Header=BB4_4405 Depth=2
	v_bfe_u32 v19, v14, 23, 8
	v_or_b32_e32 v14, 0x800000, v52
	s_delay_alu instid0(VALU_DEP_2) | instskip(SKIP_1) | instid1(VALU_DEP_2)
	v_sub_nc_u32_e32 v10, 0x71, v19
	v_cmp_gt_u32_e32 vcc_lo, 0x72, v19
	v_cndmask_b32_e32 v10, 0, v10, vcc_lo
	v_cmp_eq_u32_e32 vcc_lo, 0, v19
	s_delay_alu instid0(VALU_DEP_2) | instskip(NEXT) | instid1(VALU_DEP_1)
	v_cndmask_b32_e64 v23, v10, 0x70, vcc_lo
	v_dual_cndmask_b32 v52, v14, v52, vcc_lo :: v_dual_add_nc_u32 v10, 21, v23
	v_add_nc_u32_e32 v15, 20, v23
	s_delay_alu instid0(VALU_DEP_2) | instskip(NEXT) | instid1(VALU_DEP_2)
	v_lshlrev_b64_e64 v[10:11], v10, -1
	v_lshlrev_b64_e64 v[14:15], v15, 1
	s_delay_alu instid0(VALU_DEP_2) | instskip(NEXT) | instid1(VALU_DEP_3)
	v_bfi_b32 v57, v11, 0, 0
	v_bfi_b32 v56, v10, 0, v52
	v_lshrrev_b64 v[10:11], v23, v[52:53]
	s_delay_alu instid0(VALU_DEP_2) | instskip(NEXT) | instid1(VALU_DEP_2)
	v_cmp_eq_u64_e64 s7, v[56:57], v[14:15]
	v_mov_b64_e32 v[14:15], v[10:11]
	s_and_saveexec_b32 s42, s7
; %bb.5989:                             ;   in Loop: Header=BB4_4405 Depth=2
	v_bfe_u32 v52, v10, 21, 1
	s_delay_alu instid0(VALU_DEP_1) | instskip(NEXT) | instid1(VALU_DEP_1)
	v_add_nc_u64_e32 v[14:15], v[10:11], v[52:53]
	v_add_nc_u64_e32 v[14:15], -1, v[14:15]
; %bb.5990:                             ;   in Loop: Header=BB4_4405 Depth=2
	s_or_b32 exec_lo, exec_lo, s42
	v_add_nc_u32_e32 v11, 0xffffff81, v19
	v_lshrrev_b32_e32 v15, 23, v10
	s_mov_b32 s7, exec_lo
	s_delay_alu instid0(VALU_DEP_2) | instskip(NEXT) | instid1(VALU_DEP_1)
	v_cndmask_b32_e64 v11, v11, 0xffffff82, vcc_lo
	v_add3_u32 v15, v23, v11, v15
	v_and_b32_e32 v11, 0x1fffff, v14
                                        ; implicit-def: $vgpr14
	s_delay_alu instid0(VALU_DEP_1) | instskip(NEXT) | instid1(VALU_DEP_1)
	v_dual_add_nc_u32 v19, 14, v15 :: v_dual_add_nc_u32 v52, v11, v10
                                        ; implicit-def: $vgpr10_vgpr11
	v_cmpx_ne_u32_e32 0, v19
	s_xor_b32 s7, exec_lo, s7
; %bb.5991:                             ;   in Loop: Header=BB4_4405 Depth=2
	s_delay_alu instid0(VALU_DEP_2) | instskip(SKIP_1) | instid1(VALU_DEP_1)
	v_cmp_lt_u64_e32 vcc_lo, 0xffffff, v[52:53]
	v_add_nc_u32_e32 v10, 15, v15
	v_cndmask_b32_e32 v14, v19, v10, vcc_lo
	v_cndmask_b32_e64 v10, 0, 1, vcc_lo
	s_delay_alu instid0(VALU_DEP_1)
	v_lshrrev_b64 v[10:11], v10, v[52:53]
; %bb.5992:                             ;   in Loop: Header=BB4_4405 Depth=2
	s_and_not1_saveexec_b32 s7, s7
; %bb.5993:                             ;   in Loop: Header=BB4_4405 Depth=2
	v_mov_b64_e32 v[10:11], v[52:53]
	v_bfe_u32 v14, v52, 23, 1
; %bb.5994:                             ;   in Loop: Header=BB4_4405 Depth=2
	s_or_b32 exec_lo, exec_lo, s7
	s_delay_alu instid0(VALU_DEP_2) | instskip(NEXT) | instid1(VALU_DEP_2)
	v_lshrrev_b64 v[10:11], 21, v[10:11]
	v_cmp_gt_i32_e32 vcc_lo, 32, v14
	v_min_i32_e32 v15, 31, v14
	v_cmp_eq_u32_e64 s7, 0, v14
	s_delay_alu instid0(VALU_DEP_4) | instskip(NEXT) | instid1(VALU_DEP_3)
	v_cndmask_b32_e32 v11, 0, v11, vcc_lo
	v_dual_cndmask_b32 v10, 3, v10 :: v_dual_lshlrev_b32 v15, 2, v15
	s_delay_alu instid0(VALU_DEP_1) | instskip(NEXT) | instid1(VALU_DEP_2)
	v_and_b32_e32 v15, 0xfc, v15
	v_cmp_eq_u64_e32 vcc_lo, 0, v[10:11]
	s_delay_alu instid0(VALU_DEP_2)
	v_and_or_b32 v10, v10, 3, v15
	s_and_b32 s7, s7, vcc_lo
	s_delay_alu instid0(VALU_DEP_1) | instid1(SALU_CYCLE_1)
	v_cndmask_b32_e64 v10, v10, 0, s7
	s_delay_alu instid0(VALU_DEP_1)
	v_or_b32_e32 v23, v10, v18
.LBB4_5995:                             ;   in Loop: Header=BB4_4405 Depth=2
	s_or_b32 exec_lo, exec_lo, s41
                                        ; implicit-def: $vgpr18
.LBB4_5996:                             ;   in Loop: Header=BB4_4405 Depth=2
	s_and_not1_saveexec_b32 s7, s14
; %bb.5997:                             ;   in Loop: Header=BB4_4405 Depth=2
	v_or_b32_e32 v23, 0x7b, v18
; %bb.5998:                             ;   in Loop: Header=BB4_4405 Depth=2
	s_or_b32 exec_lo, exec_lo, s7
                                        ; implicit-def: $vgpr14
                                        ; implicit-def: $vgpr10
.LBB4_5999:                             ;   in Loop: Header=BB4_4405 Depth=2
	s_and_not1_saveexec_b32 s7, s13
	s_cbranch_execz .LBB4_6005
; %bb.6000:                             ;   in Loop: Header=BB4_4405 Depth=2
	s_mov_b32 s13, exec_lo
                                        ; implicit-def: $vgpr23
	v_cmpx_ne_u64_e32 0, v[52:53]
	s_xor_b32 s13, exec_lo, s13
; %bb.6001:                             ;   in Loop: Header=BB4_4405 Depth=2
	v_or_b32_e32 v23, 0x7f, v10
                                        ; implicit-def: $vgpr14
; %bb.6002:                             ;   in Loop: Header=BB4_4405 Depth=2
	s_and_not1_saveexec_b32 s13, s13
; %bb.6003:                             ;   in Loop: Header=BB4_4405 Depth=2
	v_cmp_lt_i32_e32 vcc_lo, -1, v14
	v_cndmask_b32_e32 v23, 0xfc, v110, vcc_lo
; %bb.6004:                             ;   in Loop: Header=BB4_4405 Depth=2
	s_or_b32 exec_lo, exec_lo, s13
.LBB4_6005:                             ;   in Loop: Header=BB4_4405 Depth=2
	s_delay_alu instid0(SALU_CYCLE_1) | instskip(SKIP_4) | instid1(VALU_DEP_2)
	s_or_b32 exec_lo, exec_lo, s7
	v_lshrrev_b16 v52, 8, v16
	v_lshrrev_b16 v10, 8, v12
	s_and_not1_b32 vcc_lo, exec_lo, s12
	s_mov_b32 s13, -1
                                        ; implicit-def: $vgpr11
	v_and_b32_e32 v14, 0xffff, v52
	v_cmp_ne_u16_e64 s7, 0, v52
	s_cbranch_vccnz .LBB4_6027
; %bb.6006:                             ;   in Loop: Header=BB4_4405 Depth=2
	v_dual_mov_b32 v11, 0 :: v_dual_mov_b32 v15, 0
	s_and_saveexec_b32 s13, s7
	s_cbranch_execz .LBB4_6016
; %bb.6007:                             ;   in Loop: Header=BB4_4405 Depth=2
	v_bfrev_b32_e32 v15, 1
	s_mov_b32 s14, exec_lo
	v_cmpx_ne_u16_e32 0x80, v52
	s_cbranch_execz .LBB4_6015
; %bb.6008:                             ;   in Loop: Header=BB4_4405 Depth=2
	v_and_b32_e32 v15, 0x7c, v14
	v_and_b32_e32 v18, 3, v14
	s_delay_alu instid0(VALU_DEP_2) | instskip(SKIP_1) | instid1(SALU_CYCLE_1)
	v_cmp_ne_u32_e32 vcc_lo, 0x7c, v15
                                        ; implicit-def: $vgpr15
	s_and_saveexec_b32 s41, vcc_lo
	s_xor_b32 s41, exec_lo, s41
	s_cbranch_execz .LBB4_6012
; %bb.6009:                             ;   in Loop: Header=BB4_4405 Depth=2
	v_bfe_u32 v15, v14, 2, 5
	s_mov_b32 s42, exec_lo
	s_delay_alu instid0(VALU_DEP_1)
	v_cmpx_eq_u32_e32 0, v15
; %bb.6010:                             ;   in Loop: Header=BB4_4405 Depth=2
	v_clz_i32_u32_e32 v15, v18
	s_delay_alu instid0(VALU_DEP_1) | instskip(NEXT) | instid1(VALU_DEP_1)
	v_min_u32_e32 v15, 32, v15
	v_subrev_nc_u32_e32 v18, 29, v15
	s_delay_alu instid0(VALU_DEP_1) | instskip(NEXT) | instid1(VALU_DEP_1)
	v_lshlrev_b64_e32 v[18:19], v18, v[52:53]
	v_dual_sub_nc_u32 v15, 30, v15 :: v_dual_bitop2_b32 v18, 3, v18 bitop3:0x40
; %bb.6011:                             ;   in Loop: Header=BB4_4405 Depth=2
	s_or_b32 exec_lo, exec_lo, s42
	v_lshlrev_b32_e32 v19, 16, v16
	s_delay_alu instid0(VALU_DEP_1) | instskip(NEXT) | instid1(VALU_DEP_1)
	v_and_b32_e32 v19, 0x80000000, v19
	v_lshl_add_u32 v15, v15, 23, v19
	s_delay_alu instid0(VALU_DEP_1) | instskip(NEXT) | instid1(VALU_DEP_1)
	v_lshl_or_b32 v15, v18, 21, v15
                                        ; implicit-def: $vgpr18
	v_add_nc_u32_e32 v15, 0x38000000, v15
.LBB4_6012:                             ;   in Loop: Header=BB4_4405 Depth=2
	s_and_not1_saveexec_b32 s41, s41
; %bb.6013:                             ;   in Loop: Header=BB4_4405 Depth=2
	v_cmp_lt_i16_e32 vcc_lo, -1, v16
	v_cndmask_b32_e32 v15, 0xff800000, v109, vcc_lo
	v_cmp_eq_u32_e32 vcc_lo, 0, v18
	s_delay_alu instid0(VALU_DEP_2)
	v_cndmask_b32_e32 v15, 0x7f800001, v15, vcc_lo
; %bb.6014:                             ;   in Loop: Header=BB4_4405 Depth=2
	s_or_b32 exec_lo, exec_lo, s41
.LBB4_6015:                             ;   in Loop: Header=BB4_4405 Depth=2
	s_delay_alu instid0(SALU_CYCLE_1)
	s_or_b32 exec_lo, exec_lo, s14
.LBB4_6016:                             ;   in Loop: Header=BB4_4405 Depth=2
	s_delay_alu instid0(SALU_CYCLE_1) | instskip(NEXT) | instid1(SALU_CYCLE_1)
	s_or_b32 exec_lo, exec_lo, s13
	s_mov_b32 s13, exec_lo
	v_cmpx_ne_u16_e32 0, v10
	s_cbranch_execz .LBB4_6026
; %bb.6017:                             ;   in Loop: Header=BB4_4405 Depth=2
	v_bfrev_b32_e32 v11, 1
	s_mov_b32 s14, exec_lo
	v_cmpx_ne_u16_e32 0x80, v10
	s_cbranch_execz .LBB4_6025
; %bb.6018:                             ;   in Loop: Header=BB4_4405 Depth=2
	v_and_b32_e32 v19, 0xffff, v10
	s_delay_alu instid0(VALU_DEP_1) | instskip(SKIP_1) | instid1(VALU_DEP_2)
	v_and_b32_e32 v11, 0x7c, v19
	v_and_b32_e32 v18, 3, v19
	v_cmp_ne_u32_e32 vcc_lo, 0x7c, v11
                                        ; implicit-def: $vgpr11
	s_and_saveexec_b32 s41, vcc_lo
	s_delay_alu instid0(SALU_CYCLE_1)
	s_xor_b32 s41, exec_lo, s41
	s_cbranch_execz .LBB4_6022
; %bb.6019:                             ;   in Loop: Header=BB4_4405 Depth=2
	v_bfe_u32 v11, v19, 2, 5
	s_mov_b32 s42, exec_lo
	s_delay_alu instid0(VALU_DEP_1)
	v_cmpx_eq_u32_e32 0, v11
; %bb.6020:                             ;   in Loop: Header=BB4_4405 Depth=2
	v_clz_i32_u32_e32 v11, v18
	s_delay_alu instid0(VALU_DEP_1) | instskip(SKIP_1) | instid1(VALU_DEP_2)
	v_min_u32_e32 v47, 32, v11
	v_mov_b32_e32 v11, v53
	v_subrev_nc_u32_e32 v18, 29, v47
	s_delay_alu instid0(VALU_DEP_1) | instskip(NEXT) | instid1(VALU_DEP_1)
	v_lshlrev_b64_e32 v[18:19], v18, v[10:11]
	v_dual_sub_nc_u32 v11, 30, v47 :: v_dual_bitop2_b32 v18, 3, v18 bitop3:0x40
; %bb.6021:                             ;   in Loop: Header=BB4_4405 Depth=2
	s_or_b32 exec_lo, exec_lo, s42
	v_lshlrev_b32_e32 v19, 16, v12
	s_delay_alu instid0(VALU_DEP_1) | instskip(NEXT) | instid1(VALU_DEP_1)
	v_and_b32_e32 v19, 0x80000000, v19
	v_lshl_add_u32 v11, v11, 23, v19
	s_delay_alu instid0(VALU_DEP_1) | instskip(NEXT) | instid1(VALU_DEP_1)
	v_lshl_or_b32 v11, v18, 21, v11
                                        ; implicit-def: $vgpr18
	v_add_nc_u32_e32 v11, 0x38000000, v11
.LBB4_6022:                             ;   in Loop: Header=BB4_4405 Depth=2
	s_and_not1_saveexec_b32 s41, s41
; %bb.6023:                             ;   in Loop: Header=BB4_4405 Depth=2
	v_cmp_lt_i16_e32 vcc_lo, -1, v12
	v_cndmask_b32_e32 v11, 0xff800000, v109, vcc_lo
	v_cmp_eq_u32_e32 vcc_lo, 0, v18
	s_delay_alu instid0(VALU_DEP_2)
	v_cndmask_b32_e32 v11, 0x7f800001, v11, vcc_lo
; %bb.6024:                             ;   in Loop: Header=BB4_4405 Depth=2
	s_or_b32 exec_lo, exec_lo, s41
.LBB4_6025:                             ;   in Loop: Header=BB4_4405 Depth=2
	s_delay_alu instid0(SALU_CYCLE_1)
	s_or_b32 exec_lo, exec_lo, s14
.LBB4_6026:                             ;   in Loop: Header=BB4_4405 Depth=2
	s_delay_alu instid0(SALU_CYCLE_1) | instskip(NEXT) | instid1(VALU_DEP_1)
	s_or_b32 exec_lo, exec_lo, s13
	v_max_num_f32_e32 v11, v11, v11
	v_max_num_f32_e32 v15, v15, v15
	s_mov_b32 s13, 0
	s_delay_alu instid0(VALU_DEP_1)
	v_max_num_f32_e32 v11, v15, v11
.LBB4_6027:                             ;   in Loop: Header=BB4_4405 Depth=2
	s_and_b32 vcc_lo, exec_lo, s13
	s_cbranch_vccz .LBB4_6049
; %bb.6028:                             ;   in Loop: Header=BB4_4405 Depth=2
	v_dual_mov_b32 v11, 0 :: v_dual_mov_b32 v15, 0
	s_and_saveexec_b32 s13, s7
	s_cbranch_execz .LBB4_6038
; %bb.6029:                             ;   in Loop: Header=BB4_4405 Depth=2
	v_bfrev_b32_e32 v15, 1
	s_mov_b32 s7, exec_lo
	v_cmpx_ne_u16_e32 0x80, v52
	s_cbranch_execz .LBB4_6037
; %bb.6030:                             ;   in Loop: Header=BB4_4405 Depth=2
	v_and_b32_e32 v15, 0x7c, v14
	v_and_b32_e32 v18, 3, v14
	s_delay_alu instid0(VALU_DEP_2) | instskip(SKIP_1) | instid1(SALU_CYCLE_1)
	v_cmp_ne_u32_e32 vcc_lo, 0x7c, v15
                                        ; implicit-def: $vgpr15
	s_and_saveexec_b32 s14, vcc_lo
	s_xor_b32 s14, exec_lo, s14
	s_cbranch_execz .LBB4_6034
; %bb.6031:                             ;   in Loop: Header=BB4_4405 Depth=2
	v_bfe_u32 v14, v14, 2, 5
	s_mov_b32 s41, exec_lo
	s_delay_alu instid0(VALU_DEP_1)
	v_cmpx_eq_u32_e32 0, v14
; %bb.6032:                             ;   in Loop: Header=BB4_4405 Depth=2
	v_clz_i32_u32_e32 v14, v18
	s_delay_alu instid0(VALU_DEP_1) | instskip(NEXT) | instid1(VALU_DEP_1)
	v_min_u32_e32 v14, 32, v14
	v_subrev_nc_u32_e32 v15, 29, v14
	v_sub_nc_u32_e32 v14, 30, v14
	s_delay_alu instid0(VALU_DEP_2) | instskip(NEXT) | instid1(VALU_DEP_1)
	v_lshlrev_b64_e32 v[18:19], v15, v[52:53]
	v_and_b32_e32 v18, 3, v18
; %bb.6033:                             ;   in Loop: Header=BB4_4405 Depth=2
	s_or_b32 exec_lo, exec_lo, s41
	v_lshlrev_b32_e32 v15, 16, v16
	s_delay_alu instid0(VALU_DEP_1) | instskip(NEXT) | instid1(VALU_DEP_1)
	v_and_b32_e32 v15, 0x80000000, v15
	v_lshl_add_u32 v14, v14, 23, v15
	s_delay_alu instid0(VALU_DEP_1) | instskip(NEXT) | instid1(VALU_DEP_1)
	v_lshl_or_b32 v14, v18, 21, v14
                                        ; implicit-def: $vgpr18
	v_add_nc_u32_e32 v15, 0x38000000, v14
.LBB4_6034:                             ;   in Loop: Header=BB4_4405 Depth=2
	s_and_not1_saveexec_b32 s14, s14
; %bb.6035:                             ;   in Loop: Header=BB4_4405 Depth=2
	v_cmp_lt_i16_e32 vcc_lo, -1, v16
	v_cndmask_b32_e32 v14, 0xff800000, v109, vcc_lo
	v_cmp_eq_u32_e32 vcc_lo, 0, v18
	s_delay_alu instid0(VALU_DEP_2)
	v_cndmask_b32_e32 v15, 0x7f800001, v14, vcc_lo
; %bb.6036:                             ;   in Loop: Header=BB4_4405 Depth=2
	s_or_b32 exec_lo, exec_lo, s14
.LBB4_6037:                             ;   in Loop: Header=BB4_4405 Depth=2
	s_delay_alu instid0(SALU_CYCLE_1)
	s_or_b32 exec_lo, exec_lo, s7
.LBB4_6038:                             ;   in Loop: Header=BB4_4405 Depth=2
	s_delay_alu instid0(SALU_CYCLE_1) | instskip(NEXT) | instid1(SALU_CYCLE_1)
	s_or_b32 exec_lo, exec_lo, s13
	s_mov_b32 s7, exec_lo
	v_cmpx_ne_u16_e32 0, v10
	s_cbranch_execz .LBB4_6048
; %bb.6039:                             ;   in Loop: Header=BB4_4405 Depth=2
	v_bfrev_b32_e32 v11, 1
	s_mov_b32 s13, exec_lo
	v_cmpx_ne_u16_e32 0x80, v10
	s_cbranch_execz .LBB4_6047
; %bb.6040:                             ;   in Loop: Header=BB4_4405 Depth=2
	v_and_b32_e32 v18, 0xffff, v10
	s_delay_alu instid0(VALU_DEP_1) | instskip(SKIP_1) | instid1(VALU_DEP_2)
	v_and_b32_e32 v11, 0x7c, v18
	v_and_b32_e32 v14, 3, v18
	v_cmp_ne_u32_e32 vcc_lo, 0x7c, v11
                                        ; implicit-def: $vgpr11
	s_and_saveexec_b32 s14, vcc_lo
	s_delay_alu instid0(SALU_CYCLE_1)
	s_xor_b32 s14, exec_lo, s14
	s_cbranch_execz .LBB4_6044
; %bb.6041:                             ;   in Loop: Header=BB4_4405 Depth=2
	v_bfe_u32 v11, v18, 2, 5
	s_mov_b32 s41, exec_lo
	s_delay_alu instid0(VALU_DEP_1)
	v_cmpx_eq_u32_e32 0, v11
	s_cbranch_execz .LBB4_6043
; %bb.6042:                             ;   in Loop: Header=BB4_4405 Depth=2
	v_clz_i32_u32_e32 v11, v14
	s_delay_alu instid0(VALU_DEP_1) | instskip(SKIP_1) | instid1(VALU_DEP_2)
	v_min_u32_e32 v14, 32, v11
	v_mov_b32_e32 v11, v53
	v_subrev_nc_u32_e32 v18, 29, v14
	s_delay_alu instid0(VALU_DEP_1) | instskip(SKIP_1) | instid1(VALU_DEP_2)
	v_lshlrev_b64_e32 v[10:11], v18, v[10:11]
	v_sub_nc_u32_e32 v11, 30, v14
	v_and_b32_e32 v14, 3, v10
.LBB4_6043:                             ;   in Loop: Header=BB4_4405 Depth=2
	s_or_b32 exec_lo, exec_lo, s41
	v_lshlrev_b32_e32 v10, 16, v12
	s_delay_alu instid0(VALU_DEP_1) | instskip(NEXT) | instid1(VALU_DEP_1)
	v_and_b32_e32 v10, 0x80000000, v10
	v_lshl_add_u32 v10, v11, 23, v10
	s_delay_alu instid0(VALU_DEP_1) | instskip(NEXT) | instid1(VALU_DEP_1)
	v_lshl_or_b32 v10, v14, 21, v10
                                        ; implicit-def: $vgpr14
	v_add_nc_u32_e32 v11, 0x38000000, v10
.LBB4_6044:                             ;   in Loop: Header=BB4_4405 Depth=2
	s_and_not1_saveexec_b32 s14, s14
; %bb.6045:                             ;   in Loop: Header=BB4_4405 Depth=2
	v_cmp_lt_i16_e32 vcc_lo, -1, v12
	v_cndmask_b32_e32 v10, 0xff800000, v109, vcc_lo
	v_cmp_eq_u32_e32 vcc_lo, 0, v14
	s_delay_alu instid0(VALU_DEP_2)
	v_cndmask_b32_e32 v11, 0x7f800001, v10, vcc_lo
; %bb.6046:                             ;   in Loop: Header=BB4_4405 Depth=2
	s_or_b32 exec_lo, exec_lo, s14
.LBB4_6047:                             ;   in Loop: Header=BB4_4405 Depth=2
	s_delay_alu instid0(SALU_CYCLE_1)
	s_or_b32 exec_lo, exec_lo, s13
.LBB4_6048:                             ;   in Loop: Header=BB4_4405 Depth=2
	s_delay_alu instid0(SALU_CYCLE_1) | instskip(NEXT) | instid1(VALU_DEP_1)
	s_or_b32 exec_lo, exec_lo, s7
	v_max_num_f32_e32 v10, v11, v11
	v_max_num_f32_e32 v11, v15, v15
	s_delay_alu instid0(VALU_DEP_1)
	v_min_num_f32_e32 v11, v11, v10
.LBB4_6049:                             ;   in Loop: Header=BB4_4405 Depth=2
	s_delay_alu instid0(VALU_DEP_1) | instskip(SKIP_3) | instid1(VALU_DEP_2)
	v_and_b32_e32 v14, 0x7f800000, v11
	v_dual_mov_b32 v15, v53 :: v_dual_lshrrev_b32 v10, 24, v11
	v_and_b32_e32 v52, 0x7fffff, v11
                                        ; implicit-def: $vgpr47
	s_mov_b32 s7, exec_lo
	v_cmpx_ne_u64_e32 0x7f800000, v[14:15]
	s_xor_b32 s13, exec_lo, s7
	s_cbranch_execz .LBB4_6063
; %bb.6050:                             ;   in Loop: Header=BB4_4405 Depth=2
	v_and_b32_e32 v14, 0x7fffffff, v11
	v_mov_b32_e32 v15, v53
	v_and_b32_e32 v18, 0x80, v10
                                        ; implicit-def: $vgpr47
	s_mov_b32 s7, exec_lo
	s_delay_alu instid0(VALU_DEP_2)
	v_cmpx_gt_u64_e32 0x47600001, v[14:15]
	s_xor_b32 s14, exec_lo, s7
	s_cbranch_execz .LBB4_6060
; %bb.6051:                             ;   in Loop: Header=BB4_4405 Depth=2
	v_mov_b32_e32 v47, 0
	s_mov_b32 s41, exec_lo
	v_cmpx_ne_u32_e32 0, v11
	s_cbranch_execz .LBB4_6059
; %bb.6052:                             ;   in Loop: Header=BB4_4405 Depth=2
	v_bfe_u32 v19, v11, 23, 8
	v_or_b32_e32 v14, 0x800000, v52
	s_delay_alu instid0(VALU_DEP_2) | instskip(SKIP_1) | instid1(VALU_DEP_2)
	v_sub_nc_u32_e32 v10, 0x71, v19
	v_cmp_gt_u32_e32 vcc_lo, 0x72, v19
	v_cndmask_b32_e32 v10, 0, v10, vcc_lo
	v_cmp_eq_u32_e32 vcc_lo, 0, v19
	s_delay_alu instid0(VALU_DEP_2) | instskip(NEXT) | instid1(VALU_DEP_1)
	v_cndmask_b32_e64 v47, v10, 0x70, vcc_lo
	v_dual_cndmask_b32 v52, v14, v52, vcc_lo :: v_dual_add_nc_u32 v10, 21, v47
	v_add_nc_u32_e32 v15, 20, v47
	s_delay_alu instid0(VALU_DEP_2) | instskip(NEXT) | instid1(VALU_DEP_2)
	v_lshlrev_b64_e64 v[10:11], v10, -1
	v_lshlrev_b64_e64 v[14:15], v15, 1
	s_delay_alu instid0(VALU_DEP_2) | instskip(NEXT) | instid1(VALU_DEP_3)
	v_bfi_b32 v57, v11, 0, 0
	v_bfi_b32 v56, v10, 0, v52
	v_lshrrev_b64 v[10:11], v47, v[52:53]
	s_delay_alu instid0(VALU_DEP_2) | instskip(NEXT) | instid1(VALU_DEP_2)
	v_cmp_eq_u64_e64 s7, v[56:57], v[14:15]
	v_mov_b64_e32 v[14:15], v[10:11]
	s_and_saveexec_b32 s42, s7
; %bb.6053:                             ;   in Loop: Header=BB4_4405 Depth=2
	v_bfe_u32 v52, v10, 21, 1
	s_delay_alu instid0(VALU_DEP_1) | instskip(NEXT) | instid1(VALU_DEP_1)
	v_add_nc_u64_e32 v[14:15], v[10:11], v[52:53]
	v_add_nc_u64_e32 v[14:15], -1, v[14:15]
; %bb.6054:                             ;   in Loop: Header=BB4_4405 Depth=2
	s_or_b32 exec_lo, exec_lo, s42
	v_add_nc_u32_e32 v11, 0xffffff81, v19
	v_lshrrev_b32_e32 v15, 23, v10
	s_mov_b32 s7, exec_lo
	s_delay_alu instid0(VALU_DEP_2) | instskip(NEXT) | instid1(VALU_DEP_1)
	v_cndmask_b32_e64 v11, v11, 0xffffff82, vcc_lo
	v_add3_u32 v15, v47, v11, v15
	v_and_b32_e32 v11, 0x1fffff, v14
                                        ; implicit-def: $vgpr14
	s_delay_alu instid0(VALU_DEP_1) | instskip(NEXT) | instid1(VALU_DEP_1)
	v_dual_add_nc_u32 v19, 14, v15 :: v_dual_add_nc_u32 v52, v11, v10
                                        ; implicit-def: $vgpr10_vgpr11
	v_cmpx_ne_u32_e32 0, v19
	s_xor_b32 s7, exec_lo, s7
; %bb.6055:                             ;   in Loop: Header=BB4_4405 Depth=2
	s_delay_alu instid0(VALU_DEP_2) | instskip(SKIP_1) | instid1(VALU_DEP_1)
	v_cmp_lt_u64_e32 vcc_lo, 0xffffff, v[52:53]
	v_add_nc_u32_e32 v10, 15, v15
	v_cndmask_b32_e32 v14, v19, v10, vcc_lo
	v_cndmask_b32_e64 v10, 0, 1, vcc_lo
	s_delay_alu instid0(VALU_DEP_1)
	v_lshrrev_b64 v[10:11], v10, v[52:53]
; %bb.6056:                             ;   in Loop: Header=BB4_4405 Depth=2
	s_and_not1_saveexec_b32 s7, s7
; %bb.6057:                             ;   in Loop: Header=BB4_4405 Depth=2
	v_mov_b64_e32 v[10:11], v[52:53]
	v_bfe_u32 v14, v52, 23, 1
; %bb.6058:                             ;   in Loop: Header=BB4_4405 Depth=2
	s_or_b32 exec_lo, exec_lo, s7
	s_delay_alu instid0(VALU_DEP_2) | instskip(NEXT) | instid1(VALU_DEP_2)
	v_lshrrev_b64 v[10:11], 21, v[10:11]
	v_cmp_gt_i32_e32 vcc_lo, 32, v14
	v_min_i32_e32 v15, 31, v14
	v_cmp_eq_u32_e64 s7, 0, v14
	s_delay_alu instid0(VALU_DEP_4) | instskip(NEXT) | instid1(VALU_DEP_3)
	v_cndmask_b32_e32 v11, 0, v11, vcc_lo
	v_dual_cndmask_b32 v10, 3, v10 :: v_dual_lshlrev_b32 v15, 2, v15
	s_delay_alu instid0(VALU_DEP_1) | instskip(NEXT) | instid1(VALU_DEP_2)
	v_and_b32_e32 v15, 0xfc, v15
	v_cmp_eq_u64_e32 vcc_lo, 0, v[10:11]
	s_delay_alu instid0(VALU_DEP_2)
	v_and_or_b32 v10, v10, 3, v15
	s_and_b32 s7, s7, vcc_lo
	s_delay_alu instid0(VALU_DEP_1) | instid1(SALU_CYCLE_1)
	v_cndmask_b32_e64 v10, v10, 0, s7
	s_delay_alu instid0(VALU_DEP_1)
	v_or_b32_e32 v47, v10, v18
.LBB4_6059:                             ;   in Loop: Header=BB4_4405 Depth=2
	s_or_b32 exec_lo, exec_lo, s41
                                        ; implicit-def: $vgpr18
.LBB4_6060:                             ;   in Loop: Header=BB4_4405 Depth=2
	s_and_not1_saveexec_b32 s7, s14
; %bb.6061:                             ;   in Loop: Header=BB4_4405 Depth=2
	v_or_b32_e32 v47, 0x7b, v18
; %bb.6062:                             ;   in Loop: Header=BB4_4405 Depth=2
	s_or_b32 exec_lo, exec_lo, s7
                                        ; implicit-def: $vgpr11
                                        ; implicit-def: $vgpr10
.LBB4_6063:                             ;   in Loop: Header=BB4_4405 Depth=2
	s_and_not1_saveexec_b32 s7, s13
	s_cbranch_execz .LBB4_6069
; %bb.6064:                             ;   in Loop: Header=BB4_4405 Depth=2
	s_mov_b32 s13, exec_lo
                                        ; implicit-def: $vgpr47
	v_cmpx_ne_u64_e32 0, v[52:53]
	s_xor_b32 s13, exec_lo, s13
; %bb.6065:                             ;   in Loop: Header=BB4_4405 Depth=2
	v_or_b32_e32 v47, 0x7f, v10
                                        ; implicit-def: $vgpr11
; %bb.6066:                             ;   in Loop: Header=BB4_4405 Depth=2
	s_and_not1_saveexec_b32 s13, s13
; %bb.6067:                             ;   in Loop: Header=BB4_4405 Depth=2
	v_cmp_lt_i32_e32 vcc_lo, -1, v11
	v_cndmask_b32_e32 v47, 0xfc, v110, vcc_lo
; %bb.6068:                             ;   in Loop: Header=BB4_4405 Depth=2
	s_or_b32 exec_lo, exec_lo, s13
.LBB4_6069:                             ;   in Loop: Header=BB4_4405 Depth=2
	s_delay_alu instid0(SALU_CYCLE_1) | instskip(SKIP_4) | instid1(VALU_DEP_2)
	s_or_b32 exec_lo, exec_lo, s7
	v_lshrrev_b32_e32 v14, 16, v16
	v_lshrrev_b32_e32 v10, 16, v12
	s_and_not1_b32 vcc_lo, exec_lo, s12
	s_mov_b32 s13, -1
                                        ; implicit-def: $vgpr15
	v_and_b32_e32 v11, 0xff, v14
	s_delay_alu instid0(VALU_DEP_1)
	v_cmp_ne_u16_e64 s7, 0, v11
	s_cbranch_vccnz .LBB4_6091
; %bb.6070:                             ;   in Loop: Header=BB4_4405 Depth=2
	v_dual_mov_b32 v18, 0 :: v_dual_mov_b32 v15, 0
	s_and_saveexec_b32 s13, s7
	s_cbranch_execz .LBB4_6080
; %bb.6071:                             ;   in Loop: Header=BB4_4405 Depth=2
	v_bfrev_b32_e32 v15, 1
	s_mov_b32 s14, exec_lo
	v_cmpx_ne_u16_e32 0x80, v11
	s_cbranch_execz .LBB4_6079
; %bb.6072:                             ;   in Loop: Header=BB4_4405 Depth=2
	v_and_b32_e32 v15, 0x7c0000, v16
	v_bfe_u32 v19, v16, 16, 2
	s_delay_alu instid0(VALU_DEP_2) | instskip(SKIP_1) | instid1(SALU_CYCLE_1)
	v_cmp_ne_u32_e32 vcc_lo, 0x7c0000, v15
                                        ; implicit-def: $vgpr15
	s_and_saveexec_b32 s41, vcc_lo
	s_xor_b32 s41, exec_lo, s41
	s_cbranch_execz .LBB4_6076
; %bb.6073:                             ;   in Loop: Header=BB4_4405 Depth=2
	v_bfe_u32 v15, v16, 18, 5
	s_mov_b32 s42, exec_lo
	s_delay_alu instid0(VALU_DEP_1)
	v_cmpx_eq_u32_e32 0, v15
; %bb.6074:                             ;   in Loop: Header=BB4_4405 Depth=2
	v_clz_i32_u32_e32 v15, v19
	s_delay_alu instid0(VALU_DEP_1) | instskip(NEXT) | instid1(VALU_DEP_1)
	v_min_u32_e32 v15, 32, v15
	v_subrev_nc_u32_e32 v19, 29, v15
	s_delay_alu instid0(VALU_DEP_1) | instskip(NEXT) | instid1(VALU_DEP_1)
	v_lshlrev_b64_e32 v[56:57], v19, v[14:15]
	v_dual_sub_nc_u32 v15, 30, v15 :: v_dual_bitop2_b32 v19, 3, v56 bitop3:0x40
; %bb.6075:                             ;   in Loop: Header=BB4_4405 Depth=2
	s_or_b32 exec_lo, exec_lo, s42
	v_lshlrev_b32_e32 v52, 24, v14
	s_delay_alu instid0(VALU_DEP_1) | instskip(NEXT) | instid1(VALU_DEP_1)
	v_and_b32_e32 v52, 0x80000000, v52
	v_lshl_add_u32 v15, v15, 23, v52
	s_delay_alu instid0(VALU_DEP_1) | instskip(NEXT) | instid1(VALU_DEP_1)
	v_lshl_or_b32 v15, v19, 21, v15
                                        ; implicit-def: $vgpr19
	v_add_nc_u32_e32 v15, 0x38000000, v15
.LBB4_6076:                             ;   in Loop: Header=BB4_4405 Depth=2
	s_and_not1_saveexec_b32 s41, s41
; %bb.6077:                             ;   in Loop: Header=BB4_4405 Depth=2
	v_bfe_i32 v15, v14, 0, 8
	s_delay_alu instid0(VALU_DEP_1) | instskip(SKIP_2) | instid1(VALU_DEP_2)
	v_cmp_lt_i16_e32 vcc_lo, -1, v15
	v_cndmask_b32_e32 v15, 0xff800000, v109, vcc_lo
	v_cmp_eq_u32_e32 vcc_lo, 0, v19
	v_cndmask_b32_e32 v15, 0x7f800001, v15, vcc_lo
; %bb.6078:                             ;   in Loop: Header=BB4_4405 Depth=2
	s_or_b32 exec_lo, exec_lo, s41
.LBB4_6079:                             ;   in Loop: Header=BB4_4405 Depth=2
	s_delay_alu instid0(SALU_CYCLE_1)
	s_or_b32 exec_lo, exec_lo, s14
.LBB4_6080:                             ;   in Loop: Header=BB4_4405 Depth=2
	s_delay_alu instid0(SALU_CYCLE_1) | instskip(SKIP_2) | instid1(VALU_DEP_1)
	s_or_b32 exec_lo, exec_lo, s13
	v_and_b32_e32 v19, 0xff, v10
	s_mov_b32 s13, exec_lo
	v_cmpx_ne_u16_e32 0, v19
	s_cbranch_execz .LBB4_6090
; %bb.6081:                             ;   in Loop: Header=BB4_4405 Depth=2
	v_bfrev_b32_e32 v18, 1
	s_mov_b32 s14, exec_lo
	v_cmpx_ne_u16_e32 0x80, v19
	s_cbranch_execz .LBB4_6089
; %bb.6082:                             ;   in Loop: Header=BB4_4405 Depth=2
	v_and_b32_e32 v18, 0x7c0000, v12
	v_bfe_u32 v19, v12, 16, 2
	s_delay_alu instid0(VALU_DEP_2) | instskip(SKIP_1) | instid1(SALU_CYCLE_1)
	v_cmp_ne_u32_e32 vcc_lo, 0x7c0000, v18
                                        ; implicit-def: $vgpr18
	s_and_saveexec_b32 s41, vcc_lo
	s_xor_b32 s41, exec_lo, s41
	s_cbranch_execz .LBB4_6086
; %bb.6083:                             ;   in Loop: Header=BB4_4405 Depth=2
	v_bfe_u32 v18, v12, 18, 5
	s_mov_b32 s42, exec_lo
	s_delay_alu instid0(VALU_DEP_1)
	v_cmpx_eq_u32_e32 0, v18
; %bb.6084:                             ;   in Loop: Header=BB4_4405 Depth=2
	v_clz_i32_u32_e32 v18, v19
	s_delay_alu instid0(VALU_DEP_1) | instskip(NEXT) | instid1(VALU_DEP_1)
	v_min_u32_e32 v18, 32, v18
	v_subrev_nc_u32_e32 v19, 29, v18
	s_delay_alu instid0(VALU_DEP_1) | instskip(NEXT) | instid1(VALU_DEP_1)
	v_lshlrev_b64_e32 v[56:57], v19, v[10:11]
	v_dual_sub_nc_u32 v18, 30, v18 :: v_dual_bitop2_b32 v19, 3, v56 bitop3:0x40
; %bb.6085:                             ;   in Loop: Header=BB4_4405 Depth=2
	s_or_b32 exec_lo, exec_lo, s42
	v_lshlrev_b32_e32 v52, 24, v10
	s_delay_alu instid0(VALU_DEP_1) | instskip(NEXT) | instid1(VALU_DEP_1)
	v_and_b32_e32 v52, 0x80000000, v52
	v_lshl_add_u32 v18, v18, 23, v52
	s_delay_alu instid0(VALU_DEP_1) | instskip(NEXT) | instid1(VALU_DEP_1)
	v_lshl_or_b32 v18, v19, 21, v18
                                        ; implicit-def: $vgpr19
	v_add_nc_u32_e32 v18, 0x38000000, v18
.LBB4_6086:                             ;   in Loop: Header=BB4_4405 Depth=2
	s_and_not1_saveexec_b32 s41, s41
; %bb.6087:                             ;   in Loop: Header=BB4_4405 Depth=2
	v_bfe_i32 v18, v10, 0, 8
	s_delay_alu instid0(VALU_DEP_1) | instskip(SKIP_2) | instid1(VALU_DEP_2)
	v_cmp_lt_i16_e32 vcc_lo, -1, v18
	v_cndmask_b32_e32 v18, 0xff800000, v109, vcc_lo
	v_cmp_eq_u32_e32 vcc_lo, 0, v19
	v_cndmask_b32_e32 v18, 0x7f800001, v18, vcc_lo
; %bb.6088:                             ;   in Loop: Header=BB4_4405 Depth=2
	s_or_b32 exec_lo, exec_lo, s41
.LBB4_6089:                             ;   in Loop: Header=BB4_4405 Depth=2
	s_delay_alu instid0(SALU_CYCLE_1)
	s_or_b32 exec_lo, exec_lo, s14
.LBB4_6090:                             ;   in Loop: Header=BB4_4405 Depth=2
	s_delay_alu instid0(SALU_CYCLE_1) | instskip(NEXT) | instid1(VALU_DEP_1)
	s_or_b32 exec_lo, exec_lo, s13
	v_dual_max_num_f32 v18, v18, v18 :: v_dual_max_num_f32 v15, v15, v15
	s_mov_b32 s13, 0
	s_delay_alu instid0(VALU_DEP_1)
	v_max_num_f32_e32 v15, v15, v18
.LBB4_6091:                             ;   in Loop: Header=BB4_4405 Depth=2
	s_and_b32 vcc_lo, exec_lo, s13
	s_cbranch_vccz .LBB4_6113
; %bb.6092:                             ;   in Loop: Header=BB4_4405 Depth=2
	v_dual_mov_b32 v18, 0 :: v_dual_mov_b32 v15, 0
	s_and_saveexec_b32 s13, s7
	s_cbranch_execz .LBB4_6102
; %bb.6093:                             ;   in Loop: Header=BB4_4405 Depth=2
	v_bfrev_b32_e32 v15, 1
	s_mov_b32 s7, exec_lo
	v_cmpx_ne_u16_e32 0x80, v11
	s_cbranch_execz .LBB4_6101
; %bb.6094:                             ;   in Loop: Header=BB4_4405 Depth=2
	v_and_b32_e32 v15, 0x7c0000, v16
	v_bfe_u32 v11, v16, 16, 2
	s_delay_alu instid0(VALU_DEP_2) | instskip(SKIP_1) | instid1(SALU_CYCLE_1)
	v_cmp_ne_u32_e32 vcc_lo, 0x7c0000, v15
                                        ; implicit-def: $vgpr15
	s_and_saveexec_b32 s14, vcc_lo
	s_xor_b32 s14, exec_lo, s14
	s_cbranch_execz .LBB4_6098
; %bb.6095:                             ;   in Loop: Header=BB4_4405 Depth=2
	v_bfe_u32 v15, v16, 18, 5
	s_mov_b32 s41, exec_lo
	s_delay_alu instid0(VALU_DEP_1)
	v_cmpx_eq_u32_e32 0, v15
; %bb.6096:                             ;   in Loop: Header=BB4_4405 Depth=2
	v_clz_i32_u32_e32 v11, v11
	s_delay_alu instid0(VALU_DEP_1) | instskip(NEXT) | instid1(VALU_DEP_1)
	v_min_u32_e32 v11, 32, v11
	v_subrev_nc_u32_e32 v15, 29, v11
	s_delay_alu instid0(VALU_DEP_1) | instskip(NEXT) | instid1(VALU_DEP_1)
	v_lshlrev_b64_e32 v[56:57], v15, v[14:15]
	v_dual_sub_nc_u32 v15, 30, v11 :: v_dual_bitop2_b32 v11, 3, v56 bitop3:0x40
; %bb.6097:                             ;   in Loop: Header=BB4_4405 Depth=2
	s_or_b32 exec_lo, exec_lo, s41
	v_lshlrev_b32_e32 v14, 24, v14
	s_delay_alu instid0(VALU_DEP_1) | instskip(NEXT) | instid1(VALU_DEP_1)
	v_and_b32_e32 v14, 0x80000000, v14
	v_lshl_add_u32 v14, v15, 23, v14
	s_delay_alu instid0(VALU_DEP_1) | instskip(NEXT) | instid1(VALU_DEP_1)
	v_lshl_or_b32 v11, v11, 21, v14
                                        ; implicit-def: $vgpr14
	v_add_nc_u32_e32 v15, 0x38000000, v11
                                        ; implicit-def: $vgpr11
.LBB4_6098:                             ;   in Loop: Header=BB4_4405 Depth=2
	s_and_not1_saveexec_b32 s14, s14
; %bb.6099:                             ;   in Loop: Header=BB4_4405 Depth=2
	v_bfe_i32 v14, v14, 0, 8
	s_delay_alu instid0(VALU_DEP_1) | instskip(SKIP_2) | instid1(VALU_DEP_2)
	v_cmp_lt_i16_e32 vcc_lo, -1, v14
	v_cndmask_b32_e32 v14, 0xff800000, v109, vcc_lo
	v_cmp_eq_u32_e32 vcc_lo, 0, v11
	v_cndmask_b32_e32 v15, 0x7f800001, v14, vcc_lo
; %bb.6100:                             ;   in Loop: Header=BB4_4405 Depth=2
	s_or_b32 exec_lo, exec_lo, s14
.LBB4_6101:                             ;   in Loop: Header=BB4_4405 Depth=2
	s_delay_alu instid0(SALU_CYCLE_1)
	s_or_b32 exec_lo, exec_lo, s7
.LBB4_6102:                             ;   in Loop: Header=BB4_4405 Depth=2
	s_delay_alu instid0(SALU_CYCLE_1) | instskip(SKIP_2) | instid1(VALU_DEP_1)
	s_or_b32 exec_lo, exec_lo, s13
	v_and_b32_e32 v11, 0xff, v10
	s_mov_b32 s7, exec_lo
	v_cmpx_ne_u16_e32 0, v11
	s_cbranch_execz .LBB4_6112
; %bb.6103:                             ;   in Loop: Header=BB4_4405 Depth=2
	v_bfrev_b32_e32 v18, 1
	s_mov_b32 s13, exec_lo
	v_cmpx_ne_u16_e32 0x80, v11
	s_cbranch_execz .LBB4_6111
; %bb.6104:                             ;   in Loop: Header=BB4_4405 Depth=2
	v_and_b32_e32 v14, 0x7c0000, v12
	v_bfe_u32 v11, v12, 16, 2
	s_mov_b32 s14, exec_lo
                                        ; implicit-def: $vgpr18
	s_delay_alu instid0(VALU_DEP_2)
	v_cmpx_ne_u32_e32 0x7c0000, v14
	s_xor_b32 s14, exec_lo, s14
	s_cbranch_execz .LBB4_6108
; %bb.6105:                             ;   in Loop: Header=BB4_4405 Depth=2
	v_bfe_u32 v14, v12, 18, 5
	s_mov_b32 s41, exec_lo
	s_delay_alu instid0(VALU_DEP_1)
	v_cmpx_eq_u32_e32 0, v14
; %bb.6106:                             ;   in Loop: Header=BB4_4405 Depth=2
	v_clz_i32_u32_e32 v11, v11
	s_delay_alu instid0(VALU_DEP_1) | instskip(NEXT) | instid1(VALU_DEP_1)
	v_min_u32_e32 v11, 32, v11
	v_subrev_nc_u32_e32 v14, 29, v11
	s_delay_alu instid0(VALU_DEP_1) | instskip(NEXT) | instid1(VALU_DEP_1)
	v_lshlrev_b64_e32 v[18:19], v14, v[10:11]
	v_dual_sub_nc_u32 v14, 30, v11 :: v_dual_bitop2_b32 v11, 3, v18 bitop3:0x40
; %bb.6107:                             ;   in Loop: Header=BB4_4405 Depth=2
	s_or_b32 exec_lo, exec_lo, s41
	v_lshlrev_b32_e32 v10, 24, v10
	s_delay_alu instid0(VALU_DEP_1) | instskip(NEXT) | instid1(VALU_DEP_1)
	v_and_b32_e32 v10, 0x80000000, v10
	v_lshl_add_u32 v10, v14, 23, v10
	s_delay_alu instid0(VALU_DEP_1) | instskip(NEXT) | instid1(VALU_DEP_1)
	v_lshl_or_b32 v10, v11, 21, v10
                                        ; implicit-def: $vgpr11
	v_add_nc_u32_e32 v18, 0x38000000, v10
                                        ; implicit-def: $vgpr10
.LBB4_6108:                             ;   in Loop: Header=BB4_4405 Depth=2
	s_and_not1_saveexec_b32 s14, s14
; %bb.6109:                             ;   in Loop: Header=BB4_4405 Depth=2
	v_bfe_i32 v10, v10, 0, 8
	s_delay_alu instid0(VALU_DEP_1) | instskip(SKIP_2) | instid1(VALU_DEP_2)
	v_cmp_lt_i16_e32 vcc_lo, -1, v10
	v_cndmask_b32_e32 v10, 0xff800000, v109, vcc_lo
	v_cmp_eq_u32_e32 vcc_lo, 0, v11
	v_cndmask_b32_e32 v18, 0x7f800001, v10, vcc_lo
; %bb.6110:                             ;   in Loop: Header=BB4_4405 Depth=2
	s_or_b32 exec_lo, exec_lo, s14
.LBB4_6111:                             ;   in Loop: Header=BB4_4405 Depth=2
	s_delay_alu instid0(SALU_CYCLE_1)
	s_or_b32 exec_lo, exec_lo, s13
.LBB4_6112:                             ;   in Loop: Header=BB4_4405 Depth=2
	s_delay_alu instid0(SALU_CYCLE_1) | instskip(NEXT) | instid1(VALU_DEP_1)
	s_or_b32 exec_lo, exec_lo, s7
	v_dual_max_num_f32 v10, v18, v18 :: v_dual_max_num_f32 v11, v15, v15
	s_delay_alu instid0(VALU_DEP_1)
	v_min_num_f32_e32 v15, v11, v10
.LBB4_6113:                             ;   in Loop: Header=BB4_4405 Depth=2
	s_delay_alu instid0(VALU_DEP_1) | instskip(SKIP_2) | instid1(VALU_DEP_2)
	v_and_b32_e32 v10, 0x7f800000, v15
	v_mov_b32_e32 v11, v53
	v_and_b32_e32 v52, 0x7fffff, v15
                                        ; implicit-def: $vgpr56
	v_cmp_ne_u64_e32 vcc_lo, 0x7f800000, v[10:11]
	v_lshrrev_b32_e32 v10, 24, v15
	s_and_saveexec_b32 s7, vcc_lo
	s_delay_alu instid0(SALU_CYCLE_1)
	s_xor_b32 s13, exec_lo, s7
	s_cbranch_execz .LBB4_6127
; %bb.6114:                             ;   in Loop: Header=BB4_4405 Depth=2
	v_and_b32_e32 v18, 0x7fffffff, v15
	v_mov_b32_e32 v19, v53
                                        ; implicit-def: $vgpr56
	s_delay_alu instid0(VALU_DEP_1) | instskip(SKIP_2) | instid1(SALU_CYCLE_1)
	v_cmp_gt_u64_e32 vcc_lo, 0x47600001, v[18:19]
	v_and_b32_e32 v18, 0x80, v10
	s_and_saveexec_b32 s7, vcc_lo
	s_xor_b32 s14, exec_lo, s7
	s_cbranch_execz .LBB4_6124
; %bb.6115:                             ;   in Loop: Header=BB4_4405 Depth=2
	v_mov_b32_e32 v56, 0
	s_mov_b32 s41, exec_lo
	v_cmpx_ne_u32_e32 0, v15
	s_cbranch_execz .LBB4_6123
; %bb.6116:                             ;   in Loop: Header=BB4_4405 Depth=2
	v_bfe_u32 v19, v15, 23, 8
	v_or_b32_e32 v14, 0x800000, v52
	s_delay_alu instid0(VALU_DEP_2) | instskip(SKIP_1) | instid1(VALU_DEP_2)
	v_sub_nc_u32_e32 v10, 0x71, v19
	v_cmp_gt_u32_e32 vcc_lo, 0x72, v19
	v_cndmask_b32_e32 v10, 0, v10, vcc_lo
	v_cmp_eq_u32_e32 vcc_lo, 0, v19
	s_delay_alu instid0(VALU_DEP_2) | instskip(SKIP_1) | instid1(VALU_DEP_2)
	v_cndmask_b32_e64 v56, v10, 0x70, vcc_lo
	v_cndmask_b32_e32 v52, v14, v52, vcc_lo
	v_dual_add_nc_u32 v10, 21, v56 :: v_dual_add_nc_u32 v15, 20, v56
	s_delay_alu instid0(VALU_DEP_1) | instskip(NEXT) | instid1(VALU_DEP_2)
	v_lshlrev_b64_e64 v[10:11], v10, -1
	v_lshlrev_b64_e64 v[14:15], v15, 1
	s_delay_alu instid0(VALU_DEP_2) | instskip(NEXT) | instid1(VALU_DEP_3)
	v_bfi_b32 v59, v11, 0, 0
	v_bfi_b32 v58, v10, 0, v52
	v_lshrrev_b64 v[10:11], v56, v[52:53]
	s_delay_alu instid0(VALU_DEP_2) | instskip(NEXT) | instid1(VALU_DEP_2)
	v_cmp_eq_u64_e64 s7, v[58:59], v[14:15]
	v_mov_b64_e32 v[14:15], v[10:11]
	s_and_saveexec_b32 s42, s7
; %bb.6117:                             ;   in Loop: Header=BB4_4405 Depth=2
	v_bfe_u32 v52, v10, 21, 1
	s_delay_alu instid0(VALU_DEP_1) | instskip(NEXT) | instid1(VALU_DEP_1)
	v_add_nc_u64_e32 v[14:15], v[10:11], v[52:53]
	v_add_nc_u64_e32 v[14:15], -1, v[14:15]
; %bb.6118:                             ;   in Loop: Header=BB4_4405 Depth=2
	s_or_b32 exec_lo, exec_lo, s42
	v_add_nc_u32_e32 v11, 0xffffff81, v19
	v_lshrrev_b32_e32 v15, 23, v10
	s_mov_b32 s7, exec_lo
	s_delay_alu instid0(VALU_DEP_2) | instskip(NEXT) | instid1(VALU_DEP_1)
	v_cndmask_b32_e64 v11, v11, 0xffffff82, vcc_lo
	v_add3_u32 v15, v56, v11, v15
	v_and_b32_e32 v11, 0x1fffff, v14
                                        ; implicit-def: $vgpr14
	s_delay_alu instid0(VALU_DEP_1) | instskip(NEXT) | instid1(VALU_DEP_1)
	v_dual_add_nc_u32 v19, 14, v15 :: v_dual_add_nc_u32 v52, v11, v10
                                        ; implicit-def: $vgpr10_vgpr11
	v_cmpx_ne_u32_e32 0, v19
	s_xor_b32 s7, exec_lo, s7
; %bb.6119:                             ;   in Loop: Header=BB4_4405 Depth=2
	s_delay_alu instid0(VALU_DEP_2) | instskip(SKIP_1) | instid1(VALU_DEP_1)
	v_cmp_lt_u64_e32 vcc_lo, 0xffffff, v[52:53]
	v_add_nc_u32_e32 v10, 15, v15
	v_cndmask_b32_e32 v14, v19, v10, vcc_lo
	v_cndmask_b32_e64 v10, 0, 1, vcc_lo
	s_delay_alu instid0(VALU_DEP_1)
	v_lshrrev_b64 v[10:11], v10, v[52:53]
; %bb.6120:                             ;   in Loop: Header=BB4_4405 Depth=2
	s_and_not1_saveexec_b32 s7, s7
; %bb.6121:                             ;   in Loop: Header=BB4_4405 Depth=2
	v_mov_b64_e32 v[10:11], v[52:53]
	v_bfe_u32 v14, v52, 23, 1
; %bb.6122:                             ;   in Loop: Header=BB4_4405 Depth=2
	s_or_b32 exec_lo, exec_lo, s7
	s_delay_alu instid0(VALU_DEP_2) | instskip(NEXT) | instid1(VALU_DEP_2)
	v_lshrrev_b64 v[10:11], 21, v[10:11]
	v_cmp_gt_i32_e32 vcc_lo, 32, v14
	v_min_i32_e32 v15, 31, v14
	v_cmp_eq_u32_e64 s7, 0, v14
	s_delay_alu instid0(VALU_DEP_4) | instskip(NEXT) | instid1(VALU_DEP_3)
	v_cndmask_b32_e32 v11, 0, v11, vcc_lo
	v_dual_cndmask_b32 v10, 3, v10 :: v_dual_lshlrev_b32 v15, 2, v15
	s_delay_alu instid0(VALU_DEP_1) | instskip(NEXT) | instid1(VALU_DEP_2)
	v_and_b32_e32 v15, 0xfc, v15
	v_cmp_eq_u64_e32 vcc_lo, 0, v[10:11]
	s_delay_alu instid0(VALU_DEP_2)
	v_and_or_b32 v10, v10, 3, v15
	s_and_b32 s7, s7, vcc_lo
	s_delay_alu instid0(VALU_DEP_1) | instid1(SALU_CYCLE_1)
	v_cndmask_b32_e64 v10, v10, 0, s7
	s_delay_alu instid0(VALU_DEP_1)
	v_or_b32_e32 v56, v10, v18
.LBB4_6123:                             ;   in Loop: Header=BB4_4405 Depth=2
	s_or_b32 exec_lo, exec_lo, s41
                                        ; implicit-def: $vgpr18
.LBB4_6124:                             ;   in Loop: Header=BB4_4405 Depth=2
	s_and_not1_saveexec_b32 s7, s14
; %bb.6125:                             ;   in Loop: Header=BB4_4405 Depth=2
	v_or_b32_e32 v56, 0x7b, v18
; %bb.6126:                             ;   in Loop: Header=BB4_4405 Depth=2
	s_or_b32 exec_lo, exec_lo, s7
                                        ; implicit-def: $vgpr15
                                        ; implicit-def: $vgpr10
.LBB4_6127:                             ;   in Loop: Header=BB4_4405 Depth=2
	s_and_not1_saveexec_b32 s7, s13
	s_cbranch_execz .LBB4_6133
; %bb.6128:                             ;   in Loop: Header=BB4_4405 Depth=2
	s_mov_b32 s13, exec_lo
                                        ; implicit-def: $vgpr56
	v_cmpx_ne_u64_e32 0, v[52:53]
	s_xor_b32 s13, exec_lo, s13
; %bb.6129:                             ;   in Loop: Header=BB4_4405 Depth=2
	v_or_b32_e32 v56, 0x7f, v10
                                        ; implicit-def: $vgpr15
; %bb.6130:                             ;   in Loop: Header=BB4_4405 Depth=2
	s_and_not1_saveexec_b32 s13, s13
; %bb.6131:                             ;   in Loop: Header=BB4_4405 Depth=2
	v_cmp_lt_i32_e32 vcc_lo, -1, v15
	v_cndmask_b32_e32 v56, 0xfc, v110, vcc_lo
; %bb.6132:                             ;   in Loop: Header=BB4_4405 Depth=2
	s_or_b32 exec_lo, exec_lo, s13
.LBB4_6133:                             ;   in Loop: Header=BB4_4405 Depth=2
	s_delay_alu instid0(SALU_CYCLE_1)
	s_or_b32 exec_lo, exec_lo, s7
	v_lshrrev_b32_e32 v14, 24, v16
	v_lshrrev_b32_e32 v10, 24, v12
	v_cmp_lt_u32_e64 s7, 0xffffff, v16
	s_and_not1_b32 vcc_lo, exec_lo, s12
	s_mov_b32 s13, -1
                                        ; implicit-def: $vgpr11
	s_cbranch_vccnz .LBB4_6155
; %bb.6134:                             ;   in Loop: Header=BB4_4405 Depth=2
	v_dual_mov_b32 v15, 0 :: v_dual_mov_b32 v11, 0
	s_and_saveexec_b32 s13, s7
	s_cbranch_execz .LBB4_6144
; %bb.6135:                             ;   in Loop: Header=BB4_4405 Depth=2
	v_bfrev_b32_e32 v11, 1
	s_mov_b32 s14, exec_lo
	v_cmpx_ne_u32_e32 0x80, v14
	s_cbranch_execz .LBB4_6143
; %bb.6136:                             ;   in Loop: Header=BB4_4405 Depth=2
	v_and_b32_e32 v11, 0x7c000000, v16
	v_bfe_u32 v18, v16, 24, 2
	s_delay_alu instid0(VALU_DEP_2) | instskip(SKIP_1) | instid1(SALU_CYCLE_1)
	v_cmp_ne_u32_e32 vcc_lo, 0x7c000000, v11
                                        ; implicit-def: $vgpr11
	s_and_saveexec_b32 s41, vcc_lo
	s_xor_b32 s41, exec_lo, s41
	s_cbranch_execz .LBB4_6140
; %bb.6137:                             ;   in Loop: Header=BB4_4405 Depth=2
	v_bfe_u32 v11, v16, 26, 5
	s_mov_b32 s42, exec_lo
	s_delay_alu instid0(VALU_DEP_1)
	v_cmpx_eq_u32_e32 0, v11
; %bb.6138:                             ;   in Loop: Header=BB4_4405 Depth=2
	v_clz_i32_u32_e32 v11, v18
	s_delay_alu instid0(VALU_DEP_1) | instskip(NEXT) | instid1(VALU_DEP_1)
	v_min_u32_e32 v11, 32, v11
	v_subrev_nc_u32_e32 v18, 29, v11
	s_delay_alu instid0(VALU_DEP_1) | instskip(NEXT) | instid1(VALU_DEP_1)
	v_lshlrev_b64_e32 v[18:19], v18, v[14:15]
	v_dual_sub_nc_u32 v11, 30, v11 :: v_dual_bitop2_b32 v18, 3, v18 bitop3:0x40
; %bb.6139:                             ;   in Loop: Header=BB4_4405 Depth=2
	s_or_b32 exec_lo, exec_lo, s42
	v_and_b32_e32 v19, 0x80000000, v16
	s_delay_alu instid0(VALU_DEP_1) | instskip(NEXT) | instid1(VALU_DEP_1)
	v_lshl_add_u32 v11, v11, 23, v19
	v_lshl_or_b32 v11, v18, 21, v11
                                        ; implicit-def: $vgpr18
	s_delay_alu instid0(VALU_DEP_1)
	v_add_nc_u32_e32 v11, 0x38000000, v11
.LBB4_6140:                             ;   in Loop: Header=BB4_4405 Depth=2
	s_and_not1_saveexec_b32 s41, s41
; %bb.6141:                             ;   in Loop: Header=BB4_4405 Depth=2
	v_cmp_lt_i32_e32 vcc_lo, -1, v16
	v_cndmask_b32_e32 v11, 0xff800000, v109, vcc_lo
	v_cmp_eq_u32_e32 vcc_lo, 0, v18
	s_delay_alu instid0(VALU_DEP_2)
	v_cndmask_b32_e32 v11, 0x7f800001, v11, vcc_lo
; %bb.6142:                             ;   in Loop: Header=BB4_4405 Depth=2
	s_or_b32 exec_lo, exec_lo, s41
.LBB4_6143:                             ;   in Loop: Header=BB4_4405 Depth=2
	s_delay_alu instid0(SALU_CYCLE_1)
	s_or_b32 exec_lo, exec_lo, s14
.LBB4_6144:                             ;   in Loop: Header=BB4_4405 Depth=2
	s_delay_alu instid0(SALU_CYCLE_1) | instskip(NEXT) | instid1(SALU_CYCLE_1)
	s_or_b32 exec_lo, exec_lo, s13
	s_mov_b32 s13, exec_lo
	v_cmpx_lt_u32_e32 0xffffff, v12
	s_cbranch_execz .LBB4_6154
; %bb.6145:                             ;   in Loop: Header=BB4_4405 Depth=2
	v_bfrev_b32_e32 v15, 1
	s_mov_b32 s14, exec_lo
	v_cmpx_ne_u32_e32 0x80, v10
	s_cbranch_execz .LBB4_6153
; %bb.6146:                             ;   in Loop: Header=BB4_4405 Depth=2
	v_and_b32_e32 v15, 0x7c000000, v12
	v_bfe_u32 v18, v12, 24, 2
	s_delay_alu instid0(VALU_DEP_2) | instskip(SKIP_1) | instid1(SALU_CYCLE_1)
	v_cmp_ne_u32_e32 vcc_lo, 0x7c000000, v15
                                        ; implicit-def: $vgpr15
	s_and_saveexec_b32 s41, vcc_lo
	s_xor_b32 s41, exec_lo, s41
	s_cbranch_execz .LBB4_6150
; %bb.6147:                             ;   in Loop: Header=BB4_4405 Depth=2
	v_bfe_u32 v15, v12, 26, 5
	s_mov_b32 s42, exec_lo
	s_delay_alu instid0(VALU_DEP_1)
	v_cmpx_eq_u32_e32 0, v15
; %bb.6148:                             ;   in Loop: Header=BB4_4405 Depth=2
	v_clz_i32_u32_e32 v15, v18
	s_delay_alu instid0(VALU_DEP_1) | instskip(NEXT) | instid1(VALU_DEP_1)
	v_min_u32_e32 v15, 32, v15
	v_subrev_nc_u32_e32 v18, 29, v15
	s_delay_alu instid0(VALU_DEP_1) | instskip(NEXT) | instid1(VALU_DEP_1)
	v_lshlrev_b64_e32 v[18:19], v18, v[10:11]
	v_dual_sub_nc_u32 v15, 30, v15 :: v_dual_bitop2_b32 v18, 3, v18 bitop3:0x40
; %bb.6149:                             ;   in Loop: Header=BB4_4405 Depth=2
	s_or_b32 exec_lo, exec_lo, s42
	v_and_b32_e32 v19, 0x80000000, v12
	s_delay_alu instid0(VALU_DEP_1) | instskip(NEXT) | instid1(VALU_DEP_1)
	v_lshl_add_u32 v15, v15, 23, v19
	v_lshl_or_b32 v15, v18, 21, v15
                                        ; implicit-def: $vgpr18
	s_delay_alu instid0(VALU_DEP_1)
	v_add_nc_u32_e32 v15, 0x38000000, v15
.LBB4_6150:                             ;   in Loop: Header=BB4_4405 Depth=2
	s_and_not1_saveexec_b32 s41, s41
; %bb.6151:                             ;   in Loop: Header=BB4_4405 Depth=2
	v_cmp_lt_i32_e32 vcc_lo, -1, v12
	v_cndmask_b32_e32 v15, 0xff800000, v109, vcc_lo
	v_cmp_eq_u32_e32 vcc_lo, 0, v18
	s_delay_alu instid0(VALU_DEP_2)
	v_cndmask_b32_e32 v15, 0x7f800001, v15, vcc_lo
; %bb.6152:                             ;   in Loop: Header=BB4_4405 Depth=2
	s_or_b32 exec_lo, exec_lo, s41
.LBB4_6153:                             ;   in Loop: Header=BB4_4405 Depth=2
	s_delay_alu instid0(SALU_CYCLE_1)
	s_or_b32 exec_lo, exec_lo, s14
.LBB4_6154:                             ;   in Loop: Header=BB4_4405 Depth=2
	s_delay_alu instid0(SALU_CYCLE_1) | instskip(NEXT) | instid1(VALU_DEP_1)
	s_or_b32 exec_lo, exec_lo, s13
	v_max_num_f32_e32 v15, v15, v15
	v_max_num_f32_e32 v11, v11, v11
	s_mov_b32 s13, 0
	s_delay_alu instid0(VALU_DEP_1)
	v_max_num_f32_e32 v11, v11, v15
.LBB4_6155:                             ;   in Loop: Header=BB4_4405 Depth=2
	s_and_b32 vcc_lo, exec_lo, s13
	s_cbranch_vccz .LBB4_6177
; %bb.6156:                             ;   in Loop: Header=BB4_4405 Depth=2
	v_dual_mov_b32 v15, 0 :: v_dual_mov_b32 v11, 0
	s_and_saveexec_b32 s13, s7
	s_cbranch_execz .LBB4_6166
; %bb.6157:                             ;   in Loop: Header=BB4_4405 Depth=2
	v_bfrev_b32_e32 v11, 1
	s_mov_b32 s7, exec_lo
	v_cmpx_ne_u32_e32 0x80, v14
	s_cbranch_execz .LBB4_6165
; %bb.6158:                             ;   in Loop: Header=BB4_4405 Depth=2
	v_and_b32_e32 v11, 0x7c000000, v16
	v_bfe_u32 v18, v16, 24, 2
	s_delay_alu instid0(VALU_DEP_2) | instskip(SKIP_1) | instid1(SALU_CYCLE_1)
	v_cmp_ne_u32_e32 vcc_lo, 0x7c000000, v11
                                        ; implicit-def: $vgpr11
	s_and_saveexec_b32 s14, vcc_lo
	s_xor_b32 s14, exec_lo, s14
	s_cbranch_execz .LBB4_6162
; %bb.6159:                             ;   in Loop: Header=BB4_4405 Depth=2
	v_bfe_u32 v11, v16, 26, 5
	s_mov_b32 s41, exec_lo
	s_delay_alu instid0(VALU_DEP_1)
	v_cmpx_eq_u32_e32 0, v11
; %bb.6160:                             ;   in Loop: Header=BB4_4405 Depth=2
	v_clz_i32_u32_e32 v11, v18
	s_delay_alu instid0(VALU_DEP_1) | instskip(NEXT) | instid1(VALU_DEP_1)
	v_min_u32_e32 v11, 32, v11
	v_subrev_nc_u32_e32 v18, 29, v11
	s_delay_alu instid0(VALU_DEP_1) | instskip(NEXT) | instid1(VALU_DEP_1)
	v_lshlrev_b64_e32 v[18:19], v18, v[14:15]
	v_dual_sub_nc_u32 v11, 30, v11 :: v_dual_bitop2_b32 v18, 3, v18 bitop3:0x40
; %bb.6161:                             ;   in Loop: Header=BB4_4405 Depth=2
	s_or_b32 exec_lo, exec_lo, s41
	v_and_b32_e32 v14, 0x80000000, v16
	s_delay_alu instid0(VALU_DEP_1) | instskip(NEXT) | instid1(VALU_DEP_1)
	v_lshl_add_u32 v11, v11, 23, v14
	v_lshl_or_b32 v11, v18, 21, v11
                                        ; implicit-def: $vgpr18
	s_delay_alu instid0(VALU_DEP_1)
	v_add_nc_u32_e32 v11, 0x38000000, v11
.LBB4_6162:                             ;   in Loop: Header=BB4_4405 Depth=2
	s_and_not1_saveexec_b32 s14, s14
; %bb.6163:                             ;   in Loop: Header=BB4_4405 Depth=2
	v_cmp_lt_i32_e32 vcc_lo, -1, v16
	v_cndmask_b32_e32 v11, 0xff800000, v109, vcc_lo
	v_cmp_eq_u32_e32 vcc_lo, 0, v18
	s_delay_alu instid0(VALU_DEP_2)
	v_cndmask_b32_e32 v11, 0x7f800001, v11, vcc_lo
; %bb.6164:                             ;   in Loop: Header=BB4_4405 Depth=2
	s_or_b32 exec_lo, exec_lo, s14
.LBB4_6165:                             ;   in Loop: Header=BB4_4405 Depth=2
	s_delay_alu instid0(SALU_CYCLE_1)
	s_or_b32 exec_lo, exec_lo, s7
.LBB4_6166:                             ;   in Loop: Header=BB4_4405 Depth=2
	s_delay_alu instid0(SALU_CYCLE_1) | instskip(NEXT) | instid1(SALU_CYCLE_1)
	s_or_b32 exec_lo, exec_lo, s13
	s_mov_b32 s7, exec_lo
	v_cmpx_lt_u32_e32 0xffffff, v12
	s_cbranch_execz .LBB4_6176
; %bb.6167:                             ;   in Loop: Header=BB4_4405 Depth=2
	v_bfrev_b32_e32 v15, 1
	s_mov_b32 s13, exec_lo
	v_cmpx_ne_u32_e32 0x80, v10
	s_cbranch_execz .LBB4_6175
; %bb.6168:                             ;   in Loop: Header=BB4_4405 Depth=2
	v_and_b32_e32 v15, 0x7c000000, v12
	v_bfe_u32 v14, v12, 24, 2
	s_delay_alu instid0(VALU_DEP_2) | instskip(SKIP_1) | instid1(SALU_CYCLE_1)
	v_cmp_ne_u32_e32 vcc_lo, 0x7c000000, v15
                                        ; implicit-def: $vgpr15
	s_and_saveexec_b32 s14, vcc_lo
	s_xor_b32 s14, exec_lo, s14
	s_cbranch_execz .LBB4_6172
; %bb.6169:                             ;   in Loop: Header=BB4_4405 Depth=2
	v_bfe_u32 v15, v12, 26, 5
	s_mov_b32 s41, exec_lo
	s_delay_alu instid0(VALU_DEP_1)
	v_cmpx_eq_u32_e32 0, v15
; %bb.6170:                             ;   in Loop: Header=BB4_4405 Depth=2
	v_clz_i32_u32_e32 v14, v14
	s_delay_alu instid0(VALU_DEP_1) | instskip(NEXT) | instid1(VALU_DEP_1)
	v_min_u32_e32 v18, 32, v14
	v_subrev_nc_u32_e32 v14, 29, v18
	s_delay_alu instid0(VALU_DEP_1) | instskip(SKIP_1) | instid1(VALU_DEP_2)
	v_lshlrev_b64_e32 v[14:15], v14, v[10:11]
	v_sub_nc_u32_e32 v15, 30, v18
	v_and_b32_e32 v14, 3, v14
; %bb.6171:                             ;   in Loop: Header=BB4_4405 Depth=2
	s_or_b32 exec_lo, exec_lo, s41
	v_and_b32_e32 v10, 0x80000000, v12
	s_delay_alu instid0(VALU_DEP_1) | instskip(NEXT) | instid1(VALU_DEP_1)
	v_lshl_add_u32 v10, v15, 23, v10
	v_lshl_or_b32 v10, v14, 21, v10
                                        ; implicit-def: $vgpr14
	s_delay_alu instid0(VALU_DEP_1)
	v_add_nc_u32_e32 v15, 0x38000000, v10
.LBB4_6172:                             ;   in Loop: Header=BB4_4405 Depth=2
	s_and_not1_saveexec_b32 s14, s14
; %bb.6173:                             ;   in Loop: Header=BB4_4405 Depth=2
	v_cmp_lt_i32_e32 vcc_lo, -1, v12
	v_cndmask_b32_e32 v10, 0xff800000, v109, vcc_lo
	v_cmp_eq_u32_e32 vcc_lo, 0, v14
	s_delay_alu instid0(VALU_DEP_2)
	v_cndmask_b32_e32 v15, 0x7f800001, v10, vcc_lo
; %bb.6174:                             ;   in Loop: Header=BB4_4405 Depth=2
	s_or_b32 exec_lo, exec_lo, s14
.LBB4_6175:                             ;   in Loop: Header=BB4_4405 Depth=2
	s_delay_alu instid0(SALU_CYCLE_1)
	s_or_b32 exec_lo, exec_lo, s13
.LBB4_6176:                             ;   in Loop: Header=BB4_4405 Depth=2
	s_delay_alu instid0(SALU_CYCLE_1) | instskip(NEXT) | instid1(VALU_DEP_1)
	s_or_b32 exec_lo, exec_lo, s7
	v_max_num_f32_e32 v10, v15, v15
	v_max_num_f32_e32 v11, v11, v11
	s_delay_alu instid0(VALU_DEP_1)
	v_min_num_f32_e32 v11, v11, v10
.LBB4_6177:                             ;   in Loop: Header=BB4_4405 Depth=2
	s_delay_alu instid0(VALU_DEP_1) | instskip(SKIP_3) | instid1(VALU_DEP_2)
	v_and_b32_e32 v14, 0x7f800000, v11
	v_dual_mov_b32 v15, v53 :: v_dual_lshrrev_b32 v10, 24, v11
	v_and_b32_e32 v52, 0x7fffff, v11
                                        ; implicit-def: $vgpr57
	s_mov_b32 s7, exec_lo
	v_cmpx_ne_u64_e32 0x7f800000, v[14:15]
	s_xor_b32 s13, exec_lo, s7
	s_cbranch_execz .LBB4_6191
; %bb.6178:                             ;   in Loop: Header=BB4_4405 Depth=2
	v_and_b32_e32 v14, 0x7fffffff, v11
	v_mov_b32_e32 v15, v53
	v_and_b32_e32 v18, 0x80, v10
                                        ; implicit-def: $vgpr57
	s_mov_b32 s7, exec_lo
	s_delay_alu instid0(VALU_DEP_2)
	v_cmpx_gt_u64_e32 0x47600001, v[14:15]
	s_xor_b32 s14, exec_lo, s7
	s_cbranch_execz .LBB4_6188
; %bb.6179:                             ;   in Loop: Header=BB4_4405 Depth=2
	v_mov_b32_e32 v57, 0
	s_mov_b32 s41, exec_lo
	v_cmpx_ne_u32_e32 0, v11
	s_cbranch_execz .LBB4_6187
; %bb.6180:                             ;   in Loop: Header=BB4_4405 Depth=2
	v_bfe_u32 v19, v11, 23, 8
	v_or_b32_e32 v14, 0x800000, v52
	s_delay_alu instid0(VALU_DEP_2) | instskip(SKIP_1) | instid1(VALU_DEP_2)
	v_sub_nc_u32_e32 v10, 0x71, v19
	v_cmp_gt_u32_e32 vcc_lo, 0x72, v19
	v_cndmask_b32_e32 v10, 0, v10, vcc_lo
	v_cmp_eq_u32_e32 vcc_lo, 0, v19
	s_delay_alu instid0(VALU_DEP_2) | instskip(NEXT) | instid1(VALU_DEP_1)
	v_cndmask_b32_e64 v57, v10, 0x70, vcc_lo
	v_dual_cndmask_b32 v52, v14, v52, vcc_lo :: v_dual_add_nc_u32 v10, 21, v57
	v_add_nc_u32_e32 v15, 20, v57
	s_delay_alu instid0(VALU_DEP_2) | instskip(NEXT) | instid1(VALU_DEP_2)
	v_lshlrev_b64_e64 v[10:11], v10, -1
	v_lshlrev_b64_e64 v[14:15], v15, 1
	s_delay_alu instid0(VALU_DEP_2) | instskip(NEXT) | instid1(VALU_DEP_3)
	v_bfi_b32 v59, v11, 0, 0
	v_bfi_b32 v58, v10, 0, v52
	v_lshrrev_b64 v[10:11], v57, v[52:53]
	s_delay_alu instid0(VALU_DEP_2) | instskip(NEXT) | instid1(VALU_DEP_2)
	v_cmp_eq_u64_e64 s7, v[58:59], v[14:15]
	v_mov_b64_e32 v[14:15], v[10:11]
	s_and_saveexec_b32 s42, s7
; %bb.6181:                             ;   in Loop: Header=BB4_4405 Depth=2
	v_bfe_u32 v52, v10, 21, 1
	s_delay_alu instid0(VALU_DEP_1) | instskip(NEXT) | instid1(VALU_DEP_1)
	v_add_nc_u64_e32 v[14:15], v[10:11], v[52:53]
	v_add_nc_u64_e32 v[14:15], -1, v[14:15]
; %bb.6182:                             ;   in Loop: Header=BB4_4405 Depth=2
	s_or_b32 exec_lo, exec_lo, s42
	v_add_nc_u32_e32 v11, 0xffffff81, v19
	v_lshrrev_b32_e32 v15, 23, v10
	s_mov_b32 s7, exec_lo
	s_delay_alu instid0(VALU_DEP_2) | instskip(NEXT) | instid1(VALU_DEP_1)
	v_cndmask_b32_e64 v11, v11, 0xffffff82, vcc_lo
	v_add3_u32 v15, v57, v11, v15
	v_and_b32_e32 v11, 0x1fffff, v14
                                        ; implicit-def: $vgpr14
	s_delay_alu instid0(VALU_DEP_1) | instskip(NEXT) | instid1(VALU_DEP_1)
	v_dual_add_nc_u32 v19, 14, v15 :: v_dual_add_nc_u32 v52, v11, v10
                                        ; implicit-def: $vgpr10_vgpr11
	v_cmpx_ne_u32_e32 0, v19
	s_xor_b32 s7, exec_lo, s7
; %bb.6183:                             ;   in Loop: Header=BB4_4405 Depth=2
	s_delay_alu instid0(VALU_DEP_2) | instskip(SKIP_1) | instid1(VALU_DEP_1)
	v_cmp_lt_u64_e32 vcc_lo, 0xffffff, v[52:53]
	v_add_nc_u32_e32 v10, 15, v15
	v_cndmask_b32_e32 v14, v19, v10, vcc_lo
	v_cndmask_b32_e64 v10, 0, 1, vcc_lo
	s_delay_alu instid0(VALU_DEP_1)
	v_lshrrev_b64 v[10:11], v10, v[52:53]
; %bb.6184:                             ;   in Loop: Header=BB4_4405 Depth=2
	s_and_not1_saveexec_b32 s7, s7
; %bb.6185:                             ;   in Loop: Header=BB4_4405 Depth=2
	v_mov_b64_e32 v[10:11], v[52:53]
	v_bfe_u32 v14, v52, 23, 1
; %bb.6186:                             ;   in Loop: Header=BB4_4405 Depth=2
	s_or_b32 exec_lo, exec_lo, s7
	s_delay_alu instid0(VALU_DEP_2) | instskip(NEXT) | instid1(VALU_DEP_2)
	v_lshrrev_b64 v[10:11], 21, v[10:11]
	v_cmp_gt_i32_e32 vcc_lo, 32, v14
	v_min_i32_e32 v15, 31, v14
	v_cmp_eq_u32_e64 s7, 0, v14
	s_delay_alu instid0(VALU_DEP_4) | instskip(NEXT) | instid1(VALU_DEP_3)
	v_cndmask_b32_e32 v11, 0, v11, vcc_lo
	v_dual_cndmask_b32 v10, 3, v10 :: v_dual_lshlrev_b32 v15, 2, v15
	s_delay_alu instid0(VALU_DEP_1) | instskip(NEXT) | instid1(VALU_DEP_2)
	v_and_b32_e32 v15, 0xfc, v15
	v_cmp_eq_u64_e32 vcc_lo, 0, v[10:11]
	s_delay_alu instid0(VALU_DEP_2)
	v_and_or_b32 v10, v10, 3, v15
	s_and_b32 s7, s7, vcc_lo
	s_delay_alu instid0(VALU_DEP_1) | instid1(SALU_CYCLE_1)
	v_cndmask_b32_e64 v10, v10, 0, s7
	s_delay_alu instid0(VALU_DEP_1)
	v_or_b32_e32 v57, v10, v18
.LBB4_6187:                             ;   in Loop: Header=BB4_4405 Depth=2
	s_or_b32 exec_lo, exec_lo, s41
                                        ; implicit-def: $vgpr18
.LBB4_6188:                             ;   in Loop: Header=BB4_4405 Depth=2
	s_and_not1_saveexec_b32 s7, s14
; %bb.6189:                             ;   in Loop: Header=BB4_4405 Depth=2
	v_or_b32_e32 v57, 0x7b, v18
; %bb.6190:                             ;   in Loop: Header=BB4_4405 Depth=2
	s_or_b32 exec_lo, exec_lo, s7
                                        ; implicit-def: $vgpr11
                                        ; implicit-def: $vgpr10
.LBB4_6191:                             ;   in Loop: Header=BB4_4405 Depth=2
	s_and_not1_saveexec_b32 s7, s13
	s_cbranch_execz .LBB4_6197
; %bb.6192:                             ;   in Loop: Header=BB4_4405 Depth=2
	s_mov_b32 s13, exec_lo
                                        ; implicit-def: $vgpr57
	v_cmpx_ne_u64_e32 0, v[52:53]
	s_xor_b32 s13, exec_lo, s13
; %bb.6193:                             ;   in Loop: Header=BB4_4405 Depth=2
	v_or_b32_e32 v57, 0x7f, v10
                                        ; implicit-def: $vgpr11
; %bb.6194:                             ;   in Loop: Header=BB4_4405 Depth=2
	s_and_not1_saveexec_b32 s13, s13
; %bb.6195:                             ;   in Loop: Header=BB4_4405 Depth=2
	v_cmp_lt_i32_e32 vcc_lo, -1, v11
	v_cndmask_b32_e32 v57, 0xfc, v110, vcc_lo
; %bb.6196:                             ;   in Loop: Header=BB4_4405 Depth=2
	s_or_b32 exec_lo, exec_lo, s13
.LBB4_6197:                             ;   in Loop: Header=BB4_4405 Depth=2
	s_delay_alu instid0(SALU_CYCLE_1) | instskip(SKIP_4) | instid1(VALU_DEP_3)
	s_or_b32 exec_lo, exec_lo, s7
	v_and_b32_e32 v14, 0xff, v17
	v_dual_mov_b32 v52, v17 :: v_dual_mov_b32 v10, v13
	v_mov_b32_e32 v11, v53
	s_and_not1_b32 vcc_lo, exec_lo, s12
	v_cmp_ne_u16_e64 s7, 0, v14
	s_mov_b32 s13, -1
                                        ; implicit-def: $vgpr18
	s_cbranch_vccnz .LBB4_6219
; %bb.6198:                             ;   in Loop: Header=BB4_4405 Depth=2
	v_dual_mov_b32 v18, 0 :: v_dual_mov_b32 v15, 0
	s_and_saveexec_b32 s13, s7
	s_cbranch_execz .LBB4_6208
; %bb.6199:                             ;   in Loop: Header=BB4_4405 Depth=2
	v_bfrev_b32_e32 v15, 1
	s_mov_b32 s14, exec_lo
	v_cmpx_ne_u16_e32 0x80, v14
	s_cbranch_execz .LBB4_6207
; %bb.6200:                             ;   in Loop: Header=BB4_4405 Depth=2
	v_and_b32_e32 v15, 0x7c, v17
	v_and_b32_e32 v19, 3, v17
	s_delay_alu instid0(VALU_DEP_2) | instskip(SKIP_1) | instid1(SALU_CYCLE_1)
	v_cmp_ne_u32_e32 vcc_lo, 0x7c, v15
                                        ; implicit-def: $vgpr15
	s_and_saveexec_b32 s41, vcc_lo
	s_xor_b32 s41, exec_lo, s41
	s_cbranch_execz .LBB4_6204
; %bb.6201:                             ;   in Loop: Header=BB4_4405 Depth=2
	v_bfe_u32 v15, v17, 2, 5
	s_mov_b32 s42, exec_lo
	s_delay_alu instid0(VALU_DEP_1)
	v_cmpx_eq_u32_e32 0, v15
; %bb.6202:                             ;   in Loop: Header=BB4_4405 Depth=2
	v_clz_i32_u32_e32 v15, v19
	s_delay_alu instid0(VALU_DEP_1) | instskip(NEXT) | instid1(VALU_DEP_1)
	v_min_u32_e32 v15, 32, v15
	v_subrev_nc_u32_e32 v19, 29, v15
	s_delay_alu instid0(VALU_DEP_1) | instskip(NEXT) | instid1(VALU_DEP_1)
	v_lshlrev_b64_e32 v[58:59], v19, v[52:53]
	v_dual_sub_nc_u32 v15, 30, v15 :: v_dual_bitop2_b32 v19, 3, v58 bitop3:0x40
; %bb.6203:                             ;   in Loop: Header=BB4_4405 Depth=2
	s_or_b32 exec_lo, exec_lo, s42
	v_lshlrev_b32_e32 v58, 24, v17
	s_delay_alu instid0(VALU_DEP_1) | instskip(NEXT) | instid1(VALU_DEP_1)
	v_and_b32_e32 v58, 0x80000000, v58
	v_lshl_add_u32 v15, v15, 23, v58
	s_delay_alu instid0(VALU_DEP_1) | instskip(NEXT) | instid1(VALU_DEP_1)
	v_lshl_or_b32 v15, v19, 21, v15
                                        ; implicit-def: $vgpr19
	v_add_nc_u32_e32 v15, 0x38000000, v15
.LBB4_6204:                             ;   in Loop: Header=BB4_4405 Depth=2
	s_and_not1_saveexec_b32 s41, s41
; %bb.6205:                             ;   in Loop: Header=BB4_4405 Depth=2
	v_bfe_i32 v15, v17, 0, 8
	s_delay_alu instid0(VALU_DEP_1) | instskip(SKIP_2) | instid1(VALU_DEP_2)
	v_cmp_lt_i16_e32 vcc_lo, -1, v15
	v_cndmask_b32_e32 v15, 0xff800000, v109, vcc_lo
	v_cmp_eq_u32_e32 vcc_lo, 0, v19
	v_cndmask_b32_e32 v15, 0x7f800001, v15, vcc_lo
; %bb.6206:                             ;   in Loop: Header=BB4_4405 Depth=2
	s_or_b32 exec_lo, exec_lo, s41
.LBB4_6207:                             ;   in Loop: Header=BB4_4405 Depth=2
	s_delay_alu instid0(SALU_CYCLE_1)
	s_or_b32 exec_lo, exec_lo, s14
.LBB4_6208:                             ;   in Loop: Header=BB4_4405 Depth=2
	s_delay_alu instid0(SALU_CYCLE_1) | instskip(SKIP_2) | instid1(VALU_DEP_1)
	s_or_b32 exec_lo, exec_lo, s13
	v_and_b32_e32 v19, 0xff, v13
	s_mov_b32 s13, exec_lo
	v_cmpx_ne_u16_e32 0, v19
	s_cbranch_execz .LBB4_6218
; %bb.6209:                             ;   in Loop: Header=BB4_4405 Depth=2
	v_bfrev_b32_e32 v18, 1
	s_mov_b32 s14, exec_lo
	v_cmpx_ne_u16_e32 0x80, v19
	s_cbranch_execz .LBB4_6217
; %bb.6210:                             ;   in Loop: Header=BB4_4405 Depth=2
	v_and_b32_e32 v18, 0x7c, v13
	v_and_b32_e32 v19, 3, v13
	s_delay_alu instid0(VALU_DEP_2) | instskip(SKIP_1) | instid1(SALU_CYCLE_1)
	v_cmp_ne_u32_e32 vcc_lo, 0x7c, v18
                                        ; implicit-def: $vgpr18
	s_and_saveexec_b32 s41, vcc_lo
	s_xor_b32 s41, exec_lo, s41
	s_cbranch_execz .LBB4_6214
; %bb.6211:                             ;   in Loop: Header=BB4_4405 Depth=2
	v_bfe_u32 v18, v13, 2, 5
	s_mov_b32 s42, exec_lo
	s_delay_alu instid0(VALU_DEP_1)
	v_cmpx_eq_u32_e32 0, v18
; %bb.6212:                             ;   in Loop: Header=BB4_4405 Depth=2
	v_clz_i32_u32_e32 v18, v19
	s_delay_alu instid0(VALU_DEP_1) | instskip(NEXT) | instid1(VALU_DEP_1)
	v_min_u32_e32 v18, 32, v18
	v_subrev_nc_u32_e32 v19, 29, v18
	v_sub_nc_u32_e32 v18, 30, v18
	s_delay_alu instid0(VALU_DEP_2) | instskip(NEXT) | instid1(VALU_DEP_1)
	v_lshlrev_b64_e32 v[58:59], v19, v[10:11]
	v_and_b32_e32 v19, 3, v58
; %bb.6213:                             ;   in Loop: Header=BB4_4405 Depth=2
	s_or_b32 exec_lo, exec_lo, s42
	v_lshlrev_b32_e32 v58, 24, v13
	s_delay_alu instid0(VALU_DEP_1) | instskip(NEXT) | instid1(VALU_DEP_1)
	v_and_b32_e32 v58, 0x80000000, v58
	v_lshl_add_u32 v18, v18, 23, v58
	s_delay_alu instid0(VALU_DEP_1) | instskip(NEXT) | instid1(VALU_DEP_1)
	v_lshl_or_b32 v18, v19, 21, v18
                                        ; implicit-def: $vgpr19
	v_add_nc_u32_e32 v18, 0x38000000, v18
.LBB4_6214:                             ;   in Loop: Header=BB4_4405 Depth=2
	s_and_not1_saveexec_b32 s41, s41
; %bb.6215:                             ;   in Loop: Header=BB4_4405 Depth=2
	v_bfe_i32 v18, v13, 0, 8
	s_delay_alu instid0(VALU_DEP_1) | instskip(SKIP_2) | instid1(VALU_DEP_2)
	v_cmp_lt_i16_e32 vcc_lo, -1, v18
	v_cndmask_b32_e32 v18, 0xff800000, v109, vcc_lo
	v_cmp_eq_u32_e32 vcc_lo, 0, v19
	v_cndmask_b32_e32 v18, 0x7f800001, v18, vcc_lo
; %bb.6216:                             ;   in Loop: Header=BB4_4405 Depth=2
	s_or_b32 exec_lo, exec_lo, s41
.LBB4_6217:                             ;   in Loop: Header=BB4_4405 Depth=2
	s_delay_alu instid0(SALU_CYCLE_1)
	s_or_b32 exec_lo, exec_lo, s14
.LBB4_6218:                             ;   in Loop: Header=BB4_4405 Depth=2
	s_delay_alu instid0(SALU_CYCLE_1) | instskip(NEXT) | instid1(VALU_DEP_1)
	s_or_b32 exec_lo, exec_lo, s13
	v_dual_max_num_f32 v18, v18, v18 :: v_dual_max_num_f32 v15, v15, v15
	s_mov_b32 s13, 0
	s_delay_alu instid0(VALU_DEP_1)
	v_max_num_f32_e32 v18, v15, v18
.LBB4_6219:                             ;   in Loop: Header=BB4_4405 Depth=2
	s_and_b32 vcc_lo, exec_lo, s13
	s_cbranch_vccz .LBB4_6241
; %bb.6220:                             ;   in Loop: Header=BB4_4405 Depth=2
	v_dual_mov_b32 v18, 0 :: v_dual_mov_b32 v15, 0
	s_and_saveexec_b32 s13, s7
	s_cbranch_execz .LBB4_6230
; %bb.6221:                             ;   in Loop: Header=BB4_4405 Depth=2
	v_bfrev_b32_e32 v15, 1
	s_mov_b32 s7, exec_lo
	v_cmpx_ne_u16_e32 0x80, v14
	s_cbranch_execz .LBB4_6229
; %bb.6222:                             ;   in Loop: Header=BB4_4405 Depth=2
	v_and_b32_e32 v15, 0x7c, v17
	v_and_b32_e32 v14, 3, v17
	s_delay_alu instid0(VALU_DEP_2) | instskip(SKIP_1) | instid1(SALU_CYCLE_1)
	v_cmp_ne_u32_e32 vcc_lo, 0x7c, v15
                                        ; implicit-def: $vgpr15
	s_and_saveexec_b32 s14, vcc_lo
	s_xor_b32 s14, exec_lo, s14
	s_cbranch_execz .LBB4_6226
; %bb.6223:                             ;   in Loop: Header=BB4_4405 Depth=2
	v_bfe_u32 v15, v17, 2, 5
	s_mov_b32 s41, exec_lo
	s_delay_alu instid0(VALU_DEP_1)
	v_cmpx_eq_u32_e32 0, v15
; %bb.6224:                             ;   in Loop: Header=BB4_4405 Depth=2
	v_clz_i32_u32_e32 v14, v14
	s_delay_alu instid0(VALU_DEP_1) | instskip(NEXT) | instid1(VALU_DEP_1)
	v_min_u32_e32 v19, 32, v14
	v_subrev_nc_u32_e32 v14, 29, v19
	s_delay_alu instid0(VALU_DEP_1) | instskip(NEXT) | instid1(VALU_DEP_1)
	v_lshlrev_b64_e32 v[14:15], v14, v[52:53]
	v_dual_sub_nc_u32 v15, 30, v19 :: v_dual_bitop2_b32 v14, 3, v14 bitop3:0x40
; %bb.6225:                             ;   in Loop: Header=BB4_4405 Depth=2
	s_or_b32 exec_lo, exec_lo, s41
	v_lshlrev_b32_e32 v19, 24, v17
	s_delay_alu instid0(VALU_DEP_1) | instskip(NEXT) | instid1(VALU_DEP_1)
	v_and_b32_e32 v19, 0x80000000, v19
	v_lshl_add_u32 v15, v15, 23, v19
	s_delay_alu instid0(VALU_DEP_1) | instskip(NEXT) | instid1(VALU_DEP_1)
	v_lshl_or_b32 v14, v14, 21, v15
	v_add_nc_u32_e32 v15, 0x38000000, v14
                                        ; implicit-def: $vgpr14
.LBB4_6226:                             ;   in Loop: Header=BB4_4405 Depth=2
	s_and_not1_saveexec_b32 s14, s14
; %bb.6227:                             ;   in Loop: Header=BB4_4405 Depth=2
	v_bfe_i32 v15, v17, 0, 8
	s_delay_alu instid0(VALU_DEP_1) | instskip(SKIP_2) | instid1(VALU_DEP_2)
	v_cmp_lt_i16_e32 vcc_lo, -1, v15
	v_cndmask_b32_e32 v15, 0xff800000, v109, vcc_lo
	v_cmp_eq_u32_e32 vcc_lo, 0, v14
	v_cndmask_b32_e32 v15, 0x7f800001, v15, vcc_lo
; %bb.6228:                             ;   in Loop: Header=BB4_4405 Depth=2
	s_or_b32 exec_lo, exec_lo, s14
.LBB4_6229:                             ;   in Loop: Header=BB4_4405 Depth=2
	s_delay_alu instid0(SALU_CYCLE_1)
	s_or_b32 exec_lo, exec_lo, s7
.LBB4_6230:                             ;   in Loop: Header=BB4_4405 Depth=2
	s_delay_alu instid0(SALU_CYCLE_1) | instskip(SKIP_2) | instid1(VALU_DEP_1)
	s_or_b32 exec_lo, exec_lo, s13
	v_and_b32_e32 v14, 0xff, v13
	s_mov_b32 s7, exec_lo
	v_cmpx_ne_u16_e32 0, v14
	s_cbranch_execz .LBB4_6240
; %bb.6231:                             ;   in Loop: Header=BB4_4405 Depth=2
	v_bfrev_b32_e32 v18, 1
	s_mov_b32 s13, exec_lo
	v_cmpx_ne_u16_e32 0x80, v14
	s_cbranch_execz .LBB4_6239
; %bb.6232:                             ;   in Loop: Header=BB4_4405 Depth=2
	v_and_b32_e32 v18, 0x7c, v13
	v_and_b32_e32 v14, 3, v13
	s_delay_alu instid0(VALU_DEP_2) | instskip(SKIP_1) | instid1(SALU_CYCLE_1)
	v_cmp_ne_u32_e32 vcc_lo, 0x7c, v18
                                        ; implicit-def: $vgpr18
	s_and_saveexec_b32 s14, vcc_lo
	s_xor_b32 s14, exec_lo, s14
	s_cbranch_execz .LBB4_6236
; %bb.6233:                             ;   in Loop: Header=BB4_4405 Depth=2
	v_bfe_u32 v18, v13, 2, 5
	s_mov_b32 s41, exec_lo
	s_delay_alu instid0(VALU_DEP_1)
	v_cmpx_eq_u32_e32 0, v18
; %bb.6234:                             ;   in Loop: Header=BB4_4405 Depth=2
	v_clz_i32_u32_e32 v14, v14
	s_delay_alu instid0(VALU_DEP_1) | instskip(NEXT) | instid1(VALU_DEP_1)
	v_min_u32_e32 v14, 32, v14
	v_subrev_nc_u32_e32 v18, 29, v14
	s_delay_alu instid0(VALU_DEP_1) | instskip(SKIP_1) | instid1(VALU_DEP_2)
	v_lshlrev_b64_e32 v[58:59], v18, v[10:11]
	v_sub_nc_u32_e32 v18, 30, v14
	v_and_b32_e32 v14, 3, v58
; %bb.6235:                             ;   in Loop: Header=BB4_4405 Depth=2
	s_or_b32 exec_lo, exec_lo, s41
	v_lshlrev_b32_e32 v11, 24, v13
	s_delay_alu instid0(VALU_DEP_1) | instskip(NEXT) | instid1(VALU_DEP_1)
	v_and_b32_e32 v11, 0x80000000, v11
	v_lshl_add_u32 v11, v18, 23, v11
	s_delay_alu instid0(VALU_DEP_1) | instskip(NEXT) | instid1(VALU_DEP_1)
	v_lshl_or_b32 v11, v14, 21, v11
                                        ; implicit-def: $vgpr14
	v_add_nc_u32_e32 v18, 0x38000000, v11
.LBB4_6236:                             ;   in Loop: Header=BB4_4405 Depth=2
	s_and_not1_saveexec_b32 s14, s14
; %bb.6237:                             ;   in Loop: Header=BB4_4405 Depth=2
	v_bfe_i32 v11, v13, 0, 8
	s_delay_alu instid0(VALU_DEP_1) | instskip(SKIP_2) | instid1(VALU_DEP_2)
	v_cmp_lt_i16_e32 vcc_lo, -1, v11
	v_cndmask_b32_e32 v11, 0xff800000, v109, vcc_lo
	v_cmp_eq_u32_e32 vcc_lo, 0, v14
	v_cndmask_b32_e32 v18, 0x7f800001, v11, vcc_lo
; %bb.6238:                             ;   in Loop: Header=BB4_4405 Depth=2
	s_or_b32 exec_lo, exec_lo, s14
.LBB4_6239:                             ;   in Loop: Header=BB4_4405 Depth=2
	s_delay_alu instid0(SALU_CYCLE_1)
	s_or_b32 exec_lo, exec_lo, s13
.LBB4_6240:                             ;   in Loop: Header=BB4_4405 Depth=2
	s_delay_alu instid0(SALU_CYCLE_1) | instskip(NEXT) | instid1(VALU_DEP_1)
	s_or_b32 exec_lo, exec_lo, s7
	v_dual_max_num_f32 v11, v18, v18 :: v_dual_max_num_f32 v14, v15, v15
	s_delay_alu instid0(VALU_DEP_1)
	v_min_num_f32_e32 v18, v14, v11
.LBB4_6241:                             ;   in Loop: Header=BB4_4405 Depth=2
	s_delay_alu instid0(VALU_DEP_1) | instskip(SKIP_3) | instid1(VALU_DEP_3)
	v_and_b32_e32 v58, 0x7f800000, v18
	v_dual_mov_b32 v59, v53 :: v_dual_mov_b32 v15, v53
	v_and_b32_e32 v14, 0x7fffff, v18
	v_lshrrev_b32_e32 v11, 24, v18
	v_cmp_ne_u64_e32 vcc_lo, 0x7f800000, v[58:59]
                                        ; implicit-def: $vgpr58
	s_and_saveexec_b32 s7, vcc_lo
	s_delay_alu instid0(SALU_CYCLE_1)
	s_xor_b32 s13, exec_lo, s7
	s_cbranch_execz .LBB4_6255
; %bb.6242:                             ;   in Loop: Header=BB4_4405 Depth=2
	v_and_b32_e32 v58, 0x7fffffff, v18
	v_mov_b32_e32 v59, v53
	v_and_b32_e32 v11, 0x80, v11
	s_delay_alu instid0(VALU_DEP_2) | instskip(SKIP_1) | instid1(SALU_CYCLE_1)
	v_cmp_gt_u64_e32 vcc_lo, 0x47600001, v[58:59]
                                        ; implicit-def: $vgpr58
	s_and_saveexec_b32 s7, vcc_lo
	s_xor_b32 s14, exec_lo, s7
	s_cbranch_execz .LBB4_6252
; %bb.6243:                             ;   in Loop: Header=BB4_4405 Depth=2
	v_mov_b32_e32 v58, 0
	s_mov_b32 s41, exec_lo
	v_cmpx_ne_u32_e32 0, v18
	s_cbranch_execz .LBB4_6251
; %bb.6244:                             ;   in Loop: Header=BB4_4405 Depth=2
	v_bfe_u32 v58, v18, 23, 8
	v_or_b32_e32 v60, 0x800000, v14
	s_delay_alu instid0(VALU_DEP_2) | instskip(SKIP_1) | instid1(VALU_DEP_2)
	v_sub_nc_u32_e32 v18, 0x71, v58
	v_cmp_gt_u32_e32 vcc_lo, 0x72, v58
	v_cndmask_b32_e32 v18, 0, v18, vcc_lo
	v_cmp_eq_u32_e32 vcc_lo, 0, v58
	s_delay_alu instid0(VALU_DEP_2) | instskip(NEXT) | instid1(VALU_DEP_1)
	v_cndmask_b32_e64 v59, v18, 0x70, vcc_lo
	v_dual_cndmask_b32 v14, v60, v14, vcc_lo :: v_dual_add_nc_u32 v18, 21, v59
	v_add_nc_u32_e32 v61, 20, v59
	s_delay_alu instid0(VALU_DEP_2) | instskip(NEXT) | instid1(VALU_DEP_2)
	v_lshlrev_b64_e64 v[18:19], v18, -1
	v_lshlrev_b64_e64 v[60:61], v61, 1
	s_delay_alu instid0(VALU_DEP_2) | instskip(SKIP_1) | instid1(VALU_DEP_4)
	v_bfi_b32 v18, v18, 0, v14
	v_lshrrev_b64 v[14:15], v59, v[14:15]
	v_bfi_b32 v19, v19, 0, 0
	s_delay_alu instid0(VALU_DEP_1) | instskip(NEXT) | instid1(VALU_DEP_3)
	v_cmp_eq_u64_e64 s7, v[18:19], v[60:61]
	v_mov_b64_e32 v[18:19], v[14:15]
	s_and_saveexec_b32 s42, s7
; %bb.6245:                             ;   in Loop: Header=BB4_4405 Depth=2
	v_bfe_u32 v18, v14, 21, 1
	v_mov_b32_e32 v19, v53
	s_delay_alu instid0(VALU_DEP_1) | instskip(NEXT) | instid1(VALU_DEP_1)
	v_add_nc_u64_e32 v[18:19], v[14:15], v[18:19]
	v_add_nc_u64_e32 v[18:19], -1, v[18:19]
; %bb.6246:                             ;   in Loop: Header=BB4_4405 Depth=2
	s_or_b32 exec_lo, exec_lo, s42
	v_add_nc_u32_e32 v15, 0xffffff81, v58
	v_lshrrev_b32_e32 v19, 23, v14
	s_mov_b32 s7, exec_lo
	s_delay_alu instid0(VALU_DEP_2) | instskip(NEXT) | instid1(VALU_DEP_1)
	v_cndmask_b32_e64 v15, v15, 0xffffff82, vcc_lo
	v_add3_u32 v19, v59, v15, v19
	v_and_b32_e32 v15, 0x1fffff, v18
                                        ; implicit-def: $vgpr18
	s_delay_alu instid0(VALU_DEP_1) | instskip(SKIP_1) | instid1(VALU_DEP_2)
	v_dual_add_nc_u32 v58, 14, v19 :: v_dual_add_nc_u32 v14, v15, v14
	v_mov_b32_e32 v15, v53
	v_cmpx_ne_u32_e32 0, v58
	s_xor_b32 s7, exec_lo, s7
; %bb.6247:                             ;   in Loop: Header=BB4_4405 Depth=2
	s_delay_alu instid0(VALU_DEP_2) | instskip(SKIP_2) | instid1(VALU_DEP_2)
	v_cmp_lt_u64_e32 vcc_lo, 0xffffff, v[14:15]
	v_add_nc_u32_e32 v18, 15, v19
	v_cndmask_b32_e64 v19, 0, 1, vcc_lo
	v_cndmask_b32_e32 v18, v58, v18, vcc_lo
	s_delay_alu instid0(VALU_DEP_2)
	v_lshrrev_b64 v[14:15], v19, v[14:15]
; %bb.6248:                             ;   in Loop: Header=BB4_4405 Depth=2
	s_and_not1_saveexec_b32 s7, s7
; %bb.6249:                             ;   in Loop: Header=BB4_4405 Depth=2
	s_delay_alu instid0(VALU_DEP_1)
	v_bfe_u32 v18, v14, 23, 1
; %bb.6250:                             ;   in Loop: Header=BB4_4405 Depth=2
	s_or_b32 exec_lo, exec_lo, s7
	s_delay_alu instid0(VALU_DEP_2) | instskip(NEXT) | instid1(VALU_DEP_2)
	v_lshrrev_b64 v[14:15], 21, v[14:15]
	v_cmp_gt_i32_e32 vcc_lo, 32, v18
	v_min_i32_e32 v19, 31, v18
	v_cmp_eq_u32_e64 s7, 0, v18
	s_delay_alu instid0(VALU_DEP_4) | instskip(NEXT) | instid1(VALU_DEP_3)
	v_cndmask_b32_e32 v15, 0, v15, vcc_lo
	v_dual_cndmask_b32 v14, 3, v14 :: v_dual_lshlrev_b32 v19, 2, v19
	s_delay_alu instid0(VALU_DEP_1) | instskip(NEXT) | instid1(VALU_DEP_2)
	v_and_b32_e32 v19, 0xfc, v19
	v_cmp_eq_u64_e32 vcc_lo, 0, v[14:15]
	s_delay_alu instid0(VALU_DEP_2)
	v_and_or_b32 v14, v14, 3, v19
	s_and_b32 s7, s7, vcc_lo
	s_delay_alu instid0(VALU_DEP_1) | instid1(SALU_CYCLE_1)
	v_cndmask_b32_e64 v14, v14, 0, s7
	s_delay_alu instid0(VALU_DEP_1)
	v_or_b32_e32 v58, v14, v11
.LBB4_6251:                             ;   in Loop: Header=BB4_4405 Depth=2
	s_or_b32 exec_lo, exec_lo, s41
                                        ; implicit-def: $vgpr11
.LBB4_6252:                             ;   in Loop: Header=BB4_4405 Depth=2
	s_and_not1_saveexec_b32 s7, s14
; %bb.6253:                             ;   in Loop: Header=BB4_4405 Depth=2
	v_or_b32_e32 v58, 0x7b, v11
; %bb.6254:                             ;   in Loop: Header=BB4_4405 Depth=2
	s_or_b32 exec_lo, exec_lo, s7
                                        ; implicit-def: $vgpr18
                                        ; implicit-def: $vgpr14_vgpr15
                                        ; implicit-def: $vgpr11
.LBB4_6255:                             ;   in Loop: Header=BB4_4405 Depth=2
	s_and_not1_saveexec_b32 s7, s13
	s_cbranch_execz .LBB4_6261
; %bb.6256:                             ;   in Loop: Header=BB4_4405 Depth=2
	s_mov_b32 s13, exec_lo
                                        ; implicit-def: $vgpr58
	v_cmpx_ne_u64_e32 0, v[14:15]
	s_xor_b32 s13, exec_lo, s13
; %bb.6257:                             ;   in Loop: Header=BB4_4405 Depth=2
	v_or_b32_e32 v58, 0x7f, v11
                                        ; implicit-def: $vgpr18
; %bb.6258:                             ;   in Loop: Header=BB4_4405 Depth=2
	s_and_not1_saveexec_b32 s13, s13
; %bb.6259:                             ;   in Loop: Header=BB4_4405 Depth=2
	v_cmp_lt_i32_e32 vcc_lo, -1, v18
	v_cndmask_b32_e32 v58, 0xfc, v110, vcc_lo
; %bb.6260:                             ;   in Loop: Header=BB4_4405 Depth=2
	s_or_b32 exec_lo, exec_lo, s13
.LBB4_6261:                             ;   in Loop: Header=BB4_4405 Depth=2
	s_delay_alu instid0(SALU_CYCLE_1) | instskip(SKIP_4) | instid1(VALU_DEP_2)
	s_or_b32 exec_lo, exec_lo, s7
	v_lshrrev_b16 v18, 8, v52
	v_lshrrev_b16 v14, 8, v10
	s_and_not1_b32 vcc_lo, exec_lo, s12
	s_mov_b32 s13, -1
                                        ; implicit-def: $vgpr15
	v_and_b32_e32 v11, 0xffff, v18
	v_cmp_ne_u16_e64 s7, 0, v18
	s_cbranch_vccnz .LBB4_6283
; %bb.6262:                             ;   in Loop: Header=BB4_4405 Depth=2
	v_dual_mov_b32 v15, 0 :: v_dual_mov_b32 v19, 0
	s_and_saveexec_b32 s13, s7
	s_cbranch_execz .LBB4_6272
; %bb.6263:                             ;   in Loop: Header=BB4_4405 Depth=2
	v_bfrev_b32_e32 v19, 1
	s_mov_b32 s14, exec_lo
	v_cmpx_ne_u16_e32 0x80, v18
	s_cbranch_execz .LBB4_6271
; %bb.6264:                             ;   in Loop: Header=BB4_4405 Depth=2
	v_and_b32_e32 v19, 0x7c, v11
	v_and_b32_e32 v59, 3, v11
	s_delay_alu instid0(VALU_DEP_2) | instskip(SKIP_1) | instid1(SALU_CYCLE_1)
	v_cmp_ne_u32_e32 vcc_lo, 0x7c, v19
                                        ; implicit-def: $vgpr19
	s_and_saveexec_b32 s41, vcc_lo
	s_xor_b32 s41, exec_lo, s41
	s_cbranch_execz .LBB4_6268
; %bb.6265:                             ;   in Loop: Header=BB4_4405 Depth=2
	v_bfe_u32 v19, v11, 2, 5
	s_mov_b32 s42, exec_lo
	s_delay_alu instid0(VALU_DEP_1)
	v_cmpx_eq_u32_e32 0, v19
; %bb.6266:                             ;   in Loop: Header=BB4_4405 Depth=2
	v_clz_i32_u32_e32 v19, v59
	s_delay_alu instid0(VALU_DEP_1) | instskip(SKIP_1) | instid1(VALU_DEP_2)
	v_min_u32_e32 v59, 32, v19
	v_mov_b32_e32 v19, v53
	v_subrev_nc_u32_e32 v60, 29, v59
	s_delay_alu instid0(VALU_DEP_1) | instskip(NEXT) | instid1(VALU_DEP_1)
	v_lshlrev_b64_e32 v[60:61], v60, v[18:19]
	v_dual_sub_nc_u32 v19, 30, v59 :: v_dual_bitop2_b32 v59, 3, v60 bitop3:0x40
; %bb.6267:                             ;   in Loop: Header=BB4_4405 Depth=2
	s_or_b32 exec_lo, exec_lo, s42
	v_lshlrev_b32_e32 v60, 16, v52
	s_delay_alu instid0(VALU_DEP_1) | instskip(NEXT) | instid1(VALU_DEP_1)
	v_and_b32_e32 v60, 0x80000000, v60
	v_lshl_add_u32 v19, v19, 23, v60
	s_delay_alu instid0(VALU_DEP_1) | instskip(NEXT) | instid1(VALU_DEP_1)
	v_lshl_or_b32 v19, v59, 21, v19
                                        ; implicit-def: $vgpr59
	v_add_nc_u32_e32 v19, 0x38000000, v19
.LBB4_6268:                             ;   in Loop: Header=BB4_4405 Depth=2
	s_and_not1_saveexec_b32 s41, s41
; %bb.6269:                             ;   in Loop: Header=BB4_4405 Depth=2
	v_cmp_lt_i16_e32 vcc_lo, -1, v52
	v_cndmask_b32_e32 v19, 0xff800000, v109, vcc_lo
	v_cmp_eq_u32_e32 vcc_lo, 0, v59
	s_delay_alu instid0(VALU_DEP_2)
	v_cndmask_b32_e32 v19, 0x7f800001, v19, vcc_lo
; %bb.6270:                             ;   in Loop: Header=BB4_4405 Depth=2
	s_or_b32 exec_lo, exec_lo, s41
.LBB4_6271:                             ;   in Loop: Header=BB4_4405 Depth=2
	s_delay_alu instid0(SALU_CYCLE_1)
	s_or_b32 exec_lo, exec_lo, s14
.LBB4_6272:                             ;   in Loop: Header=BB4_4405 Depth=2
	s_delay_alu instid0(SALU_CYCLE_1) | instskip(NEXT) | instid1(SALU_CYCLE_1)
	s_or_b32 exec_lo, exec_lo, s13
	s_mov_b32 s13, exec_lo
	v_cmpx_ne_u16_e32 0, v14
	s_cbranch_execz .LBB4_6282
; %bb.6273:                             ;   in Loop: Header=BB4_4405 Depth=2
	v_bfrev_b32_e32 v15, 1
	s_mov_b32 s14, exec_lo
	v_cmpx_ne_u16_e32 0x80, v14
	s_cbranch_execz .LBB4_6281
; %bb.6274:                             ;   in Loop: Header=BB4_4405 Depth=2
	v_and_b32_e32 v60, 0xffff, v14
	s_delay_alu instid0(VALU_DEP_1) | instskip(SKIP_1) | instid1(VALU_DEP_2)
	v_and_b32_e32 v15, 0x7c, v60
	v_and_b32_e32 v59, 3, v60
	v_cmp_ne_u32_e32 vcc_lo, 0x7c, v15
                                        ; implicit-def: $vgpr15
	s_and_saveexec_b32 s41, vcc_lo
	s_delay_alu instid0(SALU_CYCLE_1)
	s_xor_b32 s41, exec_lo, s41
	s_cbranch_execz .LBB4_6278
; %bb.6275:                             ;   in Loop: Header=BB4_4405 Depth=2
	v_bfe_u32 v15, v60, 2, 5
	s_mov_b32 s42, exec_lo
	s_delay_alu instid0(VALU_DEP_1)
	v_cmpx_eq_u32_e32 0, v15
; %bb.6276:                             ;   in Loop: Header=BB4_4405 Depth=2
	v_clz_i32_u32_e32 v15, v59
	s_delay_alu instid0(VALU_DEP_1) | instskip(SKIP_1) | instid1(VALU_DEP_2)
	v_min_u32_e32 v59, 32, v15
	v_mov_b32_e32 v15, v53
	v_subrev_nc_u32_e32 v60, 29, v59
	s_delay_alu instid0(VALU_DEP_1) | instskip(NEXT) | instid1(VALU_DEP_1)
	v_lshlrev_b64_e32 v[60:61], v60, v[14:15]
	v_dual_sub_nc_u32 v15, 30, v59 :: v_dual_bitop2_b32 v59, 3, v60 bitop3:0x40
; %bb.6277:                             ;   in Loop: Header=BB4_4405 Depth=2
	s_or_b32 exec_lo, exec_lo, s42
	v_lshlrev_b32_e32 v60, 16, v10
	s_delay_alu instid0(VALU_DEP_1) | instskip(NEXT) | instid1(VALU_DEP_1)
	v_and_b32_e32 v60, 0x80000000, v60
	v_lshl_add_u32 v15, v15, 23, v60
	s_delay_alu instid0(VALU_DEP_1) | instskip(NEXT) | instid1(VALU_DEP_1)
	v_lshl_or_b32 v15, v59, 21, v15
                                        ; implicit-def: $vgpr59
	v_add_nc_u32_e32 v15, 0x38000000, v15
.LBB4_6278:                             ;   in Loop: Header=BB4_4405 Depth=2
	s_and_not1_saveexec_b32 s41, s41
; %bb.6279:                             ;   in Loop: Header=BB4_4405 Depth=2
	v_cmp_lt_i16_e32 vcc_lo, -1, v10
	v_cndmask_b32_e32 v15, 0xff800000, v109, vcc_lo
	v_cmp_eq_u32_e32 vcc_lo, 0, v59
	s_delay_alu instid0(VALU_DEP_2)
	v_cndmask_b32_e32 v15, 0x7f800001, v15, vcc_lo
; %bb.6280:                             ;   in Loop: Header=BB4_4405 Depth=2
	s_or_b32 exec_lo, exec_lo, s41
.LBB4_6281:                             ;   in Loop: Header=BB4_4405 Depth=2
	s_delay_alu instid0(SALU_CYCLE_1)
	s_or_b32 exec_lo, exec_lo, s14
.LBB4_6282:                             ;   in Loop: Header=BB4_4405 Depth=2
	s_delay_alu instid0(SALU_CYCLE_1) | instskip(NEXT) | instid1(VALU_DEP_1)
	s_or_b32 exec_lo, exec_lo, s13
	v_max_num_f32_e32 v15, v15, v15
	v_max_num_f32_e32 v19, v19, v19
	s_mov_b32 s13, 0
	s_delay_alu instid0(VALU_DEP_1)
	v_max_num_f32_e32 v15, v19, v15
.LBB4_6283:                             ;   in Loop: Header=BB4_4405 Depth=2
	s_and_b32 vcc_lo, exec_lo, s13
	s_cbranch_vccz .LBB4_6305
; %bb.6284:                             ;   in Loop: Header=BB4_4405 Depth=2
	v_dual_mov_b32 v15, 0 :: v_dual_mov_b32 v19, 0
	s_and_saveexec_b32 s13, s7
	s_cbranch_execz .LBB4_6294
; %bb.6285:                             ;   in Loop: Header=BB4_4405 Depth=2
	v_bfrev_b32_e32 v19, 1
	s_mov_b32 s7, exec_lo
	v_cmpx_ne_u16_e32 0x80, v18
	s_cbranch_execz .LBB4_6293
; %bb.6286:                             ;   in Loop: Header=BB4_4405 Depth=2
	v_and_b32_e32 v19, 0x7c, v11
	v_and_b32_e32 v59, 3, v11
	s_delay_alu instid0(VALU_DEP_2) | instskip(SKIP_1) | instid1(SALU_CYCLE_1)
	v_cmp_ne_u32_e32 vcc_lo, 0x7c, v19
                                        ; implicit-def: $vgpr19
	s_and_saveexec_b32 s14, vcc_lo
	s_xor_b32 s14, exec_lo, s14
	s_cbranch_execz .LBB4_6290
; %bb.6287:                             ;   in Loop: Header=BB4_4405 Depth=2
	v_bfe_u32 v11, v11, 2, 5
	s_mov_b32 s41, exec_lo
	s_delay_alu instid0(VALU_DEP_1)
	v_cmpx_eq_u32_e32 0, v11
	s_cbranch_execz .LBB4_6289
; %bb.6288:                             ;   in Loop: Header=BB4_4405 Depth=2
	v_clz_i32_u32_e32 v11, v59
	s_delay_alu instid0(VALU_DEP_1) | instskip(SKIP_1) | instid1(VALU_DEP_2)
	v_min_u32_e32 v11, 32, v11
	v_mov_b32_e32 v19, v53
	v_subrev_nc_u32_e32 v59, 29, v11
	v_sub_nc_u32_e32 v11, 30, v11
	s_delay_alu instid0(VALU_DEP_2) | instskip(NEXT) | instid1(VALU_DEP_1)
	v_lshlrev_b64_e32 v[18:19], v59, v[18:19]
	v_and_b32_e32 v59, 3, v18
.LBB4_6289:                             ;   in Loop: Header=BB4_4405 Depth=2
	s_or_b32 exec_lo, exec_lo, s41
	v_lshlrev_b32_e32 v18, 16, v52
	s_delay_alu instid0(VALU_DEP_1) | instskip(NEXT) | instid1(VALU_DEP_1)
	v_and_b32_e32 v18, 0x80000000, v18
	v_lshl_add_u32 v11, v11, 23, v18
	s_delay_alu instid0(VALU_DEP_1) | instskip(NEXT) | instid1(VALU_DEP_1)
	v_lshl_or_b32 v11, v59, 21, v11
                                        ; implicit-def: $vgpr59
	v_add_nc_u32_e32 v19, 0x38000000, v11
.LBB4_6290:                             ;   in Loop: Header=BB4_4405 Depth=2
	s_and_not1_saveexec_b32 s14, s14
; %bb.6291:                             ;   in Loop: Header=BB4_4405 Depth=2
	v_cmp_lt_i16_e32 vcc_lo, -1, v52
	v_cndmask_b32_e32 v11, 0xff800000, v109, vcc_lo
	v_cmp_eq_u32_e32 vcc_lo, 0, v59
	s_delay_alu instid0(VALU_DEP_2)
	v_cndmask_b32_e32 v19, 0x7f800001, v11, vcc_lo
; %bb.6292:                             ;   in Loop: Header=BB4_4405 Depth=2
	s_or_b32 exec_lo, exec_lo, s14
.LBB4_6293:                             ;   in Loop: Header=BB4_4405 Depth=2
	s_delay_alu instid0(SALU_CYCLE_1)
	s_or_b32 exec_lo, exec_lo, s7
.LBB4_6294:                             ;   in Loop: Header=BB4_4405 Depth=2
	s_delay_alu instid0(SALU_CYCLE_1) | instskip(NEXT) | instid1(SALU_CYCLE_1)
	s_or_b32 exec_lo, exec_lo, s13
	s_mov_b32 s7, exec_lo
	v_cmpx_ne_u16_e32 0, v14
	s_cbranch_execz .LBB4_6304
; %bb.6295:                             ;   in Loop: Header=BB4_4405 Depth=2
	v_bfrev_b32_e32 v15, 1
	s_mov_b32 s13, exec_lo
	v_cmpx_ne_u16_e32 0x80, v14
	s_cbranch_execz .LBB4_6303
; %bb.6296:                             ;   in Loop: Header=BB4_4405 Depth=2
	v_and_b32_e32 v11, 0xffff, v14
	s_delay_alu instid0(VALU_DEP_1) | instskip(SKIP_1) | instid1(VALU_DEP_2)
	v_and_b32_e32 v15, 0x7c, v11
	v_and_b32_e32 v18, 3, v11
	v_cmp_ne_u32_e32 vcc_lo, 0x7c, v15
                                        ; implicit-def: $vgpr15
	s_and_saveexec_b32 s14, vcc_lo
	s_delay_alu instid0(SALU_CYCLE_1)
	s_xor_b32 s14, exec_lo, s14
	s_cbranch_execz .LBB4_6300
; %bb.6297:                             ;   in Loop: Header=BB4_4405 Depth=2
	v_bfe_u32 v11, v11, 2, 5
	s_mov_b32 s41, exec_lo
	s_delay_alu instid0(VALU_DEP_1)
	v_cmpx_eq_u32_e32 0, v11
	s_cbranch_execz .LBB4_6299
; %bb.6298:                             ;   in Loop: Header=BB4_4405 Depth=2
	v_clz_i32_u32_e32 v11, v18
	s_delay_alu instid0(VALU_DEP_1) | instskip(SKIP_1) | instid1(VALU_DEP_2)
	v_min_u32_e32 v11, 32, v11
	v_mov_b32_e32 v15, v53
	v_subrev_nc_u32_e32 v18, 29, v11
	v_sub_nc_u32_e32 v11, 30, v11
	s_delay_alu instid0(VALU_DEP_2) | instskip(NEXT) | instid1(VALU_DEP_1)
	v_lshlrev_b64_e32 v[14:15], v18, v[14:15]
	v_and_b32_e32 v18, 3, v14
.LBB4_6299:                             ;   in Loop: Header=BB4_4405 Depth=2
	s_or_b32 exec_lo, exec_lo, s41
	v_lshlrev_b32_e32 v10, 16, v10
	s_delay_alu instid0(VALU_DEP_1) | instskip(NEXT) | instid1(VALU_DEP_1)
	v_and_b32_e32 v10, 0x80000000, v10
	v_lshl_add_u32 v10, v11, 23, v10
	s_delay_alu instid0(VALU_DEP_1) | instskip(NEXT) | instid1(VALU_DEP_1)
	v_lshl_or_b32 v10, v18, 21, v10
                                        ; implicit-def: $vgpr18
	v_add_nc_u32_e32 v15, 0x38000000, v10
                                        ; implicit-def: $vgpr10_vgpr11
.LBB4_6300:                             ;   in Loop: Header=BB4_4405 Depth=2
	s_and_not1_saveexec_b32 s14, s14
; %bb.6301:                             ;   in Loop: Header=BB4_4405 Depth=2
	v_cmp_lt_i16_e32 vcc_lo, -1, v10
	v_cndmask_b32_e32 v10, 0xff800000, v109, vcc_lo
	v_cmp_eq_u32_e32 vcc_lo, 0, v18
	s_delay_alu instid0(VALU_DEP_2)
	v_cndmask_b32_e32 v15, 0x7f800001, v10, vcc_lo
; %bb.6302:                             ;   in Loop: Header=BB4_4405 Depth=2
	s_or_b32 exec_lo, exec_lo, s14
.LBB4_6303:                             ;   in Loop: Header=BB4_4405 Depth=2
	s_delay_alu instid0(SALU_CYCLE_1)
	s_or_b32 exec_lo, exec_lo, s13
.LBB4_6304:                             ;   in Loop: Header=BB4_4405 Depth=2
	s_delay_alu instid0(SALU_CYCLE_1) | instskip(NEXT) | instid1(VALU_DEP_1)
	s_or_b32 exec_lo, exec_lo, s7
	v_max_num_f32_e32 v10, v15, v15
	v_max_num_f32_e32 v11, v19, v19
	s_delay_alu instid0(VALU_DEP_1)
	v_min_num_f32_e32 v15, v11, v10
.LBB4_6305:                             ;   in Loop: Header=BB4_4405 Depth=2
	s_delay_alu instid0(VALU_DEP_1) | instskip(SKIP_2) | instid1(VALU_DEP_2)
	v_and_b32_e32 v10, 0x7f800000, v15
	v_mov_b32_e32 v11, v53
	v_and_b32_e32 v52, 0x7fffff, v15
                                        ; implicit-def: $vgpr18
	v_cmp_ne_u64_e32 vcc_lo, 0x7f800000, v[10:11]
	v_lshrrev_b32_e32 v10, 24, v15
	s_and_saveexec_b32 s7, vcc_lo
	s_delay_alu instid0(SALU_CYCLE_1)
	s_xor_b32 s13, exec_lo, s7
	s_cbranch_execz .LBB4_6319
; %bb.6306:                             ;   in Loop: Header=BB4_4405 Depth=2
	v_and_b32_e32 v18, 0x7fffffff, v15
	v_mov_b32_e32 v19, v53
	s_delay_alu instid0(VALU_DEP_1) | instskip(SKIP_2) | instid1(SALU_CYCLE_1)
	v_cmp_gt_u64_e32 vcc_lo, 0x47600001, v[18:19]
	v_and_b32_e32 v19, 0x80, v10
                                        ; implicit-def: $vgpr18
	s_and_saveexec_b32 s7, vcc_lo
	s_xor_b32 s14, exec_lo, s7
	s_cbranch_execz .LBB4_6316
; %bb.6307:                             ;   in Loop: Header=BB4_4405 Depth=2
	v_mov_b32_e32 v18, 0
	s_mov_b32 s41, exec_lo
	v_cmpx_ne_u32_e32 0, v15
	s_cbranch_execz .LBB4_6315
; %bb.6308:                             ;   in Loop: Header=BB4_4405 Depth=2
	v_bfe_u32 v18, v15, 23, 8
	v_or_b32_e32 v14, 0x800000, v52
	s_delay_alu instid0(VALU_DEP_2) | instskip(SKIP_1) | instid1(VALU_DEP_2)
	v_sub_nc_u32_e32 v10, 0x71, v18
	v_cmp_gt_u32_e32 vcc_lo, 0x72, v18
	v_cndmask_b32_e32 v10, 0, v10, vcc_lo
	v_cmp_eq_u32_e32 vcc_lo, 0, v18
	s_delay_alu instid0(VALU_DEP_2) | instskip(NEXT) | instid1(VALU_DEP_1)
	v_cndmask_b32_e64 v59, v10, 0x70, vcc_lo
	v_dual_cndmask_b32 v52, v14, v52, vcc_lo :: v_dual_add_nc_u32 v10, 21, v59
	v_add_nc_u32_e32 v15, 20, v59
	s_delay_alu instid0(VALU_DEP_2) | instskip(NEXT) | instid1(VALU_DEP_2)
	v_lshlrev_b64_e64 v[10:11], v10, -1
	v_lshlrev_b64_e64 v[14:15], v15, 1
	s_delay_alu instid0(VALU_DEP_2) | instskip(NEXT) | instid1(VALU_DEP_3)
	v_bfi_b32 v61, v11, 0, 0
	v_bfi_b32 v60, v10, 0, v52
	v_lshrrev_b64 v[10:11], v59, v[52:53]
	s_delay_alu instid0(VALU_DEP_2) | instskip(NEXT) | instid1(VALU_DEP_2)
	v_cmp_eq_u64_e64 s7, v[60:61], v[14:15]
	v_mov_b64_e32 v[14:15], v[10:11]
	s_and_saveexec_b32 s42, s7
; %bb.6309:                             ;   in Loop: Header=BB4_4405 Depth=2
	v_bfe_u32 v52, v10, 21, 1
	s_delay_alu instid0(VALU_DEP_1) | instskip(NEXT) | instid1(VALU_DEP_1)
	v_add_nc_u64_e32 v[14:15], v[10:11], v[52:53]
	v_add_nc_u64_e32 v[14:15], -1, v[14:15]
; %bb.6310:                             ;   in Loop: Header=BB4_4405 Depth=2
	s_or_b32 exec_lo, exec_lo, s42
	v_add_nc_u32_e32 v11, 0xffffff81, v18
	v_lshrrev_b32_e32 v15, 23, v10
	s_mov_b32 s7, exec_lo
	s_delay_alu instid0(VALU_DEP_2) | instskip(NEXT) | instid1(VALU_DEP_1)
	v_cndmask_b32_e64 v11, v11, 0xffffff82, vcc_lo
	v_add3_u32 v15, v59, v11, v15
	v_and_b32_e32 v11, 0x1fffff, v14
                                        ; implicit-def: $vgpr14
	s_delay_alu instid0(VALU_DEP_1) | instskip(NEXT) | instid1(VALU_DEP_1)
	v_dual_add_nc_u32 v18, 14, v15 :: v_dual_add_nc_u32 v52, v11, v10
                                        ; implicit-def: $vgpr10_vgpr11
	v_cmpx_ne_u32_e32 0, v18
	s_xor_b32 s7, exec_lo, s7
; %bb.6311:                             ;   in Loop: Header=BB4_4405 Depth=2
	s_delay_alu instid0(VALU_DEP_2) | instskip(SKIP_1) | instid1(VALU_DEP_1)
	v_cmp_lt_u64_e32 vcc_lo, 0xffffff, v[52:53]
	v_add_nc_u32_e32 v10, 15, v15
	v_cndmask_b32_e32 v14, v18, v10, vcc_lo
	v_cndmask_b32_e64 v10, 0, 1, vcc_lo
	s_delay_alu instid0(VALU_DEP_1)
	v_lshrrev_b64 v[10:11], v10, v[52:53]
; %bb.6312:                             ;   in Loop: Header=BB4_4405 Depth=2
	s_and_not1_saveexec_b32 s7, s7
; %bb.6313:                             ;   in Loop: Header=BB4_4405 Depth=2
	v_mov_b64_e32 v[10:11], v[52:53]
	v_bfe_u32 v14, v52, 23, 1
; %bb.6314:                             ;   in Loop: Header=BB4_4405 Depth=2
	s_or_b32 exec_lo, exec_lo, s7
	s_delay_alu instid0(VALU_DEP_2) | instskip(NEXT) | instid1(VALU_DEP_2)
	v_lshrrev_b64 v[10:11], 21, v[10:11]
	v_cmp_gt_i32_e32 vcc_lo, 32, v14
	v_min_i32_e32 v15, 31, v14
	v_cmp_eq_u32_e64 s7, 0, v14
	s_delay_alu instid0(VALU_DEP_4) | instskip(NEXT) | instid1(VALU_DEP_3)
	v_cndmask_b32_e32 v11, 0, v11, vcc_lo
	v_dual_cndmask_b32 v10, 3, v10 :: v_dual_lshlrev_b32 v15, 2, v15
	s_delay_alu instid0(VALU_DEP_1) | instskip(NEXT) | instid1(VALU_DEP_2)
	v_and_b32_e32 v15, 0xfc, v15
	v_cmp_eq_u64_e32 vcc_lo, 0, v[10:11]
	s_delay_alu instid0(VALU_DEP_2)
	v_and_or_b32 v10, v10, 3, v15
	s_and_b32 s7, s7, vcc_lo
	s_delay_alu instid0(VALU_DEP_1) | instid1(SALU_CYCLE_1)
	v_cndmask_b32_e64 v10, v10, 0, s7
	s_delay_alu instid0(VALU_DEP_1)
	v_or_b32_e32 v18, v10, v19
.LBB4_6315:                             ;   in Loop: Header=BB4_4405 Depth=2
	s_or_b32 exec_lo, exec_lo, s41
                                        ; implicit-def: $vgpr19
.LBB4_6316:                             ;   in Loop: Header=BB4_4405 Depth=2
	s_and_not1_saveexec_b32 s7, s14
; %bb.6317:                             ;   in Loop: Header=BB4_4405 Depth=2
	v_or_b32_e32 v18, 0x7b, v19
; %bb.6318:                             ;   in Loop: Header=BB4_4405 Depth=2
	s_or_b32 exec_lo, exec_lo, s7
                                        ; implicit-def: $vgpr15
                                        ; implicit-def: $vgpr10
.LBB4_6319:                             ;   in Loop: Header=BB4_4405 Depth=2
	s_and_not1_saveexec_b32 s7, s13
	s_cbranch_execz .LBB4_6325
; %bb.6320:                             ;   in Loop: Header=BB4_4405 Depth=2
	s_mov_b32 s13, exec_lo
                                        ; implicit-def: $vgpr18
	v_cmpx_ne_u64_e32 0, v[52:53]
	s_xor_b32 s13, exec_lo, s13
; %bb.6321:                             ;   in Loop: Header=BB4_4405 Depth=2
	v_or_b32_e32 v18, 0x7f, v10
                                        ; implicit-def: $vgpr15
; %bb.6322:                             ;   in Loop: Header=BB4_4405 Depth=2
	s_and_not1_saveexec_b32 s13, s13
; %bb.6323:                             ;   in Loop: Header=BB4_4405 Depth=2
	v_cmp_lt_i32_e32 vcc_lo, -1, v15
	v_cndmask_b32_e32 v18, 0xfc, v110, vcc_lo
; %bb.6324:                             ;   in Loop: Header=BB4_4405 Depth=2
	s_or_b32 exec_lo, exec_lo, s13
.LBB4_6325:                             ;   in Loop: Header=BB4_4405 Depth=2
	s_delay_alu instid0(SALU_CYCLE_1) | instskip(SKIP_4) | instid1(VALU_DEP_2)
	s_or_b32 exec_lo, exec_lo, s7
	v_lshrrev_b32_e32 v14, 16, v17
	v_lshrrev_b32_e32 v10, 16, v13
	s_and_not1_b32 vcc_lo, exec_lo, s12
	s_mov_b32 s13, -1
                                        ; implicit-def: $vgpr59
	v_and_b32_e32 v11, 0xff, v14
	s_delay_alu instid0(VALU_DEP_1)
	v_cmp_ne_u16_e64 s7, 0, v11
	s_cbranch_vccnz .LBB4_6347
; %bb.6326:                             ;   in Loop: Header=BB4_4405 Depth=2
	v_dual_mov_b32 v19, 0 :: v_dual_mov_b32 v15, 0
	s_and_saveexec_b32 s13, s7
	s_cbranch_execz .LBB4_6336
; %bb.6327:                             ;   in Loop: Header=BB4_4405 Depth=2
	v_bfrev_b32_e32 v15, 1
	s_mov_b32 s14, exec_lo
	v_cmpx_ne_u16_e32 0x80, v11
	s_cbranch_execz .LBB4_6335
; %bb.6328:                             ;   in Loop: Header=BB4_4405 Depth=2
	v_and_b32_e32 v15, 0x7c0000, v17
	v_bfe_u32 v52, v17, 16, 2
	s_delay_alu instid0(VALU_DEP_2) | instskip(SKIP_1) | instid1(SALU_CYCLE_1)
	v_cmp_ne_u32_e32 vcc_lo, 0x7c0000, v15
                                        ; implicit-def: $vgpr15
	s_and_saveexec_b32 s41, vcc_lo
	s_xor_b32 s41, exec_lo, s41
	s_cbranch_execz .LBB4_6332
; %bb.6329:                             ;   in Loop: Header=BB4_4405 Depth=2
	v_bfe_u32 v15, v17, 18, 5
	s_mov_b32 s42, exec_lo
	s_delay_alu instid0(VALU_DEP_1)
	v_cmpx_eq_u32_e32 0, v15
; %bb.6330:                             ;   in Loop: Header=BB4_4405 Depth=2
	v_clz_i32_u32_e32 v15, v52
	s_delay_alu instid0(VALU_DEP_1) | instskip(NEXT) | instid1(VALU_DEP_1)
	v_min_u32_e32 v15, 32, v15
	v_subrev_nc_u32_e32 v52, 29, v15
	s_delay_alu instid0(VALU_DEP_1) | instskip(NEXT) | instid1(VALU_DEP_1)
	v_lshlrev_b64_e32 v[60:61], v52, v[14:15]
	v_dual_sub_nc_u32 v15, 30, v15 :: v_dual_bitop2_b32 v52, 3, v60 bitop3:0x40
; %bb.6331:                             ;   in Loop: Header=BB4_4405 Depth=2
	s_or_b32 exec_lo, exec_lo, s42
	v_lshlrev_b32_e32 v59, 24, v14
	s_delay_alu instid0(VALU_DEP_1) | instskip(NEXT) | instid1(VALU_DEP_1)
	v_and_b32_e32 v59, 0x80000000, v59
	v_lshl_add_u32 v15, v15, 23, v59
	s_delay_alu instid0(VALU_DEP_1) | instskip(NEXT) | instid1(VALU_DEP_1)
	v_lshl_or_b32 v15, v52, 21, v15
                                        ; implicit-def: $vgpr52
	v_add_nc_u32_e32 v15, 0x38000000, v15
.LBB4_6332:                             ;   in Loop: Header=BB4_4405 Depth=2
	s_and_not1_saveexec_b32 s41, s41
; %bb.6333:                             ;   in Loop: Header=BB4_4405 Depth=2
	v_bfe_i32 v15, v14, 0, 8
	s_delay_alu instid0(VALU_DEP_1) | instskip(SKIP_2) | instid1(VALU_DEP_2)
	v_cmp_lt_i16_e32 vcc_lo, -1, v15
	v_cndmask_b32_e32 v15, 0xff800000, v109, vcc_lo
	v_cmp_eq_u32_e32 vcc_lo, 0, v52
	v_cndmask_b32_e32 v15, 0x7f800001, v15, vcc_lo
; %bb.6334:                             ;   in Loop: Header=BB4_4405 Depth=2
	s_or_b32 exec_lo, exec_lo, s41
.LBB4_6335:                             ;   in Loop: Header=BB4_4405 Depth=2
	s_delay_alu instid0(SALU_CYCLE_1)
	s_or_b32 exec_lo, exec_lo, s14
.LBB4_6336:                             ;   in Loop: Header=BB4_4405 Depth=2
	s_delay_alu instid0(SALU_CYCLE_1) | instskip(SKIP_2) | instid1(VALU_DEP_1)
	s_or_b32 exec_lo, exec_lo, s13
	v_and_b32_e32 v52, 0xff, v10
	s_mov_b32 s13, exec_lo
	v_cmpx_ne_u16_e32 0, v52
	s_cbranch_execz .LBB4_6346
; %bb.6337:                             ;   in Loop: Header=BB4_4405 Depth=2
	v_bfrev_b32_e32 v19, 1
	s_mov_b32 s14, exec_lo
	v_cmpx_ne_u16_e32 0x80, v52
	s_cbranch_execz .LBB4_6345
; %bb.6338:                             ;   in Loop: Header=BB4_4405 Depth=2
	v_and_b32_e32 v19, 0x7c0000, v13
	v_bfe_u32 v52, v13, 16, 2
	s_delay_alu instid0(VALU_DEP_2) | instskip(SKIP_1) | instid1(SALU_CYCLE_1)
	v_cmp_ne_u32_e32 vcc_lo, 0x7c0000, v19
                                        ; implicit-def: $vgpr19
	s_and_saveexec_b32 s41, vcc_lo
	s_xor_b32 s41, exec_lo, s41
	s_cbranch_execz .LBB4_6342
; %bb.6339:                             ;   in Loop: Header=BB4_4405 Depth=2
	v_bfe_u32 v19, v13, 18, 5
	s_mov_b32 s42, exec_lo
	s_delay_alu instid0(VALU_DEP_1)
	v_cmpx_eq_u32_e32 0, v19
; %bb.6340:                             ;   in Loop: Header=BB4_4405 Depth=2
	v_clz_i32_u32_e32 v19, v52
	s_delay_alu instid0(VALU_DEP_1) | instskip(NEXT) | instid1(VALU_DEP_1)
	v_min_u32_e32 v19, 32, v19
	v_subrev_nc_u32_e32 v52, 29, v19
	s_delay_alu instid0(VALU_DEP_1) | instskip(NEXT) | instid1(VALU_DEP_1)
	v_lshlrev_b64_e32 v[60:61], v52, v[10:11]
	v_dual_sub_nc_u32 v19, 30, v19 :: v_dual_bitop2_b32 v52, 3, v60 bitop3:0x40
; %bb.6341:                             ;   in Loop: Header=BB4_4405 Depth=2
	s_or_b32 exec_lo, exec_lo, s42
	v_lshlrev_b32_e32 v59, 24, v10
	s_delay_alu instid0(VALU_DEP_1) | instskip(NEXT) | instid1(VALU_DEP_1)
	v_and_b32_e32 v59, 0x80000000, v59
	v_lshl_add_u32 v19, v19, 23, v59
	s_delay_alu instid0(VALU_DEP_1) | instskip(NEXT) | instid1(VALU_DEP_1)
	v_lshl_or_b32 v19, v52, 21, v19
                                        ; implicit-def: $vgpr52
	v_add_nc_u32_e32 v19, 0x38000000, v19
.LBB4_6342:                             ;   in Loop: Header=BB4_4405 Depth=2
	s_and_not1_saveexec_b32 s41, s41
; %bb.6343:                             ;   in Loop: Header=BB4_4405 Depth=2
	v_bfe_i32 v19, v10, 0, 8
	s_delay_alu instid0(VALU_DEP_1) | instskip(SKIP_2) | instid1(VALU_DEP_2)
	v_cmp_lt_i16_e32 vcc_lo, -1, v19
	v_cndmask_b32_e32 v19, 0xff800000, v109, vcc_lo
	v_cmp_eq_u32_e32 vcc_lo, 0, v52
	v_cndmask_b32_e32 v19, 0x7f800001, v19, vcc_lo
; %bb.6344:                             ;   in Loop: Header=BB4_4405 Depth=2
	s_or_b32 exec_lo, exec_lo, s41
.LBB4_6345:                             ;   in Loop: Header=BB4_4405 Depth=2
	s_delay_alu instid0(SALU_CYCLE_1)
	s_or_b32 exec_lo, exec_lo, s14
.LBB4_6346:                             ;   in Loop: Header=BB4_4405 Depth=2
	s_delay_alu instid0(SALU_CYCLE_1) | instskip(NEXT) | instid1(VALU_DEP_1)
	s_or_b32 exec_lo, exec_lo, s13
	v_max_num_f32_e32 v19, v19, v19
	v_max_num_f32_e32 v15, v15, v15
	s_mov_b32 s13, 0
	s_delay_alu instid0(VALU_DEP_1)
	v_max_num_f32_e32 v59, v15, v19
.LBB4_6347:                             ;   in Loop: Header=BB4_4405 Depth=2
	s_and_b32 vcc_lo, exec_lo, s13
	s_cbranch_vccz .LBB4_6369
; %bb.6348:                             ;   in Loop: Header=BB4_4405 Depth=2
	v_dual_mov_b32 v19, 0 :: v_dual_mov_b32 v15, 0
	s_and_saveexec_b32 s13, s7
	s_cbranch_execz .LBB4_6358
; %bb.6349:                             ;   in Loop: Header=BB4_4405 Depth=2
	v_bfrev_b32_e32 v15, 1
	s_mov_b32 s7, exec_lo
	v_cmpx_ne_u16_e32 0x80, v11
	s_cbranch_execz .LBB4_6357
; %bb.6350:                             ;   in Loop: Header=BB4_4405 Depth=2
	v_and_b32_e32 v15, 0x7c0000, v17
	v_bfe_u32 v11, v17, 16, 2
	s_delay_alu instid0(VALU_DEP_2) | instskip(SKIP_1) | instid1(SALU_CYCLE_1)
	v_cmp_ne_u32_e32 vcc_lo, 0x7c0000, v15
                                        ; implicit-def: $vgpr15
	s_and_saveexec_b32 s14, vcc_lo
	s_xor_b32 s14, exec_lo, s14
	s_cbranch_execz .LBB4_6354
; %bb.6351:                             ;   in Loop: Header=BB4_4405 Depth=2
	v_bfe_u32 v15, v17, 18, 5
	s_mov_b32 s41, exec_lo
	s_delay_alu instid0(VALU_DEP_1)
	v_cmpx_eq_u32_e32 0, v15
; %bb.6352:                             ;   in Loop: Header=BB4_4405 Depth=2
	v_clz_i32_u32_e32 v11, v11
	s_delay_alu instid0(VALU_DEP_1) | instskip(NEXT) | instid1(VALU_DEP_1)
	v_min_u32_e32 v11, 32, v11
	v_subrev_nc_u32_e32 v15, 29, v11
	s_delay_alu instid0(VALU_DEP_1) | instskip(NEXT) | instid1(VALU_DEP_1)
	v_lshlrev_b64_e32 v[60:61], v15, v[14:15]
	v_dual_sub_nc_u32 v15, 30, v11 :: v_dual_bitop2_b32 v11, 3, v60 bitop3:0x40
; %bb.6353:                             ;   in Loop: Header=BB4_4405 Depth=2
	s_or_b32 exec_lo, exec_lo, s41
	v_lshlrev_b32_e32 v14, 24, v14
	s_delay_alu instid0(VALU_DEP_1) | instskip(NEXT) | instid1(VALU_DEP_1)
	v_and_b32_e32 v14, 0x80000000, v14
	v_lshl_add_u32 v14, v15, 23, v14
	s_delay_alu instid0(VALU_DEP_1) | instskip(NEXT) | instid1(VALU_DEP_1)
	v_lshl_or_b32 v11, v11, 21, v14
                                        ; implicit-def: $vgpr14
	v_add_nc_u32_e32 v15, 0x38000000, v11
                                        ; implicit-def: $vgpr11
.LBB4_6354:                             ;   in Loop: Header=BB4_4405 Depth=2
	s_and_not1_saveexec_b32 s14, s14
; %bb.6355:                             ;   in Loop: Header=BB4_4405 Depth=2
	v_bfe_i32 v14, v14, 0, 8
	s_delay_alu instid0(VALU_DEP_1) | instskip(SKIP_2) | instid1(VALU_DEP_2)
	v_cmp_lt_i16_e32 vcc_lo, -1, v14
	v_cndmask_b32_e32 v14, 0xff800000, v109, vcc_lo
	v_cmp_eq_u32_e32 vcc_lo, 0, v11
	v_cndmask_b32_e32 v15, 0x7f800001, v14, vcc_lo
; %bb.6356:                             ;   in Loop: Header=BB4_4405 Depth=2
	s_or_b32 exec_lo, exec_lo, s14
.LBB4_6357:                             ;   in Loop: Header=BB4_4405 Depth=2
	s_delay_alu instid0(SALU_CYCLE_1)
	s_or_b32 exec_lo, exec_lo, s7
.LBB4_6358:                             ;   in Loop: Header=BB4_4405 Depth=2
	s_delay_alu instid0(SALU_CYCLE_1) | instskip(SKIP_2) | instid1(VALU_DEP_1)
	s_or_b32 exec_lo, exec_lo, s13
	v_and_b32_e32 v11, 0xff, v10
	s_mov_b32 s7, exec_lo
	v_cmpx_ne_u16_e32 0, v11
	s_cbranch_execz .LBB4_6368
; %bb.6359:                             ;   in Loop: Header=BB4_4405 Depth=2
	v_bfrev_b32_e32 v19, 1
	s_mov_b32 s13, exec_lo
	v_cmpx_ne_u16_e32 0x80, v11
	s_cbranch_execz .LBB4_6367
; %bb.6360:                             ;   in Loop: Header=BB4_4405 Depth=2
	v_and_b32_e32 v14, 0x7c0000, v13
	v_bfe_u32 v11, v13, 16, 2
	s_mov_b32 s14, exec_lo
                                        ; implicit-def: $vgpr19
	s_delay_alu instid0(VALU_DEP_2)
	v_cmpx_ne_u32_e32 0x7c0000, v14
	s_xor_b32 s14, exec_lo, s14
	s_cbranch_execz .LBB4_6364
; %bb.6361:                             ;   in Loop: Header=BB4_4405 Depth=2
	v_bfe_u32 v14, v13, 18, 5
	s_mov_b32 s41, exec_lo
	s_delay_alu instid0(VALU_DEP_1)
	v_cmpx_eq_u32_e32 0, v14
; %bb.6362:                             ;   in Loop: Header=BB4_4405 Depth=2
	v_clz_i32_u32_e32 v11, v11
	s_delay_alu instid0(VALU_DEP_1) | instskip(NEXT) | instid1(VALU_DEP_1)
	v_min_u32_e32 v11, 32, v11
	v_subrev_nc_u32_e32 v14, 29, v11
	s_delay_alu instid0(VALU_DEP_1) | instskip(NEXT) | instid1(VALU_DEP_1)
	v_lshlrev_b64_e32 v[60:61], v14, v[10:11]
	v_dual_sub_nc_u32 v14, 30, v11 :: v_dual_bitop2_b32 v11, 3, v60 bitop3:0x40
; %bb.6363:                             ;   in Loop: Header=BB4_4405 Depth=2
	s_or_b32 exec_lo, exec_lo, s41
	v_lshlrev_b32_e32 v10, 24, v10
	s_delay_alu instid0(VALU_DEP_1) | instskip(NEXT) | instid1(VALU_DEP_1)
	v_and_b32_e32 v10, 0x80000000, v10
	v_lshl_add_u32 v10, v14, 23, v10
	s_delay_alu instid0(VALU_DEP_1) | instskip(NEXT) | instid1(VALU_DEP_1)
	v_lshl_or_b32 v10, v11, 21, v10
                                        ; implicit-def: $vgpr11
	v_add_nc_u32_e32 v19, 0x38000000, v10
                                        ; implicit-def: $vgpr10
.LBB4_6364:                             ;   in Loop: Header=BB4_4405 Depth=2
	s_and_not1_saveexec_b32 s14, s14
; %bb.6365:                             ;   in Loop: Header=BB4_4405 Depth=2
	v_bfe_i32 v10, v10, 0, 8
	s_delay_alu instid0(VALU_DEP_1) | instskip(SKIP_2) | instid1(VALU_DEP_2)
	v_cmp_lt_i16_e32 vcc_lo, -1, v10
	v_cndmask_b32_e32 v10, 0xff800000, v109, vcc_lo
	v_cmp_eq_u32_e32 vcc_lo, 0, v11
	v_cndmask_b32_e32 v19, 0x7f800001, v10, vcc_lo
; %bb.6366:                             ;   in Loop: Header=BB4_4405 Depth=2
	s_or_b32 exec_lo, exec_lo, s14
.LBB4_6367:                             ;   in Loop: Header=BB4_4405 Depth=2
	s_delay_alu instid0(SALU_CYCLE_1)
	s_or_b32 exec_lo, exec_lo, s13
.LBB4_6368:                             ;   in Loop: Header=BB4_4405 Depth=2
	s_delay_alu instid0(SALU_CYCLE_1) | instskip(NEXT) | instid1(VALU_DEP_1)
	s_or_b32 exec_lo, exec_lo, s7
	v_max_num_f32_e32 v10, v19, v19
	v_max_num_f32_e32 v11, v15, v15
	s_delay_alu instid0(VALU_DEP_1)
	v_min_num_f32_e32 v59, v11, v10
.LBB4_6369:                             ;   in Loop: Header=BB4_4405 Depth=2
	s_delay_alu instid0(VALU_DEP_1) | instskip(SKIP_2) | instid1(VALU_DEP_2)
	v_and_b32_e32 v10, 0x7f800000, v59
	v_mov_b32_e32 v11, v53
	v_and_b32_e32 v52, 0x7fffff, v59
                                        ; implicit-def: $vgpr15
	v_cmp_ne_u64_e32 vcc_lo, 0x7f800000, v[10:11]
	v_lshrrev_b32_e32 v10, 24, v59
	s_and_saveexec_b32 s7, vcc_lo
	s_delay_alu instid0(SALU_CYCLE_1)
	s_xor_b32 s13, exec_lo, s7
	s_cbranch_execz .LBB4_6383
; %bb.6370:                             ;   in Loop: Header=BB4_4405 Depth=2
	v_and_b32_e32 v14, 0x7fffffff, v59
	v_mov_b32_e32 v15, v53
	v_and_b32_e32 v19, 0x80, v10
	s_delay_alu instid0(VALU_DEP_2) | instskip(SKIP_1) | instid1(SALU_CYCLE_1)
	v_cmp_gt_u64_e32 vcc_lo, 0x47600001, v[14:15]
                                        ; implicit-def: $vgpr15
	s_and_saveexec_b32 s7, vcc_lo
	s_xor_b32 s14, exec_lo, s7
	s_cbranch_execz .LBB4_6380
; %bb.6371:                             ;   in Loop: Header=BB4_4405 Depth=2
	v_mov_b32_e32 v15, 0
	s_mov_b32 s41, exec_lo
	v_cmpx_ne_u32_e32 0, v59
	s_cbranch_execz .LBB4_6379
; %bb.6372:                             ;   in Loop: Header=BB4_4405 Depth=2
	v_bfe_u32 v59, v59, 23, 8
	v_or_b32_e32 v14, 0x800000, v52
	s_delay_alu instid0(VALU_DEP_2) | instskip(SKIP_1) | instid1(VALU_DEP_2)
	v_sub_nc_u32_e32 v10, 0x71, v59
	v_cmp_gt_u32_e32 vcc_lo, 0x72, v59
	v_cndmask_b32_e32 v10, 0, v10, vcc_lo
	v_cmp_eq_u32_e32 vcc_lo, 0, v59
	s_delay_alu instid0(VALU_DEP_2) | instskip(SKIP_1) | instid1(VALU_DEP_2)
	v_cndmask_b32_e64 v60, v10, 0x70, vcc_lo
	v_cndmask_b32_e32 v52, v14, v52, vcc_lo
	v_dual_add_nc_u32 v10, 21, v60 :: v_dual_add_nc_u32 v15, 20, v60
	s_delay_alu instid0(VALU_DEP_1) | instskip(NEXT) | instid1(VALU_DEP_2)
	v_lshlrev_b64_e64 v[10:11], v10, -1
	v_lshlrev_b64_e64 v[14:15], v15, 1
	s_delay_alu instid0(VALU_DEP_2) | instskip(NEXT) | instid1(VALU_DEP_3)
	v_bfi_b32 v63, v11, 0, 0
	v_bfi_b32 v62, v10, 0, v52
	v_lshrrev_b64 v[10:11], v60, v[52:53]
	s_delay_alu instid0(VALU_DEP_2) | instskip(NEXT) | instid1(VALU_DEP_2)
	v_cmp_eq_u64_e64 s7, v[62:63], v[14:15]
	v_mov_b64_e32 v[14:15], v[10:11]
	s_and_saveexec_b32 s42, s7
; %bb.6373:                             ;   in Loop: Header=BB4_4405 Depth=2
	v_bfe_u32 v52, v10, 21, 1
	s_delay_alu instid0(VALU_DEP_1) | instskip(NEXT) | instid1(VALU_DEP_1)
	v_add_nc_u64_e32 v[14:15], v[10:11], v[52:53]
	v_add_nc_u64_e32 v[14:15], -1, v[14:15]
; %bb.6374:                             ;   in Loop: Header=BB4_4405 Depth=2
	s_or_b32 exec_lo, exec_lo, s42
	v_add_nc_u32_e32 v11, 0xffffff81, v59
	v_lshrrev_b32_e32 v15, 23, v10
	s_mov_b32 s7, exec_lo
	s_delay_alu instid0(VALU_DEP_2) | instskip(NEXT) | instid1(VALU_DEP_1)
	v_cndmask_b32_e64 v11, v11, 0xffffff82, vcc_lo
	v_add3_u32 v15, v60, v11, v15
	v_and_b32_e32 v11, 0x1fffff, v14
                                        ; implicit-def: $vgpr14
	s_delay_alu instid0(VALU_DEP_1) | instskip(NEXT) | instid1(VALU_DEP_1)
	v_dual_add_nc_u32 v59, 14, v15 :: v_dual_add_nc_u32 v52, v11, v10
                                        ; implicit-def: $vgpr10_vgpr11
	v_cmpx_ne_u32_e32 0, v59
	s_xor_b32 s7, exec_lo, s7
; %bb.6375:                             ;   in Loop: Header=BB4_4405 Depth=2
	s_delay_alu instid0(VALU_DEP_2) | instskip(SKIP_1) | instid1(VALU_DEP_1)
	v_cmp_lt_u64_e32 vcc_lo, 0xffffff, v[52:53]
	v_add_nc_u32_e32 v10, 15, v15
	v_cndmask_b32_e32 v14, v59, v10, vcc_lo
	v_cndmask_b32_e64 v10, 0, 1, vcc_lo
	s_delay_alu instid0(VALU_DEP_1)
	v_lshrrev_b64 v[10:11], v10, v[52:53]
; %bb.6376:                             ;   in Loop: Header=BB4_4405 Depth=2
	s_and_not1_saveexec_b32 s7, s7
; %bb.6377:                             ;   in Loop: Header=BB4_4405 Depth=2
	v_mov_b64_e32 v[10:11], v[52:53]
	v_bfe_u32 v14, v52, 23, 1
; %bb.6378:                             ;   in Loop: Header=BB4_4405 Depth=2
	s_or_b32 exec_lo, exec_lo, s7
	s_delay_alu instid0(VALU_DEP_2) | instskip(NEXT) | instid1(VALU_DEP_2)
	v_lshrrev_b64 v[10:11], 21, v[10:11]
	v_cmp_gt_i32_e32 vcc_lo, 32, v14
	v_min_i32_e32 v15, 31, v14
	v_cmp_eq_u32_e64 s7, 0, v14
	s_delay_alu instid0(VALU_DEP_4) | instskip(NEXT) | instid1(VALU_DEP_3)
	v_cndmask_b32_e32 v11, 0, v11, vcc_lo
	v_dual_cndmask_b32 v10, 3, v10 :: v_dual_lshlrev_b32 v15, 2, v15
	s_delay_alu instid0(VALU_DEP_1) | instskip(NEXT) | instid1(VALU_DEP_2)
	v_and_b32_e32 v15, 0xfc, v15
	v_cmp_eq_u64_e32 vcc_lo, 0, v[10:11]
	s_delay_alu instid0(VALU_DEP_2)
	v_and_or_b32 v10, v10, 3, v15
	s_and_b32 s7, s7, vcc_lo
	s_delay_alu instid0(VALU_DEP_1) | instid1(SALU_CYCLE_1)
	v_cndmask_b32_e64 v10, v10, 0, s7
	s_delay_alu instid0(VALU_DEP_1)
	v_or_b32_e32 v15, v10, v19
.LBB4_6379:                             ;   in Loop: Header=BB4_4405 Depth=2
	s_or_b32 exec_lo, exec_lo, s41
                                        ; implicit-def: $vgpr19
.LBB4_6380:                             ;   in Loop: Header=BB4_4405 Depth=2
	s_and_not1_saveexec_b32 s7, s14
; %bb.6381:                             ;   in Loop: Header=BB4_4405 Depth=2
	v_or_b32_e32 v15, 0x7b, v19
; %bb.6382:                             ;   in Loop: Header=BB4_4405 Depth=2
	s_or_b32 exec_lo, exec_lo, s7
                                        ; implicit-def: $vgpr59
                                        ; implicit-def: $vgpr10
.LBB4_6383:                             ;   in Loop: Header=BB4_4405 Depth=2
	s_and_not1_saveexec_b32 s7, s13
	s_cbranch_execz .LBB4_6389
; %bb.6384:                             ;   in Loop: Header=BB4_4405 Depth=2
	s_mov_b32 s13, exec_lo
                                        ; implicit-def: $vgpr15
	v_cmpx_ne_u64_e32 0, v[52:53]
	s_xor_b32 s13, exec_lo, s13
; %bb.6385:                             ;   in Loop: Header=BB4_4405 Depth=2
	v_or_b32_e32 v15, 0x7f, v10
                                        ; implicit-def: $vgpr59
; %bb.6386:                             ;   in Loop: Header=BB4_4405 Depth=2
	s_and_not1_saveexec_b32 s13, s13
; %bb.6387:                             ;   in Loop: Header=BB4_4405 Depth=2
	v_cmp_lt_i32_e32 vcc_lo, -1, v59
	v_cndmask_b32_e32 v15, 0xfc, v110, vcc_lo
; %bb.6388:                             ;   in Loop: Header=BB4_4405 Depth=2
	s_or_b32 exec_lo, exec_lo, s13
.LBB4_6389:                             ;   in Loop: Header=BB4_4405 Depth=2
	s_delay_alu instid0(SALU_CYCLE_1)
	s_or_b32 exec_lo, exec_lo, s7
	v_cmp_lt_u64_e64 s7, s[16:17], v[16:17]
	v_lshrrev_b32_e32 v14, 24, v17
	v_lshrrev_b32_e32 v10, 24, v13
	s_and_not1_b32 vcc_lo, exec_lo, s12
	s_mov_b32 s13, -1
                                        ; implicit-def: $vgpr11
	s_cbranch_vccnz .LBB4_6411
; %bb.6390:                             ;   in Loop: Header=BB4_4405 Depth=2
	v_dual_mov_b32 v19, 0 :: v_dual_mov_b32 v11, 0
	s_and_saveexec_b32 s13, s7
	s_cbranch_execz .LBB4_6400
; %bb.6391:                             ;   in Loop: Header=BB4_4405 Depth=2
	v_bfrev_b32_e32 v11, 1
	s_mov_b32 s14, exec_lo
	v_cmpx_ne_u32_e32 0x80, v14
	s_cbranch_execz .LBB4_6399
; %bb.6392:                             ;   in Loop: Header=BB4_4405 Depth=2
	v_and_b32_e32 v11, 0x7c000000, v17
	v_bfe_u32 v52, v17, 24, 2
	s_delay_alu instid0(VALU_DEP_2) | instskip(SKIP_1) | instid1(SALU_CYCLE_1)
	v_cmp_ne_u32_e32 vcc_lo, 0x7c000000, v11
                                        ; implicit-def: $vgpr11
	s_and_saveexec_b32 s41, vcc_lo
	s_xor_b32 s41, exec_lo, s41
	s_cbranch_execz .LBB4_6396
; %bb.6393:                             ;   in Loop: Header=BB4_4405 Depth=2
	v_bfe_u32 v11, v17, 26, 5
	s_mov_b32 s42, exec_lo
	s_delay_alu instid0(VALU_DEP_1)
	v_cmpx_eq_u32_e32 0, v11
; %bb.6394:                             ;   in Loop: Header=BB4_4405 Depth=2
	v_clz_i32_u32_e32 v11, v52
	s_delay_alu instid0(VALU_DEP_1) | instskip(NEXT) | instid1(VALU_DEP_1)
	v_min_u32_e32 v11, 32, v11
	v_subrev_nc_u32_e32 v52, 29, v11
	s_delay_alu instid0(VALU_DEP_1) | instskip(NEXT) | instid1(VALU_DEP_1)
	v_lshlrev_b64_e32 v[60:61], v52, v[14:15]
	v_dual_sub_nc_u32 v11, 30, v11 :: v_dual_bitop2_b32 v52, 3, v60 bitop3:0x40
; %bb.6395:                             ;   in Loop: Header=BB4_4405 Depth=2
	s_or_b32 exec_lo, exec_lo, s42
	v_and_b32_e32 v59, 0x80000000, v17
	s_delay_alu instid0(VALU_DEP_1) | instskip(NEXT) | instid1(VALU_DEP_1)
	v_lshl_add_u32 v11, v11, 23, v59
	v_lshl_or_b32 v11, v52, 21, v11
                                        ; implicit-def: $vgpr52
	s_delay_alu instid0(VALU_DEP_1)
	v_add_nc_u32_e32 v11, 0x38000000, v11
.LBB4_6396:                             ;   in Loop: Header=BB4_4405 Depth=2
	s_and_not1_saveexec_b32 s41, s41
; %bb.6397:                             ;   in Loop: Header=BB4_4405 Depth=2
	v_cmp_lt_i64_e32 vcc_lo, -1, v[16:17]
	v_cndmask_b32_e32 v11, 0xff800000, v109, vcc_lo
	v_cmp_eq_u32_e32 vcc_lo, 0, v52
	s_delay_alu instid0(VALU_DEP_2)
	v_cndmask_b32_e32 v11, 0x7f800001, v11, vcc_lo
; %bb.6398:                             ;   in Loop: Header=BB4_4405 Depth=2
	s_or_b32 exec_lo, exec_lo, s41
.LBB4_6399:                             ;   in Loop: Header=BB4_4405 Depth=2
	s_delay_alu instid0(SALU_CYCLE_1)
	s_or_b32 exec_lo, exec_lo, s14
.LBB4_6400:                             ;   in Loop: Header=BB4_4405 Depth=2
	s_delay_alu instid0(SALU_CYCLE_1) | instskip(NEXT) | instid1(SALU_CYCLE_1)
	s_or_b32 exec_lo, exec_lo, s13
	s_mov_b32 s13, exec_lo
	v_cmpx_lt_u64_e64 s[16:17], v[12:13]
	s_cbranch_execz .LBB4_6410
; %bb.6401:                             ;   in Loop: Header=BB4_4405 Depth=2
	v_bfrev_b32_e32 v19, 1
	s_mov_b32 s14, exec_lo
	v_cmpx_ne_u32_e32 0x80, v10
	s_cbranch_execz .LBB4_6409
; %bb.6402:                             ;   in Loop: Header=BB4_4405 Depth=2
	v_and_b32_e32 v19, 0x7c000000, v13
	v_bfe_u32 v52, v13, 24, 2
	s_delay_alu instid0(VALU_DEP_2) | instskip(SKIP_1) | instid1(SALU_CYCLE_1)
	v_cmp_ne_u32_e32 vcc_lo, 0x7c000000, v19
                                        ; implicit-def: $vgpr19
	s_and_saveexec_b32 s41, vcc_lo
	s_xor_b32 s41, exec_lo, s41
	s_cbranch_execz .LBB4_6406
; %bb.6403:                             ;   in Loop: Header=BB4_4405 Depth=2
	v_bfe_u32 v19, v13, 26, 5
	s_mov_b32 s42, exec_lo
	s_delay_alu instid0(VALU_DEP_1)
	v_cmpx_eq_u32_e32 0, v19
; %bb.6404:                             ;   in Loop: Header=BB4_4405 Depth=2
	v_clz_i32_u32_e32 v19, v52
	s_delay_alu instid0(VALU_DEP_1) | instskip(NEXT) | instid1(VALU_DEP_1)
	v_min_u32_e32 v19, 32, v19
	v_subrev_nc_u32_e32 v52, 29, v19
	s_delay_alu instid0(VALU_DEP_1) | instskip(NEXT) | instid1(VALU_DEP_1)
	v_lshlrev_b64_e32 v[60:61], v52, v[10:11]
	v_dual_sub_nc_u32 v19, 30, v19 :: v_dual_bitop2_b32 v52, 3, v60 bitop3:0x40
; %bb.6405:                             ;   in Loop: Header=BB4_4405 Depth=2
	s_or_b32 exec_lo, exec_lo, s42
	v_and_b32_e32 v59, 0x80000000, v13
	s_delay_alu instid0(VALU_DEP_1) | instskip(NEXT) | instid1(VALU_DEP_1)
	v_lshl_add_u32 v19, v19, 23, v59
	v_lshl_or_b32 v19, v52, 21, v19
                                        ; implicit-def: $vgpr52
	s_delay_alu instid0(VALU_DEP_1)
	v_add_nc_u32_e32 v19, 0x38000000, v19
.LBB4_6406:                             ;   in Loop: Header=BB4_4405 Depth=2
	s_and_not1_saveexec_b32 s41, s41
; %bb.6407:                             ;   in Loop: Header=BB4_4405 Depth=2
	v_cmp_lt_i64_e32 vcc_lo, -1, v[12:13]
	v_cndmask_b32_e32 v19, 0xff800000, v109, vcc_lo
	v_cmp_eq_u32_e32 vcc_lo, 0, v52
	s_delay_alu instid0(VALU_DEP_2)
	v_cndmask_b32_e32 v19, 0x7f800001, v19, vcc_lo
; %bb.6408:                             ;   in Loop: Header=BB4_4405 Depth=2
	s_or_b32 exec_lo, exec_lo, s41
.LBB4_6409:                             ;   in Loop: Header=BB4_4405 Depth=2
	s_delay_alu instid0(SALU_CYCLE_1)
	s_or_b32 exec_lo, exec_lo, s14
.LBB4_6410:                             ;   in Loop: Header=BB4_4405 Depth=2
	s_delay_alu instid0(SALU_CYCLE_1) | instskip(NEXT) | instid1(VALU_DEP_1)
	s_or_b32 exec_lo, exec_lo, s13
	v_max_num_f32_e32 v19, v19, v19
	v_max_num_f32_e32 v11, v11, v11
	s_mov_b32 s13, 0
	s_delay_alu instid0(VALU_DEP_1)
	v_max_num_f32_e32 v11, v11, v19
.LBB4_6411:                             ;   in Loop: Header=BB4_4405 Depth=2
	s_and_b32 vcc_lo, exec_lo, s13
	s_cbranch_vccz .LBB4_6433
; %bb.6412:                             ;   in Loop: Header=BB4_4405 Depth=2
	v_dual_mov_b32 v19, 0 :: v_dual_mov_b32 v11, 0
	s_and_saveexec_b32 s13, s7
	s_cbranch_execz .LBB4_6422
; %bb.6413:                             ;   in Loop: Header=BB4_4405 Depth=2
	v_bfrev_b32_e32 v11, 1
	s_mov_b32 s7, exec_lo
	v_cmpx_ne_u32_e32 0x80, v14
	s_cbranch_execz .LBB4_6421
; %bb.6414:                             ;   in Loop: Header=BB4_4405 Depth=2
	v_and_b32_e32 v11, 0x7c000000, v17
	v_bfe_u32 v52, v17, 24, 2
	s_delay_alu instid0(VALU_DEP_2) | instskip(SKIP_1) | instid1(SALU_CYCLE_1)
	v_cmp_ne_u32_e32 vcc_lo, 0x7c000000, v11
                                        ; implicit-def: $vgpr11
	s_and_saveexec_b32 s14, vcc_lo
	s_xor_b32 s14, exec_lo, s14
	s_cbranch_execz .LBB4_6418
; %bb.6415:                             ;   in Loop: Header=BB4_4405 Depth=2
	v_bfe_u32 v11, v17, 26, 5
	s_mov_b32 s41, exec_lo
	s_delay_alu instid0(VALU_DEP_1)
	v_cmpx_eq_u32_e32 0, v11
; %bb.6416:                             ;   in Loop: Header=BB4_4405 Depth=2
	v_clz_i32_u32_e32 v11, v52
	s_delay_alu instid0(VALU_DEP_1) | instskip(NEXT) | instid1(VALU_DEP_1)
	v_min_u32_e32 v11, 32, v11
	v_subrev_nc_u32_e32 v16, 29, v11
	s_delay_alu instid0(VALU_DEP_1) | instskip(NEXT) | instid1(VALU_DEP_1)
	v_lshlrev_b64_e32 v[60:61], v16, v[14:15]
	v_dual_sub_nc_u32 v11, 30, v11 :: v_dual_bitop2_b32 v52, 3, v60 bitop3:0x40
; %bb.6417:                             ;   in Loop: Header=BB4_4405 Depth=2
	s_or_b32 exec_lo, exec_lo, s41
	v_and_b32_e32 v14, 0x80000000, v17
                                        ; implicit-def: $vgpr16_vgpr17
	s_delay_alu instid0(VALU_DEP_1) | instskip(NEXT) | instid1(VALU_DEP_1)
	v_lshl_add_u32 v11, v11, 23, v14
	v_lshl_or_b32 v11, v52, 21, v11
                                        ; implicit-def: $vgpr52
	s_delay_alu instid0(VALU_DEP_1)
	v_add_nc_u32_e32 v11, 0x38000000, v11
.LBB4_6418:                             ;   in Loop: Header=BB4_4405 Depth=2
	s_and_not1_saveexec_b32 s14, s14
; %bb.6419:                             ;   in Loop: Header=BB4_4405 Depth=2
	v_cmp_lt_i64_e32 vcc_lo, -1, v[16:17]
	v_cndmask_b32_e32 v11, 0xff800000, v109, vcc_lo
	v_cmp_eq_u32_e32 vcc_lo, 0, v52
	s_delay_alu instid0(VALU_DEP_2)
	v_cndmask_b32_e32 v11, 0x7f800001, v11, vcc_lo
; %bb.6420:                             ;   in Loop: Header=BB4_4405 Depth=2
	s_or_b32 exec_lo, exec_lo, s14
.LBB4_6421:                             ;   in Loop: Header=BB4_4405 Depth=2
	s_delay_alu instid0(SALU_CYCLE_1)
	s_or_b32 exec_lo, exec_lo, s7
.LBB4_6422:                             ;   in Loop: Header=BB4_4405 Depth=2
	s_delay_alu instid0(SALU_CYCLE_1) | instskip(NEXT) | instid1(SALU_CYCLE_1)
	s_or_b32 exec_lo, exec_lo, s13
	s_mov_b32 s7, exec_lo
	v_cmpx_lt_u64_e64 s[16:17], v[12:13]
	s_cbranch_execz .LBB4_6432
; %bb.6423:                             ;   in Loop: Header=BB4_4405 Depth=2
	v_bfrev_b32_e32 v19, 1
	s_mov_b32 s13, exec_lo
	v_cmpx_ne_u32_e32 0x80, v10
	s_cbranch_execz .LBB4_6431
; %bb.6424:                             ;   in Loop: Header=BB4_4405 Depth=2
	v_and_b32_e32 v16, 0x7c000000, v13
	v_bfe_u32 v14, v13, 24, 2
	s_mov_b32 s14, exec_lo
                                        ; implicit-def: $vgpr19
	s_delay_alu instid0(VALU_DEP_2)
	v_cmpx_ne_u32_e32 0x7c000000, v16
	s_xor_b32 s14, exec_lo, s14
	s_cbranch_execz .LBB4_6428
; %bb.6425:                             ;   in Loop: Header=BB4_4405 Depth=2
	v_bfe_u32 v12, v13, 26, 5
	s_mov_b32 s41, exec_lo
	s_delay_alu instid0(VALU_DEP_1)
	v_cmpx_eq_u32_e32 0, v12
; %bb.6426:                             ;   in Loop: Header=BB4_4405 Depth=2
	v_clz_i32_u32_e32 v12, v14
	s_delay_alu instid0(VALU_DEP_1) | instskip(NEXT) | instid1(VALU_DEP_1)
	v_min_u32_e32 v12, 32, v12
	v_subrev_nc_u32_e32 v14, 29, v12
	v_sub_nc_u32_e32 v12, 30, v12
	s_delay_alu instid0(VALU_DEP_2) | instskip(NEXT) | instid1(VALU_DEP_1)
	v_lshlrev_b64_e32 v[16:17], v14, v[10:11]
	v_and_b32_e32 v14, 3, v16
; %bb.6427:                             ;   in Loop: Header=BB4_4405 Depth=2
	s_or_b32 exec_lo, exec_lo, s41
	v_and_b32_e32 v10, 0x80000000, v13
	s_delay_alu instid0(VALU_DEP_1) | instskip(NEXT) | instid1(VALU_DEP_1)
	v_lshl_add_u32 v10, v12, 23, v10
                                        ; implicit-def: $vgpr12_vgpr13
	v_lshl_or_b32 v10, v14, 21, v10
                                        ; implicit-def: $vgpr14
	s_delay_alu instid0(VALU_DEP_1)
	v_add_nc_u32_e32 v19, 0x38000000, v10
.LBB4_6428:                             ;   in Loop: Header=BB4_4405 Depth=2
	s_and_not1_saveexec_b32 s14, s14
; %bb.6429:                             ;   in Loop: Header=BB4_4405 Depth=2
	v_cmp_lt_i64_e32 vcc_lo, -1, v[12:13]
	v_cndmask_b32_e32 v10, 0xff800000, v109, vcc_lo
	v_cmp_eq_u32_e32 vcc_lo, 0, v14
	s_delay_alu instid0(VALU_DEP_2)
	v_cndmask_b32_e32 v19, 0x7f800001, v10, vcc_lo
; %bb.6430:                             ;   in Loop: Header=BB4_4405 Depth=2
	s_or_b32 exec_lo, exec_lo, s14
.LBB4_6431:                             ;   in Loop: Header=BB4_4405 Depth=2
	s_delay_alu instid0(SALU_CYCLE_1)
	s_or_b32 exec_lo, exec_lo, s13
.LBB4_6432:                             ;   in Loop: Header=BB4_4405 Depth=2
	s_delay_alu instid0(SALU_CYCLE_1) | instskip(NEXT) | instid1(VALU_DEP_1)
	s_or_b32 exec_lo, exec_lo, s7
	v_max_num_f32_e32 v10, v19, v19
	v_max_num_f32_e32 v11, v11, v11
	s_delay_alu instid0(VALU_DEP_1)
	v_min_num_f32_e32 v11, v11, v10
.LBB4_6433:                             ;   in Loop: Header=BB4_4405 Depth=2
	s_delay_alu instid0(VALU_DEP_1) | instskip(SKIP_2) | instid1(VALU_DEP_2)
	v_and_b32_e32 v12, 0x7f800000, v11
	v_mov_b32_e32 v13, v53
	v_and_b32_e32 v52, 0x7fffff, v11
                                        ; implicit-def: $vgpr10
	v_cmp_ne_u64_e32 vcc_lo, 0x7f800000, v[12:13]
	v_lshrrev_b32_e32 v12, 24, v11
	s_and_saveexec_b32 s7, vcc_lo
	s_delay_alu instid0(SALU_CYCLE_1)
	s_xor_b32 s13, exec_lo, s7
	s_cbranch_execz .LBB4_6447
; %bb.6434:                             ;   in Loop: Header=BB4_4405 Depth=2
	v_and_b32_e32 v16, 0x7fffffff, v11
	v_mov_b32_e32 v17, v53
	v_and_b32_e32 v14, 0x80, v12
                                        ; implicit-def: $vgpr10
	s_mov_b32 s7, exec_lo
	s_delay_alu instid0(VALU_DEP_2)
	v_cmpx_gt_u64_e32 0x47600001, v[16:17]
	s_xor_b32 s14, exec_lo, s7
	s_cbranch_execz .LBB4_6444
; %bb.6435:                             ;   in Loop: Header=BB4_4405 Depth=2
	v_mov_b32_e32 v10, 0
	s_mov_b32 s41, exec_lo
	v_cmpx_ne_u32_e32 0, v11
	s_cbranch_execz .LBB4_6443
; %bb.6436:                             ;   in Loop: Header=BB4_4405 Depth=2
	v_bfe_u32 v16, v11, 23, 8
	v_or_b32_e32 v12, 0x800000, v52
	s_delay_alu instid0(VALU_DEP_2) | instskip(SKIP_1) | instid1(VALU_DEP_2)
	v_sub_nc_u32_e32 v10, 0x71, v16
	v_cmp_gt_u32_e32 vcc_lo, 0x72, v16
	v_cndmask_b32_e32 v10, 0, v10, vcc_lo
	v_cmp_eq_u32_e32 vcc_lo, 0, v16
	s_delay_alu instid0(VALU_DEP_2) | instskip(NEXT) | instid1(VALU_DEP_1)
	v_cndmask_b32_e64 v17, v10, 0x70, vcc_lo
	v_dual_cndmask_b32 v52, v12, v52, vcc_lo :: v_dual_add_nc_u32 v10, 21, v17
	v_add_nc_u32_e32 v13, 20, v17
	s_delay_alu instid0(VALU_DEP_2) | instskip(NEXT) | instid1(VALU_DEP_2)
	v_lshlrev_b64_e64 v[10:11], v10, -1
	v_lshlrev_b64_e64 v[12:13], v13, 1
	s_delay_alu instid0(VALU_DEP_2) | instskip(NEXT) | instid1(VALU_DEP_3)
	v_bfi_b32 v61, v11, 0, 0
	v_bfi_b32 v60, v10, 0, v52
	v_lshrrev_b64 v[10:11], v17, v[52:53]
	s_delay_alu instid0(VALU_DEP_2) | instskip(NEXT) | instid1(VALU_DEP_2)
	v_cmp_eq_u64_e64 s7, v[60:61], v[12:13]
	v_mov_b64_e32 v[12:13], v[10:11]
	s_and_saveexec_b32 s42, s7
; %bb.6437:                             ;   in Loop: Header=BB4_4405 Depth=2
	v_bfe_u32 v52, v10, 21, 1
	s_delay_alu instid0(VALU_DEP_1) | instskip(NEXT) | instid1(VALU_DEP_1)
	v_add_nc_u64_e32 v[12:13], v[10:11], v[52:53]
	v_add_nc_u64_e32 v[12:13], -1, v[12:13]
; %bb.6438:                             ;   in Loop: Header=BB4_4405 Depth=2
	s_or_b32 exec_lo, exec_lo, s42
	v_add_nc_u32_e32 v11, 0xffffff81, v16
	v_lshrrev_b32_e32 v13, 23, v10
	s_mov_b32 s7, exec_lo
	s_delay_alu instid0(VALU_DEP_2) | instskip(NEXT) | instid1(VALU_DEP_1)
	v_cndmask_b32_e64 v11, v11, 0xffffff82, vcc_lo
	v_add3_u32 v13, v17, v11, v13
	v_and_b32_e32 v11, 0x1fffff, v12
                                        ; implicit-def: $vgpr12
	s_delay_alu instid0(VALU_DEP_1) | instskip(NEXT) | instid1(VALU_DEP_1)
	v_dual_add_nc_u32 v16, 14, v13 :: v_dual_add_nc_u32 v52, v11, v10
                                        ; implicit-def: $vgpr10_vgpr11
	v_cmpx_ne_u32_e32 0, v16
	s_xor_b32 s7, exec_lo, s7
; %bb.6439:                             ;   in Loop: Header=BB4_4405 Depth=2
	s_delay_alu instid0(VALU_DEP_2) | instskip(SKIP_1) | instid1(VALU_DEP_1)
	v_cmp_lt_u64_e32 vcc_lo, 0xffffff, v[52:53]
	v_add_nc_u32_e32 v10, 15, v13
	v_cndmask_b32_e32 v12, v16, v10, vcc_lo
	v_cndmask_b32_e64 v10, 0, 1, vcc_lo
	s_delay_alu instid0(VALU_DEP_1)
	v_lshrrev_b64 v[10:11], v10, v[52:53]
; %bb.6440:                             ;   in Loop: Header=BB4_4405 Depth=2
	s_and_not1_saveexec_b32 s7, s7
; %bb.6441:                             ;   in Loop: Header=BB4_4405 Depth=2
	v_mov_b64_e32 v[10:11], v[52:53]
	v_bfe_u32 v12, v52, 23, 1
; %bb.6442:                             ;   in Loop: Header=BB4_4405 Depth=2
	s_or_b32 exec_lo, exec_lo, s7
	s_delay_alu instid0(VALU_DEP_2) | instskip(NEXT) | instid1(VALU_DEP_2)
	v_lshrrev_b64 v[10:11], 21, v[10:11]
	v_cmp_gt_i32_e32 vcc_lo, 32, v12
	v_min_i32_e32 v13, 31, v12
	v_cmp_eq_u32_e64 s7, 0, v12
	s_delay_alu instid0(VALU_DEP_2) | instskip(SKIP_1) | instid1(VALU_DEP_2)
	v_dual_cndmask_b32 v11, 0, v11, vcc_lo :: v_dual_lshlrev_b32 v13, 2, v13
	v_cndmask_b32_e32 v10, 3, v10, vcc_lo
	v_and_b32_e32 v13, 0xfc, v13
	s_delay_alu instid0(VALU_DEP_2) | instskip(NEXT) | instid1(VALU_DEP_2)
	v_cmp_eq_u64_e32 vcc_lo, 0, v[10:11]
	v_and_or_b32 v10, v10, 3, v13
	s_and_b32 s7, s7, vcc_lo
	s_delay_alu instid0(VALU_DEP_1) | instid1(SALU_CYCLE_1)
	v_cndmask_b32_e64 v10, v10, 0, s7
	s_delay_alu instid0(VALU_DEP_1)
	v_or_b32_e32 v10, v10, v14
.LBB4_6443:                             ;   in Loop: Header=BB4_4405 Depth=2
	s_or_b32 exec_lo, exec_lo, s41
                                        ; implicit-def: $vgpr14
.LBB4_6444:                             ;   in Loop: Header=BB4_4405 Depth=2
	s_and_not1_saveexec_b32 s7, s14
; %bb.6445:                             ;   in Loop: Header=BB4_4405 Depth=2
	v_or_b32_e32 v10, 0x7b, v14
; %bb.6446:                             ;   in Loop: Header=BB4_4405 Depth=2
	s_or_b32 exec_lo, exec_lo, s7
                                        ; implicit-def: $vgpr11
                                        ; implicit-def: $vgpr12
.LBB4_6447:                             ;   in Loop: Header=BB4_4405 Depth=2
	s_and_not1_saveexec_b32 s7, s13
	s_cbranch_execz .LBB4_4404
; %bb.6448:                             ;   in Loop: Header=BB4_4405 Depth=2
	s_mov_b32 s13, exec_lo
                                        ; implicit-def: $vgpr10
	v_cmpx_ne_u64_e32 0, v[52:53]
	s_xor_b32 s13, exec_lo, s13
; %bb.6449:                             ;   in Loop: Header=BB4_4405 Depth=2
	v_or_b32_e32 v10, 0x7f, v12
                                        ; implicit-def: $vgpr11
; %bb.6450:                             ;   in Loop: Header=BB4_4405 Depth=2
	s_and_not1_saveexec_b32 s13, s13
	s_cbranch_execz .LBB4_4403
; %bb.6451:                             ;   in Loop: Header=BB4_4405 Depth=2
	v_cmp_lt_i32_e32 vcc_lo, -1, v11
	v_cndmask_b32_e32 v10, 0xfc, v110, vcc_lo
	s_branch .LBB4_4403
.LBB4_6452:                             ;   in Loop: Header=BB4_4329 Depth=1
	s_or_b32 exec_lo, exec_lo, s11
.LBB4_6453:                             ;   in Loop: Header=BB4_4329 Depth=1
	s_delay_alu instid0(SALU_CYCLE_1) | instskip(SKIP_4) | instid1(VALU_DEP_2)
	s_or_b32 exec_lo, exec_lo, s10
	v_and_b32_e32 v10, 0x3ffffc00, v111
	v_mov_b32_e32 v30, 0
	s_mov_b32 s7, 0
	s_mov_b32 s41, exec_lo
                                        ; implicit-def: $vgpr122
                                        ; implicit-def: $vgpr123
	v_cmpx_ne_u32_e64 v111, v10
	s_cbranch_execz .LBB4_7355
; %bb.6454:                             ;   in Loop: Header=BB4_4329 Depth=1
	v_lshlrev_b32_e32 v0, 5, v116
	v_bfe_u32 v14, v111, 9, 1
	v_and_b32_e32 v13, 0x3ff, v111
	s_mov_b32 s42, exec_lo
	s_delay_alu instid0(VALU_DEP_3) | instskip(NEXT) | instid1(VALU_DEP_1)
	v_sub_nc_u32_e32 v0, v107, v0
	v_ashrrev_i32_e32 v3, 31, v0
	s_delay_alu instid0(VALU_DEP_1) | instskip(NEXT) | instid1(VALU_DEP_1)
	v_lshrrev_b32_e32 v3, 27, v3
	v_add_nc_u32_e32 v3, v0, v3
	s_delay_alu instid0(VALU_DEP_1) | instskip(SKIP_2) | instid1(VALU_DEP_3)
	v_and_b32_e32 v11, 0xffffffe0, v3
	v_ashrrev_i32_e32 v12, 5, v3
	v_and_b32_e32 v3, 0x1ff, v111
	v_sub_nc_u32_e32 v0, v0, v11
	s_delay_alu instid0(VALU_DEP_2) | instskip(NEXT) | instid1(VALU_DEP_2)
	v_cmp_lt_u32_e64 s7, 15, v3
	v_lshlrev_b32_e32 v11, 4, v0
	s_delay_alu instid0(VALU_DEP_2) | instskip(NEXT) | instid1(VALU_DEP_2)
	v_add_co_ci_u32_e64 v14, null, 0, v14, s7
	v_lshl_add_u32 v11, v12, 9, v11
	s_delay_alu instid0(VALU_DEP_1) | instskip(NEXT) | instid1(VALU_DEP_1)
	v_dual_sub_nc_u32 v30, v14, v12 :: v_dual_sub_nc_u32 v100, v13, v11
	v_cmpx_lt_i32_e32 15, v100
	s_cbranch_execz .LBB4_7354
; %bb.6455:                             ;   in Loop: Header=BB4_4329 Depth=1
	s_trap 2
	ds_load_b64 v[12:13], v0
	v_add_nc_u32_e32 v10, v11, v10
	s_bitcmp1_b32 s40, 0
	s_mov_b32 s43, 0
	s_cselect_b32 s44, -1, 0
	s_delay_alu instid0(VALU_DEP_1) | instskip(NEXT) | instid1(VALU_DEP_1)
	v_ashrrev_i32_e32 v11, 31, v10
	v_add_nc_u64_e32 v[18:19], v[10:11], v[84:85]
	v_add_nc_u64_e32 v[22:23], v[10:11], v[86:87]
	s_wait_dscnt 0x0
	v_add_nc_u64_e32 v[20:21], v[12:13], v[10:11]
	s_branch .LBB4_6458
.LBB4_6456:                             ;   in Loop: Header=BB4_6458 Depth=2
	s_or_b32 exec_lo, exec_lo, s11
.LBB4_6457:                             ;   in Loop: Header=BB4_6458 Depth=2
	s_delay_alu instid0(SALU_CYCLE_1)
	s_or_b32 exec_lo, exec_lo, s10
	v_lshl_or_b32 v11, v98, 8, v113
	v_dual_lshlrev_b32 v12, 16, v96 :: v_dual_lshlrev_b32 v13, 24, v97
	v_lshl_or_b32 v15, v102, 8, v101
	v_dual_lshlrev_b32 v16, 16, v103 :: v_dual_lshlrev_b32 v17, 24, v112
	v_lshl_or_b32 v25, v114, 8, v99
	v_dual_lshlrev_b32 v52, 16, v115 :: v_dual_lshlrev_b32 v96, 24, v116
	v_dual_lshlrev_b32 v97, 24, v10 :: v_dual_sub_nc_u32 v100, v100, v68
	v_lshlrev_b32_e32 v14, 16, v14
	v_lshl_or_b32 v24, v24, 8, v117
	v_or3_b32 v11, v11, v12, v13
	v_or3_b32 v10, v15, v16, v17
	;; [unrolled: 1-line block ×3, first 2 shown]
	v_add_nc_u64_e32 v[18:19], v[18:19], v[68:69]
	v_or3_b32 v13, v24, v14, v97
	v_add_nc_u64_e32 v[20:21], v[20:21], v[68:69]
	v_cmp_gt_i32_e32 vcc_lo, 16, v100
	v_sub_nc_u32_e32 v30, v30, v54
	global_store_b128 v[22:23], v[10:13], off th:TH_STORE_NT
	s_wait_xcnt 0x0
	v_add_nc_u64_e32 v[22:23], v[22:23], v[68:69]
	s_or_b32 s43, vcc_lo, s43
	s_delay_alu instid0(SALU_CYCLE_1)
	s_and_not1_b32 exec_lo, exec_lo, s43
	s_cbranch_execz .LBB4_7353
.LBB4_6458:                             ;   Parent Loop BB4_4329 Depth=1
                                        ; =>  This Inner Loop Header: Depth=2
	global_load_b128 v[14:17], v[20:21], off th:TH_LOAD_NT
	global_load_b128 v[10:13], v[18:19], off th:TH_LOAD_NT
	s_mov_b32 s13, -1
	s_wait_loadcnt 0x1
	v_dual_lshlrev_b32 v96, 24, v14 :: v_dual_bitop2_b32 v24, 3, v14 bitop3:0x40
	v_bfe_i32 v99, v14, 0, 8
	v_and_b32_e32 v52, 0x7c, v14
	s_wait_loadcnt 0x0
	v_and_b32_e32 v98, 0xff, v10
	v_clz_i32_u32_e32 v25, v24
	v_bfe_i32 v101, v10, 0, 8
	v_cmp_lt_i16_e32 vcc_lo, -1, v99
	v_cmp_eq_u32_e64 s10, 0x7c, v52
	v_and_or_b32 v52, 0x80000000, v96, s27
	v_min_u32_e32 v97, 32, v25
	v_bfe_u32 v25, v14, 2, 5
	v_cndmask_b32_e32 v112, 0xff800000, v109, vcc_lo
	v_cmp_eq_u32_e32 vcc_lo, 0, v24
	v_cmp_ne_u16_e64 s12, 0, v98
	v_subrev_nc_u32_e32 v102, 29, v97
	v_cmp_eq_u32_e64 s11, 0, v25
	v_dual_cndmask_b32 v96, 0x7f800001, v112 :: v_dual_sub_nc_u32 v97, 30, v97
	s_and_b32 vcc_lo, exec_lo, s44
	v_lshlrev_b64_e32 v[102:103], v102, v[14:15]
	s_delay_alu instid0(VALU_DEP_1)
	v_and_b32_e32 v98, 3, v102
                                        ; implicit-def: $vgpr102
	s_cbranch_vccz .LBB4_6476
; %bb.6459:                             ;   in Loop: Header=BB4_6458 Depth=2
	v_mov_b32_e32 v102, 0
	s_wait_xcnt 0x0
	s_and_saveexec_b32 s13, s12
	s_cbranch_execz .LBB4_6469
; %bb.6460:                             ;   in Loop: Header=BB4_6458 Depth=2
	v_bfrev_b32_e32 v102, 1
	s_mov_b32 s14, exec_lo
	v_cmpx_ne_u16_e32 0xff80, v101
	s_cbranch_execz .LBB4_6468
; %bb.6461:                             ;   in Loop: Header=BB4_6458 Depth=2
	v_and_b32_e32 v102, 0x7c, v10
	v_and_b32_e32 v103, 3, v10
	s_delay_alu instid0(VALU_DEP_2) | instskip(SKIP_1) | instid1(SALU_CYCLE_1)
	v_cmp_ne_u32_e32 vcc_lo, 0x7c, v102
                                        ; implicit-def: $vgpr102
	s_and_saveexec_b32 s45, vcc_lo
	s_xor_b32 s45, exec_lo, s45
	s_cbranch_execz .LBB4_6465
; %bb.6462:                             ;   in Loop: Header=BB4_6458 Depth=2
	v_bfe_u32 v102, v10, 2, 5
	s_mov_b32 s46, exec_lo
	s_delay_alu instid0(VALU_DEP_1)
	v_cmpx_eq_u32_e32 0, v102
; %bb.6463:                             ;   in Loop: Header=BB4_6458 Depth=2
	v_clz_i32_u32_e32 v102, v103
	s_delay_alu instid0(VALU_DEP_1) | instskip(NEXT) | instid1(VALU_DEP_1)
	v_min_u32_e32 v102, 32, v102
	v_subrev_nc_u32_e32 v103, 29, v102
	s_delay_alu instid0(VALU_DEP_1) | instskip(NEXT) | instid1(VALU_DEP_1)
	v_lshlrev_b64_e32 v[112:113], v103, v[10:11]
	v_dual_sub_nc_u32 v102, 30, v102 :: v_dual_bitop2_b32 v103, 3, v112 bitop3:0x40
; %bb.6464:                             ;   in Loop: Header=BB4_6458 Depth=2
	s_or_b32 exec_lo, exec_lo, s46
	v_lshlrev_b32_e32 v112, 24, v10
	s_delay_alu instid0(VALU_DEP_1) | instskip(NEXT) | instid1(VALU_DEP_1)
	v_and_b32_e32 v112, 0x80000000, v112
	v_lshl_add_u32 v102, v102, 23, v112
	s_delay_alu instid0(VALU_DEP_1) | instskip(NEXT) | instid1(VALU_DEP_1)
	v_lshl_or_b32 v102, v103, 21, v102
                                        ; implicit-def: $vgpr103
	v_add_nc_u32_e32 v102, 0x38000000, v102
.LBB4_6465:                             ;   in Loop: Header=BB4_6458 Depth=2
	s_and_not1_saveexec_b32 s45, s45
; %bb.6466:                             ;   in Loop: Header=BB4_6458 Depth=2
	v_cmp_lt_i16_e32 vcc_lo, -1, v101
	v_cndmask_b32_e32 v102, 0xff800000, v109, vcc_lo
	v_cmp_eq_u32_e32 vcc_lo, 0, v103
	s_delay_alu instid0(VALU_DEP_2)
	v_cndmask_b32_e32 v102, 0x7f800001, v102, vcc_lo
; %bb.6467:                             ;   in Loop: Header=BB4_6458 Depth=2
	s_or_b32 exec_lo, exec_lo, s45
.LBB4_6468:                             ;   in Loop: Header=BB4_6458 Depth=2
	s_delay_alu instid0(SALU_CYCLE_1)
	s_or_b32 exec_lo, exec_lo, s14
.LBB4_6469:                             ;   in Loop: Header=BB4_6458 Depth=2
	s_delay_alu instid0(SALU_CYCLE_1) | instskip(SKIP_3) | instid1(VALU_DEP_1)
	s_or_b32 exec_lo, exec_lo, s13
	v_and_b32_e32 v112, 0xff, v99
	s_mov_b32 s13, 0
	s_mov_b32 s14, exec_lo
	v_cmpx_lt_i16_e32 0x7f, v112
	s_xor_b32 s14, exec_lo, s14
	s_cbranch_execz .LBB4_7305
; %bb.6470:                             ;   in Loop: Header=BB4_6458 Depth=2
	s_mov_b32 s13, -1
	s_mov_b32 s45, exec_lo
	v_cmpx_eq_u16_e32 0x80, v112
; %bb.6471:                             ;   in Loop: Header=BB4_6458 Depth=2
	s_xor_b32 s13, exec_lo, -1
; %bb.6472:                             ;   in Loop: Header=BB4_6458 Depth=2
	s_or_b32 exec_lo, exec_lo, s45
	s_delay_alu instid0(SALU_CYCLE_1)
	s_and_b32 s13, s13, exec_lo
                                        ; implicit-def: $vgpr112
	s_or_saveexec_b32 s14, s14
	v_bfrev_b32_e32 v103, 1
	s_xor_b32 exec_lo, exec_lo, s14
	s_cbranch_execnz .LBB4_7306
.LBB4_6473:                             ;   in Loop: Header=BB4_6458 Depth=2
	s_or_b32 exec_lo, exec_lo, s14
	s_and_saveexec_b32 s14, s13
.LBB4_6474:                             ;   in Loop: Header=BB4_6458 Depth=2
	v_dual_cndmask_b32 v103, v25, v97, s11 :: v_dual_cndmask_b32 v112, v24, v98, s11
	s_delay_alu instid0(VALU_DEP_1) | instskip(NEXT) | instid1(VALU_DEP_1)
	v_lshl_add_u32 v103, v103, 23, v52
	v_lshl_or_b32 v103, v112, 21, v103
	s_delay_alu instid0(VALU_DEP_1)
	v_cndmask_b32_e64 v103, v103, v96, s10
.LBB4_6475:                             ;   in Loop: Header=BB4_6458 Depth=2
	s_or_b32 exec_lo, exec_lo, s14
	s_delay_alu instid0(VALU_DEP_1) | instskip(SKIP_1) | instid1(VALU_DEP_1)
	v_dual_max_num_f32 v103, v103, v103 :: v_dual_max_num_f32 v102, v102, v102
	s_mov_b32 s13, 0
	v_max_num_f32_e32 v102, v102, v103
.LBB4_6476:                             ;   in Loop: Header=BB4_6458 Depth=2
	s_and_b32 vcc_lo, exec_lo, s13
	s_cbranch_vccz .LBB4_6494
; %bb.6477:                             ;   in Loop: Header=BB4_6458 Depth=2
	v_mov_b32_e32 v102, 0
	s_wait_xcnt 0x0
	s_and_saveexec_b32 s13, s12
	s_cbranch_execz .LBB4_6487
; %bb.6478:                             ;   in Loop: Header=BB4_6458 Depth=2
	v_bfrev_b32_e32 v102, 1
	s_mov_b32 s12, exec_lo
	v_cmpx_ne_u16_e32 0xff80, v101
	s_cbranch_execz .LBB4_6486
; %bb.6479:                             ;   in Loop: Header=BB4_6458 Depth=2
	v_and_b32_e32 v102, 0x7c, v10
	v_and_b32_e32 v103, 3, v10
	s_delay_alu instid0(VALU_DEP_2) | instskip(SKIP_1) | instid1(SALU_CYCLE_1)
	v_cmp_ne_u32_e32 vcc_lo, 0x7c, v102
                                        ; implicit-def: $vgpr102
	s_and_saveexec_b32 s14, vcc_lo
	s_xor_b32 s14, exec_lo, s14
	s_cbranch_execz .LBB4_6483
; %bb.6480:                             ;   in Loop: Header=BB4_6458 Depth=2
	v_bfe_u32 v101, v10, 2, 5
	s_mov_b32 s45, exec_lo
	s_delay_alu instid0(VALU_DEP_1)
	v_cmpx_eq_u32_e32 0, v101
; %bb.6481:                             ;   in Loop: Header=BB4_6458 Depth=2
	v_clz_i32_u32_e32 v101, v103
	s_delay_alu instid0(VALU_DEP_1) | instskip(NEXT) | instid1(VALU_DEP_1)
	v_min_u32_e32 v101, 32, v101
	v_subrev_nc_u32_e32 v102, 29, v101
	s_delay_alu instid0(VALU_DEP_1) | instskip(NEXT) | instid1(VALU_DEP_1)
	v_lshlrev_b64_e32 v[102:103], v102, v[10:11]
	v_dual_sub_nc_u32 v101, 30, v101 :: v_dual_bitop2_b32 v103, 3, v102 bitop3:0x40
; %bb.6482:                             ;   in Loop: Header=BB4_6458 Depth=2
	s_or_b32 exec_lo, exec_lo, s45
	v_lshlrev_b32_e32 v102, 24, v10
	s_delay_alu instid0(VALU_DEP_1) | instskip(NEXT) | instid1(VALU_DEP_1)
	v_and_b32_e32 v102, 0x80000000, v102
	v_lshl_add_u32 v101, v101, 23, v102
	s_delay_alu instid0(VALU_DEP_1) | instskip(NEXT) | instid1(VALU_DEP_1)
	v_lshl_or_b32 v101, v103, 21, v101
                                        ; implicit-def: $vgpr103
	v_add_nc_u32_e32 v102, 0x38000000, v101
                                        ; implicit-def: $vgpr101
.LBB4_6483:                             ;   in Loop: Header=BB4_6458 Depth=2
	s_and_not1_saveexec_b32 s14, s14
; %bb.6484:                             ;   in Loop: Header=BB4_6458 Depth=2
	v_cmp_lt_i16_e32 vcc_lo, -1, v101
	v_cndmask_b32_e32 v101, 0xff800000, v109, vcc_lo
	v_cmp_eq_u32_e32 vcc_lo, 0, v103
	s_delay_alu instid0(VALU_DEP_2)
	v_cndmask_b32_e32 v102, 0x7f800001, v101, vcc_lo
; %bb.6485:                             ;   in Loop: Header=BB4_6458 Depth=2
	s_or_b32 exec_lo, exec_lo, s14
.LBB4_6486:                             ;   in Loop: Header=BB4_6458 Depth=2
	s_delay_alu instid0(SALU_CYCLE_1)
	s_or_b32 exec_lo, exec_lo, s12
.LBB4_6487:                             ;   in Loop: Header=BB4_6458 Depth=2
	s_delay_alu instid0(SALU_CYCLE_1) | instskip(SKIP_3) | instid1(VALU_DEP_1)
	s_or_b32 exec_lo, exec_lo, s13
	v_and_b32_e32 v101, 0xff, v99
	s_mov_b32 s12, 0
	s_mov_b32 s13, exec_lo
	v_cmpx_lt_i16_e32 0x7f, v101
	s_xor_b32 s13, exec_lo, s13
	s_cbranch_execz .LBB4_7307
; %bb.6488:                             ;   in Loop: Header=BB4_6458 Depth=2
	s_mov_b32 s12, -1
	s_mov_b32 s14, exec_lo
	v_cmpx_eq_u16_e32 0x80, v101
; %bb.6489:                             ;   in Loop: Header=BB4_6458 Depth=2
	s_xor_b32 s12, exec_lo, -1
; %bb.6490:                             ;   in Loop: Header=BB4_6458 Depth=2
	s_or_b32 exec_lo, exec_lo, s14
	s_delay_alu instid0(SALU_CYCLE_1)
	s_and_b32 s12, s12, exec_lo
                                        ; implicit-def: $vgpr101
	s_or_saveexec_b32 s13, s13
	v_bfrev_b32_e32 v99, 1
	s_xor_b32 exec_lo, exec_lo, s13
	s_cbranch_execnz .LBB4_7308
.LBB4_6491:                             ;   in Loop: Header=BB4_6458 Depth=2
	s_or_b32 exec_lo, exec_lo, s13
	s_and_saveexec_b32 s13, s12
.LBB4_6492:                             ;   in Loop: Header=BB4_6458 Depth=2
	v_dual_cndmask_b32 v25, v25, v97, s11 :: v_dual_cndmask_b32 v24, v24, v98, s11
	s_delay_alu instid0(VALU_DEP_1) | instskip(NEXT) | instid1(VALU_DEP_1)
	v_lshl_add_u32 v25, v25, 23, v52
	v_lshl_or_b32 v24, v24, 21, v25
	s_delay_alu instid0(VALU_DEP_1)
	v_cndmask_b32_e64 v99, v24, v96, s10
.LBB4_6493:                             ;   in Loop: Header=BB4_6458 Depth=2
	s_or_b32 exec_lo, exec_lo, s13
	s_delay_alu instid0(VALU_DEP_1) | instskip(NEXT) | instid1(VALU_DEP_1)
	v_dual_max_num_f32 v24, v99, v99 :: v_dual_max_num_f32 v25, v102, v102
	v_min_num_f32_e32 v102, v25, v24
.LBB4_6494:                             ;   in Loop: Header=BB4_6458 Depth=2
	s_delay_alu instid0(VALU_DEP_1) | instskip(SKIP_2) | instid1(VALU_DEP_2)
	v_and_b32_e32 v24, 0x7f800000, v102
	v_mov_b32_e32 v25, v53
	v_and_b32_e32 v52, 0x7fffff, v102
                                        ; implicit-def: $vgpr101
	v_cmp_ne_u64_e32 vcc_lo, 0x7f800000, v[24:25]
	v_lshrrev_b32_e32 v24, 24, v102
	s_wait_xcnt 0x0
	s_and_saveexec_b32 s10, vcc_lo
	s_delay_alu instid0(SALU_CYCLE_1)
	s_xor_b32 s11, exec_lo, s10
	s_cbranch_execz .LBB4_6508
; %bb.6495:                             ;   in Loop: Header=BB4_6458 Depth=2
	v_and_b32_e32 v96, 0x7fffffff, v102
	v_mov_b32_e32 v97, v53
	v_and_b32_e32 v98, 0x80, v24
                                        ; implicit-def: $vgpr101
	s_mov_b32 s10, exec_lo
	s_delay_alu instid0(VALU_DEP_2)
	v_cmpx_gt_u64_e32 0x47600001, v[96:97]
	s_xor_b32 s12, exec_lo, s10
	s_cbranch_execz .LBB4_6505
; %bb.6496:                             ;   in Loop: Header=BB4_6458 Depth=2
	v_mov_b32_e32 v101, 0
	s_mov_b32 s13, exec_lo
	v_cmpx_ne_u32_e32 0, v102
	s_cbranch_execz .LBB4_6504
; %bb.6497:                             ;   in Loop: Header=BB4_6458 Depth=2
	v_bfe_u32 v99, v102, 23, 8
	v_or_b32_e32 v96, 0x800000, v52
	s_delay_alu instid0(VALU_DEP_2) | instskip(SKIP_1) | instid1(VALU_DEP_2)
	v_sub_nc_u32_e32 v24, 0x71, v99
	v_cmp_gt_u32_e32 vcc_lo, 0x72, v99
	v_cndmask_b32_e32 v24, 0, v24, vcc_lo
	v_cmp_eq_u32_e32 vcc_lo, 0, v99
	s_delay_alu instid0(VALU_DEP_2) | instskip(NEXT) | instid1(VALU_DEP_1)
	v_cndmask_b32_e64 v101, v24, 0x70, vcc_lo
	v_dual_cndmask_b32 v52, v96, v52, vcc_lo :: v_dual_add_nc_u32 v24, 21, v101
	v_add_nc_u32_e32 v97, 20, v101
	s_delay_alu instid0(VALU_DEP_2) | instskip(NEXT) | instid1(VALU_DEP_2)
	v_lshlrev_b64_e64 v[24:25], v24, -1
	v_lshlrev_b64_e64 v[96:97], v97, 1
	s_delay_alu instid0(VALU_DEP_2) | instskip(NEXT) | instid1(VALU_DEP_3)
	v_bfi_b32 v103, v25, 0, 0
	v_bfi_b32 v102, v24, 0, v52
	v_lshrrev_b64 v[24:25], v101, v[52:53]
	s_delay_alu instid0(VALU_DEP_2) | instskip(NEXT) | instid1(VALU_DEP_2)
	v_cmp_eq_u64_e64 s10, v[102:103], v[96:97]
	v_mov_b64_e32 v[96:97], v[24:25]
	s_and_saveexec_b32 s14, s10
; %bb.6498:                             ;   in Loop: Header=BB4_6458 Depth=2
	v_bfe_u32 v52, v24, 21, 1
	s_delay_alu instid0(VALU_DEP_1) | instskip(NEXT) | instid1(VALU_DEP_1)
	v_add_nc_u64_e32 v[96:97], v[24:25], v[52:53]
	v_add_nc_u64_e32 v[96:97], -1, v[96:97]
; %bb.6499:                             ;   in Loop: Header=BB4_6458 Depth=2
	s_or_b32 exec_lo, exec_lo, s14
	v_add_nc_u32_e32 v25, 0xffffff81, v99
	v_lshrrev_b32_e32 v52, 23, v24
	s_mov_b32 s10, exec_lo
	s_delay_alu instid0(VALU_DEP_2) | instskip(NEXT) | instid1(VALU_DEP_1)
	v_cndmask_b32_e64 v25, v25, 0xffffff82, vcc_lo
	v_add3_u32 v97, v101, v25, v52
	v_and_b32_e32 v25, 0x1fffff, v96
                                        ; implicit-def: $vgpr96
	s_delay_alu instid0(VALU_DEP_1) | instskip(NEXT) | instid1(VALU_DEP_1)
	v_dual_add_nc_u32 v99, 14, v97 :: v_dual_add_nc_u32 v52, v25, v24
                                        ; implicit-def: $vgpr24_vgpr25
	v_cmpx_ne_u32_e32 0, v99
	s_xor_b32 s10, exec_lo, s10
; %bb.6500:                             ;   in Loop: Header=BB4_6458 Depth=2
	s_delay_alu instid0(VALU_DEP_2) | instskip(SKIP_1) | instid1(VALU_DEP_1)
	v_cmp_lt_u64_e32 vcc_lo, 0xffffff, v[52:53]
	v_add_nc_u32_e32 v24, 15, v97
	v_cndmask_b32_e32 v96, v99, v24, vcc_lo
	v_cndmask_b32_e64 v24, 0, 1, vcc_lo
	s_delay_alu instid0(VALU_DEP_1)
	v_lshrrev_b64 v[24:25], v24, v[52:53]
; %bb.6501:                             ;   in Loop: Header=BB4_6458 Depth=2
	s_and_not1_saveexec_b32 s10, s10
; %bb.6502:                             ;   in Loop: Header=BB4_6458 Depth=2
	v_mov_b64_e32 v[24:25], v[52:53]
	v_bfe_u32 v96, v52, 23, 1
; %bb.6503:                             ;   in Loop: Header=BB4_6458 Depth=2
	s_or_b32 exec_lo, exec_lo, s10
	s_delay_alu instid0(VALU_DEP_2) | instskip(NEXT) | instid1(VALU_DEP_2)
	v_lshrrev_b64 v[24:25], 21, v[24:25]
	v_cmp_gt_i32_e32 vcc_lo, 32, v96
	v_min_i32_e32 v52, 31, v96
	v_cmp_eq_u32_e64 s10, 0, v96
	s_delay_alu instid0(VALU_DEP_2) | instskip(SKIP_1) | instid1(VALU_DEP_2)
	v_dual_cndmask_b32 v25, 0, v25 :: v_dual_lshlrev_b32 v52, 2, v52
	v_cndmask_b32_e32 v24, 3, v24, vcc_lo
	v_and_b32_e32 v52, 0xfc, v52
	s_delay_alu instid0(VALU_DEP_2) | instskip(NEXT) | instid1(VALU_DEP_2)
	v_cmp_eq_u64_e32 vcc_lo, 0, v[24:25]
	v_and_or_b32 v24, v24, 3, v52
	s_and_b32 s10, s10, vcc_lo
	s_delay_alu instid0(VALU_DEP_1) | instid1(SALU_CYCLE_1)
	v_cndmask_b32_e64 v24, v24, 0, s10
	s_delay_alu instid0(VALU_DEP_1)
	v_or_b32_e32 v101, v24, v98
.LBB4_6504:                             ;   in Loop: Header=BB4_6458 Depth=2
	s_or_b32 exec_lo, exec_lo, s13
                                        ; implicit-def: $vgpr98
.LBB4_6505:                             ;   in Loop: Header=BB4_6458 Depth=2
	s_and_not1_saveexec_b32 s10, s12
; %bb.6506:                             ;   in Loop: Header=BB4_6458 Depth=2
	v_or_b32_e32 v101, 0x7b, v98
; %bb.6507:                             ;   in Loop: Header=BB4_6458 Depth=2
	s_or_b32 exec_lo, exec_lo, s10
                                        ; implicit-def: $vgpr102
                                        ; implicit-def: $vgpr24
.LBB4_6508:                             ;   in Loop: Header=BB4_6458 Depth=2
	s_and_not1_saveexec_b32 s10, s11
	s_cbranch_execz .LBB4_6514
; %bb.6509:                             ;   in Loop: Header=BB4_6458 Depth=2
	s_mov_b32 s11, exec_lo
                                        ; implicit-def: $vgpr101
	v_cmpx_ne_u64_e32 0, v[52:53]
	s_xor_b32 s11, exec_lo, s11
; %bb.6510:                             ;   in Loop: Header=BB4_6458 Depth=2
	v_or_b32_e32 v101, 0x7f, v24
                                        ; implicit-def: $vgpr102
; %bb.6511:                             ;   in Loop: Header=BB4_6458 Depth=2
	s_and_not1_saveexec_b32 s11, s11
; %bb.6512:                             ;   in Loop: Header=BB4_6458 Depth=2
	v_cmp_lt_i32_e32 vcc_lo, -1, v102
	v_cndmask_b32_e32 v101, 0xfc, v110, vcc_lo
; %bb.6513:                             ;   in Loop: Header=BB4_6458 Depth=2
	s_or_b32 exec_lo, exec_lo, s11
.LBB4_6514:                             ;   in Loop: Header=BB4_6458 Depth=2
	s_delay_alu instid0(SALU_CYCLE_1) | instskip(SKIP_3) | instid1(VALU_DEP_2)
	s_or_b32 exec_lo, exec_lo, s10
	v_lshrrev_b16 v52, 8, v14
	v_cmp_lt_i16_e32 vcc_lo, -1, v14
	s_mov_b32 s13, -1
	v_and_b32_e32 v25, 0xffff, v52
	s_delay_alu instid0(VALU_DEP_1) | instskip(SKIP_2) | instid1(VALU_DEP_3)
	v_dual_lshlrev_b32 v98, 24, v52 :: v_dual_bitop2_b32 v96, 3, v25 bitop3:0x40
	v_and_b32_e32 v113, 0x7c, v25
	v_bfe_u32 v97, v25, 2, 5
                                        ; implicit-def: $vgpr25
	v_and_or_b32 v98, 0x80000000, v98, s27
	s_delay_alu instid0(VALU_DEP_4) | instskip(NEXT) | instid1(VALU_DEP_4)
	v_clz_i32_u32_e32 v24, v96
	v_cmp_eq_u32_e64 s10, 0x7c, v113
	s_delay_alu instid0(VALU_DEP_4) | instskip(NEXT) | instid1(VALU_DEP_3)
	v_cmp_eq_u32_e64 s11, 0, v97
	v_min_u32_e32 v102, 32, v24
	v_lshrrev_b16 v24, 8, v10
	v_cndmask_b32_e32 v99, 0xff800000, v109, vcc_lo
	v_cmp_eq_u32_e32 vcc_lo, 0, v96
	s_delay_alu instid0(VALU_DEP_4) | instskip(NEXT) | instid1(VALU_DEP_4)
	v_subrev_nc_u32_e32 v103, 29, v102
	v_and_b32_e32 v112, 0xffff, v24
	v_cmp_ne_u16_e64 s12, 0, v24
	v_dual_cndmask_b32 v99, 0x7f800001, v99 :: v_dual_sub_nc_u32 v102, 30, v102
	s_delay_alu instid0(VALU_DEP_4) | instskip(SKIP_1) | instid1(VALU_DEP_1)
	v_lshlrev_b64_e32 v[114:115], v103, v[52:53]
	s_and_b32 vcc_lo, exec_lo, s44
	v_and_b32_e32 v103, 3, v114
	s_cbranch_vccz .LBB4_6532
; %bb.6515:                             ;   in Loop: Header=BB4_6458 Depth=2
	v_mov_b32_e32 v25, 0
	s_and_saveexec_b32 s13, s12
	s_cbranch_execz .LBB4_6525
; %bb.6516:                             ;   in Loop: Header=BB4_6458 Depth=2
	v_bfrev_b32_e32 v25, 1
	s_mov_b32 s14, exec_lo
	v_cmpx_ne_u16_e32 0x80, v24
	s_cbranch_execz .LBB4_6524
; %bb.6517:                             ;   in Loop: Header=BB4_6458 Depth=2
	v_and_b32_e32 v25, 0x7c, v112
	v_and_b32_e32 v113, 3, v112
	s_delay_alu instid0(VALU_DEP_2) | instskip(SKIP_1) | instid1(SALU_CYCLE_1)
	v_cmp_ne_u32_e32 vcc_lo, 0x7c, v25
                                        ; implicit-def: $vgpr25
	s_and_saveexec_b32 s45, vcc_lo
	s_xor_b32 s45, exec_lo, s45
	s_cbranch_execz .LBB4_6521
; %bb.6518:                             ;   in Loop: Header=BB4_6458 Depth=2
	v_bfe_u32 v25, v112, 2, 5
	s_mov_b32 s46, exec_lo
	s_delay_alu instid0(VALU_DEP_1)
	v_cmpx_eq_u32_e32 0, v25
; %bb.6519:                             ;   in Loop: Header=BB4_6458 Depth=2
	v_clz_i32_u32_e32 v25, v113
	s_delay_alu instid0(VALU_DEP_1) | instskip(SKIP_1) | instid1(VALU_DEP_2)
	v_min_u32_e32 v113, 32, v25
	v_mov_b32_e32 v25, v53
	v_subrev_nc_u32_e32 v114, 29, v113
	s_delay_alu instid0(VALU_DEP_1) | instskip(NEXT) | instid1(VALU_DEP_1)
	v_lshlrev_b64_e32 v[114:115], v114, v[24:25]
	v_dual_sub_nc_u32 v25, 30, v113 :: v_dual_bitop2_b32 v113, 3, v114 bitop3:0x40
; %bb.6520:                             ;   in Loop: Header=BB4_6458 Depth=2
	s_or_b32 exec_lo, exec_lo, s46
	v_lshlrev_b32_e32 v114, 16, v10
	s_delay_alu instid0(VALU_DEP_1) | instskip(NEXT) | instid1(VALU_DEP_1)
	v_and_b32_e32 v114, 0x80000000, v114
	v_lshl_add_u32 v25, v25, 23, v114
	s_delay_alu instid0(VALU_DEP_1) | instskip(NEXT) | instid1(VALU_DEP_1)
	v_lshl_or_b32 v25, v113, 21, v25
                                        ; implicit-def: $vgpr113
	v_add_nc_u32_e32 v25, 0x38000000, v25
.LBB4_6521:                             ;   in Loop: Header=BB4_6458 Depth=2
	s_and_not1_saveexec_b32 s45, s45
; %bb.6522:                             ;   in Loop: Header=BB4_6458 Depth=2
	v_cmp_lt_i16_e32 vcc_lo, -1, v10
	v_cndmask_b32_e32 v25, 0xff800000, v109, vcc_lo
	v_cmp_eq_u32_e32 vcc_lo, 0, v113
	s_delay_alu instid0(VALU_DEP_2)
	v_cndmask_b32_e32 v25, 0x7f800001, v25, vcc_lo
; %bb.6523:                             ;   in Loop: Header=BB4_6458 Depth=2
	s_or_b32 exec_lo, exec_lo, s45
.LBB4_6524:                             ;   in Loop: Header=BB4_6458 Depth=2
	s_delay_alu instid0(SALU_CYCLE_1)
	s_or_b32 exec_lo, exec_lo, s14
.LBB4_6525:                             ;   in Loop: Header=BB4_6458 Depth=2
	s_delay_alu instid0(SALU_CYCLE_1)
	s_or_b32 exec_lo, exec_lo, s13
	s_mov_b32 s13, 0
	s_mov_b32 s14, exec_lo
	v_cmpx_lt_i16_e32 0x7f, v52
	s_xor_b32 s14, exec_lo, s14
	s_cbranch_execz .LBB4_7309
; %bb.6526:                             ;   in Loop: Header=BB4_6458 Depth=2
	s_mov_b32 s13, -1
	s_mov_b32 s45, exec_lo
	v_cmpx_eq_u16_e32 0x80, v52
; %bb.6527:                             ;   in Loop: Header=BB4_6458 Depth=2
	s_xor_b32 s13, exec_lo, -1
; %bb.6528:                             ;   in Loop: Header=BB4_6458 Depth=2
	s_or_b32 exec_lo, exec_lo, s45
	s_delay_alu instid0(SALU_CYCLE_1)
	s_and_b32 s13, s13, exec_lo
	s_or_saveexec_b32 s14, s14
	v_bfrev_b32_e32 v113, 1
	s_xor_b32 exec_lo, exec_lo, s14
	s_cbranch_execnz .LBB4_7310
.LBB4_6529:                             ;   in Loop: Header=BB4_6458 Depth=2
	s_or_b32 exec_lo, exec_lo, s14
	s_and_saveexec_b32 s14, s13
.LBB4_6530:                             ;   in Loop: Header=BB4_6458 Depth=2
	v_dual_cndmask_b32 v113, v97, v102, s11 :: v_dual_cndmask_b32 v114, v96, v103, s11
	s_delay_alu instid0(VALU_DEP_1) | instskip(NEXT) | instid1(VALU_DEP_1)
	v_lshl_add_u32 v113, v113, 23, v98
	v_lshl_or_b32 v113, v114, 21, v113
	s_delay_alu instid0(VALU_DEP_1)
	v_cndmask_b32_e64 v113, v113, v99, s10
.LBB4_6531:                             ;   in Loop: Header=BB4_6458 Depth=2
	s_or_b32 exec_lo, exec_lo, s14
	s_delay_alu instid0(VALU_DEP_1) | instskip(SKIP_2) | instid1(VALU_DEP_1)
	v_max_num_f32_e32 v113, v113, v113
	v_max_num_f32_e32 v25, v25, v25
	s_mov_b32 s13, 0
	v_max_num_f32_e32 v25, v25, v113
.LBB4_6532:                             ;   in Loop: Header=BB4_6458 Depth=2
	s_and_b32 vcc_lo, exec_lo, s13
	s_cbranch_vccz .LBB4_6550
; %bb.6533:                             ;   in Loop: Header=BB4_6458 Depth=2
	v_mov_b32_e32 v25, 0
	s_and_saveexec_b32 s13, s12
	s_cbranch_execz .LBB4_6543
; %bb.6534:                             ;   in Loop: Header=BB4_6458 Depth=2
	v_bfrev_b32_e32 v25, 1
	s_mov_b32 s12, exec_lo
	v_cmpx_ne_u16_e32 0x80, v24
	s_cbranch_execz .LBB4_6542
; %bb.6535:                             ;   in Loop: Header=BB4_6458 Depth=2
	v_and_b32_e32 v25, 0x7c, v112
	v_and_b32_e32 v113, 3, v112
	s_delay_alu instid0(VALU_DEP_2) | instskip(SKIP_1) | instid1(SALU_CYCLE_1)
	v_cmp_ne_u32_e32 vcc_lo, 0x7c, v25
                                        ; implicit-def: $vgpr25
	s_and_saveexec_b32 s14, vcc_lo
	s_xor_b32 s14, exec_lo, s14
	s_cbranch_execz .LBB4_6539
; %bb.6536:                             ;   in Loop: Header=BB4_6458 Depth=2
	v_bfe_u32 v25, v112, 2, 5
	s_mov_b32 s45, exec_lo
	s_delay_alu instid0(VALU_DEP_1)
	v_cmpx_eq_u32_e32 0, v25
	s_cbranch_execz .LBB4_6538
; %bb.6537:                             ;   in Loop: Header=BB4_6458 Depth=2
	v_clz_i32_u32_e32 v25, v113
	s_delay_alu instid0(VALU_DEP_1) | instskip(SKIP_1) | instid1(VALU_DEP_2)
	v_min_u32_e32 v112, 32, v25
	v_mov_b32_e32 v25, v53
	v_subrev_nc_u32_e32 v113, 29, v112
	s_delay_alu instid0(VALU_DEP_1) | instskip(SKIP_1) | instid1(VALU_DEP_2)
	v_lshlrev_b64_e32 v[24:25], v113, v[24:25]
	v_sub_nc_u32_e32 v25, 30, v112
	v_and_b32_e32 v113, 3, v24
.LBB4_6538:                             ;   in Loop: Header=BB4_6458 Depth=2
	s_or_b32 exec_lo, exec_lo, s45
	v_lshlrev_b32_e32 v24, 16, v10
	s_delay_alu instid0(VALU_DEP_1) | instskip(NEXT) | instid1(VALU_DEP_1)
	v_and_b32_e32 v24, 0x80000000, v24
	v_lshl_add_u32 v24, v25, 23, v24
	s_delay_alu instid0(VALU_DEP_1) | instskip(NEXT) | instid1(VALU_DEP_1)
	v_lshl_or_b32 v24, v113, 21, v24
                                        ; implicit-def: $vgpr113
	v_add_nc_u32_e32 v25, 0x38000000, v24
.LBB4_6539:                             ;   in Loop: Header=BB4_6458 Depth=2
	s_and_not1_saveexec_b32 s14, s14
; %bb.6540:                             ;   in Loop: Header=BB4_6458 Depth=2
	v_cmp_lt_i16_e32 vcc_lo, -1, v10
	v_cndmask_b32_e32 v24, 0xff800000, v109, vcc_lo
	v_cmp_eq_u32_e32 vcc_lo, 0, v113
	s_delay_alu instid0(VALU_DEP_2)
	v_cndmask_b32_e32 v25, 0x7f800001, v24, vcc_lo
; %bb.6541:                             ;   in Loop: Header=BB4_6458 Depth=2
	s_or_b32 exec_lo, exec_lo, s14
.LBB4_6542:                             ;   in Loop: Header=BB4_6458 Depth=2
	s_delay_alu instid0(SALU_CYCLE_1)
	s_or_b32 exec_lo, exec_lo, s12
.LBB4_6543:                             ;   in Loop: Header=BB4_6458 Depth=2
	s_delay_alu instid0(SALU_CYCLE_1)
	s_or_b32 exec_lo, exec_lo, s13
	s_mov_b32 s12, 0
	s_mov_b32 s13, exec_lo
	v_cmpx_lt_i16_e32 0x7f, v52
	s_xor_b32 s13, exec_lo, s13
	s_cbranch_execz .LBB4_7311
; %bb.6544:                             ;   in Loop: Header=BB4_6458 Depth=2
	s_mov_b32 s12, -1
	s_mov_b32 s14, exec_lo
	v_cmpx_eq_u16_e32 0x80, v52
; %bb.6545:                             ;   in Loop: Header=BB4_6458 Depth=2
	s_xor_b32 s12, exec_lo, -1
; %bb.6546:                             ;   in Loop: Header=BB4_6458 Depth=2
	s_or_b32 exec_lo, exec_lo, s14
	s_delay_alu instid0(SALU_CYCLE_1)
	s_and_b32 s12, s12, exec_lo
	s_or_saveexec_b32 s13, s13
	v_bfrev_b32_e32 v24, 1
	s_xor_b32 exec_lo, exec_lo, s13
	s_cbranch_execnz .LBB4_7312
.LBB4_6547:                             ;   in Loop: Header=BB4_6458 Depth=2
	s_or_b32 exec_lo, exec_lo, s13
	s_and_saveexec_b32 s13, s12
.LBB4_6548:                             ;   in Loop: Header=BB4_6458 Depth=2
	v_dual_cndmask_b32 v24, v97, v102, s11 :: v_dual_cndmask_b32 v52, v96, v103, s11
	s_delay_alu instid0(VALU_DEP_1) | instskip(NEXT) | instid1(VALU_DEP_1)
	v_lshl_add_u32 v24, v24, 23, v98
	v_lshl_or_b32 v24, v52, 21, v24
	s_delay_alu instid0(VALU_DEP_1)
	v_cndmask_b32_e64 v24, v24, v99, s10
.LBB4_6549:                             ;   in Loop: Header=BB4_6458 Depth=2
	s_or_b32 exec_lo, exec_lo, s13
	s_delay_alu instid0(VALU_DEP_1) | instskip(NEXT) | instid1(VALU_DEP_1)
	v_dual_max_num_f32 v24, v24, v24 :: v_dual_max_num_f32 v25, v25, v25
	v_min_num_f32_e32 v25, v25, v24
.LBB4_6550:                             ;   in Loop: Header=BB4_6458 Depth=2
	s_delay_alu instid0(VALU_DEP_1) | instskip(SKIP_3) | instid1(VALU_DEP_2)
	v_and_b32_e32 v96, 0x7f800000, v25
	v_dual_mov_b32 v97, v53 :: v_dual_lshrrev_b32 v24, 24, v25
	v_and_b32_e32 v52, 0x7fffff, v25
                                        ; implicit-def: $vgpr102
	s_mov_b32 s10, exec_lo
	v_cmpx_ne_u64_e32 0x7f800000, v[96:97]
	s_xor_b32 s11, exec_lo, s10
	s_cbranch_execz .LBB4_6564
; %bb.6551:                             ;   in Loop: Header=BB4_6458 Depth=2
	v_and_b32_e32 v96, 0x7fffffff, v25
	v_mov_b32_e32 v97, v53
	v_and_b32_e32 v98, 0x80, v24
                                        ; implicit-def: $vgpr102
	s_mov_b32 s10, exec_lo
	s_delay_alu instid0(VALU_DEP_2)
	v_cmpx_gt_u64_e32 0x47600001, v[96:97]
	s_xor_b32 s12, exec_lo, s10
	s_cbranch_execz .LBB4_6561
; %bb.6552:                             ;   in Loop: Header=BB4_6458 Depth=2
	v_mov_b32_e32 v102, 0
	s_mov_b32 s13, exec_lo
	v_cmpx_ne_u32_e32 0, v25
	s_cbranch_execz .LBB4_6560
; %bb.6553:                             ;   in Loop: Header=BB4_6458 Depth=2
	v_bfe_u32 v99, v25, 23, 8
	v_or_b32_e32 v96, 0x800000, v52
	s_delay_alu instid0(VALU_DEP_2) | instskip(SKIP_1) | instid1(VALU_DEP_2)
	v_sub_nc_u32_e32 v24, 0x71, v99
	v_cmp_gt_u32_e32 vcc_lo, 0x72, v99
	v_cndmask_b32_e32 v24, 0, v24, vcc_lo
	v_cmp_eq_u32_e32 vcc_lo, 0, v99
	s_delay_alu instid0(VALU_DEP_2) | instskip(NEXT) | instid1(VALU_DEP_1)
	v_cndmask_b32_e64 v102, v24, 0x70, vcc_lo
	v_dual_cndmask_b32 v52, v96, v52, vcc_lo :: v_dual_add_nc_u32 v24, 21, v102
	v_add_nc_u32_e32 v97, 20, v102
	s_delay_alu instid0(VALU_DEP_2) | instskip(NEXT) | instid1(VALU_DEP_2)
	v_lshlrev_b64_e64 v[24:25], v24, -1
	v_lshlrev_b64_e64 v[96:97], v97, 1
	s_delay_alu instid0(VALU_DEP_2) | instskip(NEXT) | instid1(VALU_DEP_3)
	v_bfi_b32 v113, v25, 0, 0
	v_bfi_b32 v112, v24, 0, v52
	v_lshrrev_b64 v[24:25], v102, v[52:53]
	s_delay_alu instid0(VALU_DEP_2) | instskip(NEXT) | instid1(VALU_DEP_2)
	v_cmp_eq_u64_e64 s10, v[112:113], v[96:97]
	v_mov_b64_e32 v[96:97], v[24:25]
	s_and_saveexec_b32 s14, s10
; %bb.6554:                             ;   in Loop: Header=BB4_6458 Depth=2
	v_bfe_u32 v52, v24, 21, 1
	s_delay_alu instid0(VALU_DEP_1) | instskip(NEXT) | instid1(VALU_DEP_1)
	v_add_nc_u64_e32 v[96:97], v[24:25], v[52:53]
	v_add_nc_u64_e32 v[96:97], -1, v[96:97]
; %bb.6555:                             ;   in Loop: Header=BB4_6458 Depth=2
	s_or_b32 exec_lo, exec_lo, s14
	v_add_nc_u32_e32 v25, 0xffffff81, v99
	v_lshrrev_b32_e32 v52, 23, v24
	s_mov_b32 s10, exec_lo
	s_delay_alu instid0(VALU_DEP_2) | instskip(NEXT) | instid1(VALU_DEP_1)
	v_cndmask_b32_e64 v25, v25, 0xffffff82, vcc_lo
	v_add3_u32 v97, v102, v25, v52
	v_and_b32_e32 v25, 0x1fffff, v96
                                        ; implicit-def: $vgpr96
	s_delay_alu instid0(VALU_DEP_1) | instskip(NEXT) | instid1(VALU_DEP_1)
	v_dual_add_nc_u32 v99, 14, v97 :: v_dual_add_nc_u32 v52, v25, v24
                                        ; implicit-def: $vgpr24_vgpr25
	v_cmpx_ne_u32_e32 0, v99
	s_xor_b32 s10, exec_lo, s10
; %bb.6556:                             ;   in Loop: Header=BB4_6458 Depth=2
	s_delay_alu instid0(VALU_DEP_2) | instskip(SKIP_1) | instid1(VALU_DEP_1)
	v_cmp_lt_u64_e32 vcc_lo, 0xffffff, v[52:53]
	v_add_nc_u32_e32 v24, 15, v97
	v_cndmask_b32_e32 v96, v99, v24, vcc_lo
	v_cndmask_b32_e64 v24, 0, 1, vcc_lo
	s_delay_alu instid0(VALU_DEP_1)
	v_lshrrev_b64 v[24:25], v24, v[52:53]
; %bb.6557:                             ;   in Loop: Header=BB4_6458 Depth=2
	s_and_not1_saveexec_b32 s10, s10
; %bb.6558:                             ;   in Loop: Header=BB4_6458 Depth=2
	v_mov_b64_e32 v[24:25], v[52:53]
	v_bfe_u32 v96, v52, 23, 1
; %bb.6559:                             ;   in Loop: Header=BB4_6458 Depth=2
	s_or_b32 exec_lo, exec_lo, s10
	s_delay_alu instid0(VALU_DEP_2) | instskip(NEXT) | instid1(VALU_DEP_2)
	v_lshrrev_b64 v[24:25], 21, v[24:25]
	v_cmp_gt_i32_e32 vcc_lo, 32, v96
	v_min_i32_e32 v52, 31, v96
	v_cmp_eq_u32_e64 s10, 0, v96
	s_delay_alu instid0(VALU_DEP_2) | instskip(SKIP_1) | instid1(VALU_DEP_2)
	v_dual_cndmask_b32 v25, 0, v25 :: v_dual_lshlrev_b32 v52, 2, v52
	v_cndmask_b32_e32 v24, 3, v24, vcc_lo
	v_and_b32_e32 v52, 0xfc, v52
	s_delay_alu instid0(VALU_DEP_2) | instskip(NEXT) | instid1(VALU_DEP_2)
	v_cmp_eq_u64_e32 vcc_lo, 0, v[24:25]
	v_and_or_b32 v24, v24, 3, v52
	s_and_b32 s10, s10, vcc_lo
	s_delay_alu instid0(VALU_DEP_1) | instid1(SALU_CYCLE_1)
	v_cndmask_b32_e64 v24, v24, 0, s10
	s_delay_alu instid0(VALU_DEP_1)
	v_or_b32_e32 v102, v24, v98
.LBB4_6560:                             ;   in Loop: Header=BB4_6458 Depth=2
	s_or_b32 exec_lo, exec_lo, s13
                                        ; implicit-def: $vgpr98
.LBB4_6561:                             ;   in Loop: Header=BB4_6458 Depth=2
	s_and_not1_saveexec_b32 s10, s12
; %bb.6562:                             ;   in Loop: Header=BB4_6458 Depth=2
	v_or_b32_e32 v102, 0x7b, v98
; %bb.6563:                             ;   in Loop: Header=BB4_6458 Depth=2
	s_or_b32 exec_lo, exec_lo, s10
                                        ; implicit-def: $vgpr25
                                        ; implicit-def: $vgpr24
.LBB4_6564:                             ;   in Loop: Header=BB4_6458 Depth=2
	s_and_not1_saveexec_b32 s10, s11
	s_cbranch_execz .LBB4_6570
; %bb.6565:                             ;   in Loop: Header=BB4_6458 Depth=2
	s_mov_b32 s11, exec_lo
                                        ; implicit-def: $vgpr102
	v_cmpx_ne_u64_e32 0, v[52:53]
	s_xor_b32 s11, exec_lo, s11
; %bb.6566:                             ;   in Loop: Header=BB4_6458 Depth=2
	v_or_b32_e32 v102, 0x7f, v24
                                        ; implicit-def: $vgpr25
; %bb.6567:                             ;   in Loop: Header=BB4_6458 Depth=2
	s_and_not1_saveexec_b32 s11, s11
; %bb.6568:                             ;   in Loop: Header=BB4_6458 Depth=2
	v_cmp_lt_i32_e32 vcc_lo, -1, v25
	v_cndmask_b32_e32 v102, 0xfc, v110, vcc_lo
; %bb.6569:                             ;   in Loop: Header=BB4_6458 Depth=2
	s_or_b32 exec_lo, exec_lo, s11
.LBB4_6570:                             ;   in Loop: Header=BB4_6458 Depth=2
	s_delay_alu instid0(SALU_CYCLE_1) | instskip(SKIP_4) | instid1(VALU_DEP_4)
	s_or_b32 exec_lo, exec_lo, s10
	v_bfe_u32 v25, v14, 16, 2
	v_dual_lshrrev_b32 v96, 16, v14 :: v_dual_lshlrev_b32 v99, 8, v14
	v_bfe_u32 v52, v14, 18, 5
	v_and_b32_e32 v98, 0x7c0000, v14
	v_clz_i32_u32_e32 v24, v25
	s_delay_alu instid0(VALU_DEP_4)
	v_bfe_i32 v103, v96, 0, 8
	s_mov_b32 s13, -1
	v_cmp_eq_u32_e64 s11, 0, v52
	v_cmp_eq_u32_e64 s10, 0x7c0000, v98
	v_min_u32_e32 v97, 32, v24
	v_cmp_lt_i16_e32 vcc_lo, -1, v103
	v_lshrrev_b32_e32 v24, 16, v10
	s_delay_alu instid0(VALU_DEP_3) | instskip(NEXT) | instid1(VALU_DEP_1)
	v_subrev_nc_u32_e32 v113, 29, v97
	v_lshlrev_b64_e32 v[114:115], v113, v[96:97]
	v_cndmask_b32_e32 v113, 0xff800000, v109, vcc_lo
	s_delay_alu instid0(VALU_DEP_4) | instskip(SKIP_3) | instid1(VALU_DEP_4)
	v_and_b32_e32 v112, 0xff, v24
	v_cmp_eq_u32_e32 vcc_lo, 0, v25
	v_and_or_b32 v96, 0x80000000, v99, s27
	v_dual_sub_nc_u32 v98, 30, v97 :: v_dual_bitop2_b32 v99, 3, v114 bitop3:0x40
	v_cmp_ne_u16_e64 s12, 0, v112
	v_cndmask_b32_e32 v97, 0x7f800001, v113, vcc_lo
	s_and_b32 vcc_lo, exec_lo, s44
                                        ; implicit-def: $vgpr113
	s_cbranch_vccz .LBB4_6588
; %bb.6571:                             ;   in Loop: Header=BB4_6458 Depth=2
	v_mov_b32_e32 v113, 0
	s_and_saveexec_b32 s13, s12
	s_cbranch_execz .LBB4_6581
; %bb.6572:                             ;   in Loop: Header=BB4_6458 Depth=2
	v_bfrev_b32_e32 v113, 1
	s_mov_b32 s14, exec_lo
	v_cmpx_ne_u16_e32 0x80, v112
	s_cbranch_execz .LBB4_6580
; %bb.6573:                             ;   in Loop: Header=BB4_6458 Depth=2
	v_and_b32_e32 v113, 0x7c0000, v10
	v_bfe_u32 v114, v10, 16, 2
	s_delay_alu instid0(VALU_DEP_2) | instskip(SKIP_1) | instid1(SALU_CYCLE_1)
	v_cmp_ne_u32_e32 vcc_lo, 0x7c0000, v113
                                        ; implicit-def: $vgpr113
	s_and_saveexec_b32 s45, vcc_lo
	s_xor_b32 s45, exec_lo, s45
	s_cbranch_execz .LBB4_6577
; %bb.6574:                             ;   in Loop: Header=BB4_6458 Depth=2
	v_bfe_u32 v113, v10, 18, 5
	s_mov_b32 s46, exec_lo
	s_delay_alu instid0(VALU_DEP_1)
	v_cmpx_eq_u32_e32 0, v113
; %bb.6575:                             ;   in Loop: Header=BB4_6458 Depth=2
	v_clz_i32_u32_e32 v113, v114
	s_delay_alu instid0(VALU_DEP_1) | instskip(NEXT) | instid1(VALU_DEP_1)
	v_min_u32_e32 v113, 32, v113
	v_subrev_nc_u32_e32 v114, 29, v113
	s_delay_alu instid0(VALU_DEP_1) | instskip(NEXT) | instid1(VALU_DEP_1)
	v_lshlrev_b64_e32 v[114:115], v114, v[24:25]
	v_dual_sub_nc_u32 v113, 30, v113 :: v_dual_bitop2_b32 v114, 3, v114 bitop3:0x40
; %bb.6576:                             ;   in Loop: Header=BB4_6458 Depth=2
	s_or_b32 exec_lo, exec_lo, s46
	v_lshlrev_b32_e32 v115, 24, v24
	s_delay_alu instid0(VALU_DEP_1) | instskip(NEXT) | instid1(VALU_DEP_1)
	v_and_b32_e32 v115, 0x80000000, v115
	v_lshl_add_u32 v113, v113, 23, v115
	s_delay_alu instid0(VALU_DEP_1) | instskip(NEXT) | instid1(VALU_DEP_1)
	v_lshl_or_b32 v113, v114, 21, v113
                                        ; implicit-def: $vgpr114
	v_add_nc_u32_e32 v113, 0x38000000, v113
.LBB4_6577:                             ;   in Loop: Header=BB4_6458 Depth=2
	s_and_not1_saveexec_b32 s45, s45
; %bb.6578:                             ;   in Loop: Header=BB4_6458 Depth=2
	v_bfe_i32 v113, v24, 0, 8
	s_delay_alu instid0(VALU_DEP_1) | instskip(SKIP_2) | instid1(VALU_DEP_2)
	v_cmp_lt_i16_e32 vcc_lo, -1, v113
	v_cndmask_b32_e32 v113, 0xff800000, v109, vcc_lo
	v_cmp_eq_u32_e32 vcc_lo, 0, v114
	v_cndmask_b32_e32 v113, 0x7f800001, v113, vcc_lo
; %bb.6579:                             ;   in Loop: Header=BB4_6458 Depth=2
	s_or_b32 exec_lo, exec_lo, s45
.LBB4_6580:                             ;   in Loop: Header=BB4_6458 Depth=2
	s_delay_alu instid0(SALU_CYCLE_1)
	s_or_b32 exec_lo, exec_lo, s14
.LBB4_6581:                             ;   in Loop: Header=BB4_6458 Depth=2
	s_delay_alu instid0(SALU_CYCLE_1) | instskip(SKIP_3) | instid1(VALU_DEP_1)
	s_or_b32 exec_lo, exec_lo, s13
	v_and_b32_e32 v115, 0xff, v103
	s_mov_b32 s13, 0
	s_mov_b32 s14, exec_lo
	v_cmpx_lt_i16_e32 0x7f, v115
	s_xor_b32 s14, exec_lo, s14
	s_cbranch_execz .LBB4_7313
; %bb.6582:                             ;   in Loop: Header=BB4_6458 Depth=2
	s_mov_b32 s13, -1
	s_mov_b32 s45, exec_lo
	v_cmpx_eq_u16_e32 0x80, v115
; %bb.6583:                             ;   in Loop: Header=BB4_6458 Depth=2
	s_xor_b32 s13, exec_lo, -1
; %bb.6584:                             ;   in Loop: Header=BB4_6458 Depth=2
	s_or_b32 exec_lo, exec_lo, s45
	s_delay_alu instid0(SALU_CYCLE_1)
	s_and_b32 s13, s13, exec_lo
                                        ; implicit-def: $vgpr115
	s_or_saveexec_b32 s14, s14
	v_bfrev_b32_e32 v114, 1
	s_xor_b32 exec_lo, exec_lo, s14
	s_cbranch_execnz .LBB4_7314
.LBB4_6585:                             ;   in Loop: Header=BB4_6458 Depth=2
	s_or_b32 exec_lo, exec_lo, s14
	s_and_saveexec_b32 s14, s13
.LBB4_6586:                             ;   in Loop: Header=BB4_6458 Depth=2
	v_dual_cndmask_b32 v114, v52, v98, s11 :: v_dual_cndmask_b32 v115, v25, v99, s11
	s_delay_alu instid0(VALU_DEP_1) | instskip(NEXT) | instid1(VALU_DEP_1)
	v_lshl_add_u32 v114, v114, 23, v96
	v_lshl_or_b32 v114, v115, 21, v114
	s_delay_alu instid0(VALU_DEP_1)
	v_cndmask_b32_e64 v114, v114, v97, s10
.LBB4_6587:                             ;   in Loop: Header=BB4_6458 Depth=2
	s_or_b32 exec_lo, exec_lo, s14
	s_delay_alu instid0(VALU_DEP_1) | instskip(SKIP_1) | instid1(VALU_DEP_1)
	v_dual_max_num_f32 v114, v114, v114 :: v_dual_max_num_f32 v113, v113, v113
	s_mov_b32 s13, 0
	v_max_num_f32_e32 v113, v113, v114
.LBB4_6588:                             ;   in Loop: Header=BB4_6458 Depth=2
	s_and_b32 vcc_lo, exec_lo, s13
	s_cbranch_vccz .LBB4_6606
; %bb.6589:                             ;   in Loop: Header=BB4_6458 Depth=2
	v_mov_b32_e32 v113, 0
	s_and_saveexec_b32 s13, s12
	s_cbranch_execz .LBB4_6599
; %bb.6590:                             ;   in Loop: Header=BB4_6458 Depth=2
	v_bfrev_b32_e32 v113, 1
	s_mov_b32 s12, exec_lo
	v_cmpx_ne_u16_e32 0x80, v112
	s_cbranch_execz .LBB4_6598
; %bb.6591:                             ;   in Loop: Header=BB4_6458 Depth=2
	v_and_b32_e32 v113, 0x7c0000, v10
	v_bfe_u32 v112, v10, 16, 2
	s_delay_alu instid0(VALU_DEP_2) | instskip(SKIP_1) | instid1(SALU_CYCLE_1)
	v_cmp_ne_u32_e32 vcc_lo, 0x7c0000, v113
                                        ; implicit-def: $vgpr113
	s_and_saveexec_b32 s14, vcc_lo
	s_xor_b32 s14, exec_lo, s14
	s_cbranch_execz .LBB4_6595
; %bb.6592:                             ;   in Loop: Header=BB4_6458 Depth=2
	v_bfe_u32 v113, v10, 18, 5
	s_mov_b32 s45, exec_lo
	s_delay_alu instid0(VALU_DEP_1)
	v_cmpx_eq_u32_e32 0, v113
; %bb.6593:                             ;   in Loop: Header=BB4_6458 Depth=2
	v_clz_i32_u32_e32 v112, v112
	s_delay_alu instid0(VALU_DEP_1) | instskip(NEXT) | instid1(VALU_DEP_1)
	v_min_u32_e32 v114, 32, v112
	v_subrev_nc_u32_e32 v112, 29, v114
	s_delay_alu instid0(VALU_DEP_1) | instskip(NEXT) | instid1(VALU_DEP_1)
	v_lshlrev_b64_e32 v[112:113], v112, v[24:25]
	v_dual_sub_nc_u32 v113, 30, v114 :: v_dual_bitop2_b32 v112, 3, v112 bitop3:0x40
; %bb.6594:                             ;   in Loop: Header=BB4_6458 Depth=2
	s_or_b32 exec_lo, exec_lo, s45
	v_lshlrev_b32_e32 v24, 24, v24
	s_delay_alu instid0(VALU_DEP_1) | instskip(NEXT) | instid1(VALU_DEP_1)
	v_and_b32_e32 v24, 0x80000000, v24
	v_lshl_add_u32 v24, v113, 23, v24
	s_delay_alu instid0(VALU_DEP_1) | instskip(NEXT) | instid1(VALU_DEP_1)
	v_lshl_or_b32 v24, v112, 21, v24
                                        ; implicit-def: $vgpr112
	v_add_nc_u32_e32 v113, 0x38000000, v24
                                        ; implicit-def: $vgpr24
.LBB4_6595:                             ;   in Loop: Header=BB4_6458 Depth=2
	s_and_not1_saveexec_b32 s14, s14
; %bb.6596:                             ;   in Loop: Header=BB4_6458 Depth=2
	v_bfe_i32 v24, v24, 0, 8
	s_delay_alu instid0(VALU_DEP_1) | instskip(SKIP_2) | instid1(VALU_DEP_2)
	v_cmp_lt_i16_e32 vcc_lo, -1, v24
	v_cndmask_b32_e32 v24, 0xff800000, v109, vcc_lo
	v_cmp_eq_u32_e32 vcc_lo, 0, v112
	v_cndmask_b32_e32 v113, 0x7f800001, v24, vcc_lo
; %bb.6597:                             ;   in Loop: Header=BB4_6458 Depth=2
	s_or_b32 exec_lo, exec_lo, s14
.LBB4_6598:                             ;   in Loop: Header=BB4_6458 Depth=2
	s_delay_alu instid0(SALU_CYCLE_1)
	s_or_b32 exec_lo, exec_lo, s12
.LBB4_6599:                             ;   in Loop: Header=BB4_6458 Depth=2
	s_delay_alu instid0(SALU_CYCLE_1) | instskip(SKIP_3) | instid1(VALU_DEP_1)
	s_or_b32 exec_lo, exec_lo, s13
	v_and_b32_e32 v103, 0xff, v103
	s_mov_b32 s12, 0
	s_mov_b32 s13, exec_lo
	v_cmpx_lt_i16_e32 0x7f, v103
	s_xor_b32 s13, exec_lo, s13
	s_cbranch_execz .LBB4_7315
; %bb.6600:                             ;   in Loop: Header=BB4_6458 Depth=2
	s_mov_b32 s12, -1
	s_mov_b32 s14, exec_lo
	v_cmpx_eq_u16_e32 0x80, v103
; %bb.6601:                             ;   in Loop: Header=BB4_6458 Depth=2
	s_xor_b32 s12, exec_lo, -1
; %bb.6602:                             ;   in Loop: Header=BB4_6458 Depth=2
	s_or_b32 exec_lo, exec_lo, s14
	s_delay_alu instid0(SALU_CYCLE_1)
	s_and_b32 s12, s12, exec_lo
                                        ; implicit-def: $vgpr103
	s_or_saveexec_b32 s13, s13
	v_bfrev_b32_e32 v24, 1
	s_xor_b32 exec_lo, exec_lo, s13
	s_cbranch_execnz .LBB4_7316
.LBB4_6603:                             ;   in Loop: Header=BB4_6458 Depth=2
	s_or_b32 exec_lo, exec_lo, s13
	s_and_saveexec_b32 s13, s12
.LBB4_6604:                             ;   in Loop: Header=BB4_6458 Depth=2
	v_dual_cndmask_b32 v24, v52, v98, s11 :: v_dual_cndmask_b32 v25, v25, v99, s11
	s_delay_alu instid0(VALU_DEP_1) | instskip(NEXT) | instid1(VALU_DEP_1)
	v_lshl_add_u32 v24, v24, 23, v96
	v_lshl_or_b32 v24, v25, 21, v24
	s_delay_alu instid0(VALU_DEP_1)
	v_cndmask_b32_e64 v24, v24, v97, s10
.LBB4_6605:                             ;   in Loop: Header=BB4_6458 Depth=2
	s_or_b32 exec_lo, exec_lo, s13
	s_delay_alu instid0(VALU_DEP_1) | instskip(NEXT) | instid1(VALU_DEP_1)
	v_dual_max_num_f32 v24, v24, v24 :: v_dual_max_num_f32 v25, v113, v113
	v_min_num_f32_e32 v113, v25, v24
.LBB4_6606:                             ;   in Loop: Header=BB4_6458 Depth=2
	s_delay_alu instid0(VALU_DEP_1) | instskip(SKIP_2) | instid1(VALU_DEP_2)
	v_and_b32_e32 v24, 0x7f800000, v113
	v_mov_b32_e32 v25, v53
	v_and_b32_e32 v52, 0x7fffff, v113
                                        ; implicit-def: $vgpr103
	v_cmp_ne_u64_e32 vcc_lo, 0x7f800000, v[24:25]
	v_lshrrev_b32_e32 v24, 24, v113
	s_and_saveexec_b32 s10, vcc_lo
	s_delay_alu instid0(SALU_CYCLE_1)
	s_xor_b32 s11, exec_lo, s10
	s_cbranch_execz .LBB4_6620
; %bb.6607:                             ;   in Loop: Header=BB4_6458 Depth=2
	v_and_b32_e32 v96, 0x7fffffff, v113
	v_mov_b32_e32 v97, v53
	v_and_b32_e32 v98, 0x80, v24
                                        ; implicit-def: $vgpr103
	s_mov_b32 s10, exec_lo
	s_delay_alu instid0(VALU_DEP_2)
	v_cmpx_gt_u64_e32 0x47600001, v[96:97]
	s_xor_b32 s12, exec_lo, s10
	s_cbranch_execz .LBB4_6617
; %bb.6608:                             ;   in Loop: Header=BB4_6458 Depth=2
	v_mov_b32_e32 v103, 0
	s_mov_b32 s13, exec_lo
	v_cmpx_ne_u32_e32 0, v113
	s_cbranch_execz .LBB4_6616
; %bb.6609:                             ;   in Loop: Header=BB4_6458 Depth=2
	v_bfe_u32 v99, v113, 23, 8
	v_or_b32_e32 v96, 0x800000, v52
	s_delay_alu instid0(VALU_DEP_2) | instskip(SKIP_1) | instid1(VALU_DEP_2)
	v_sub_nc_u32_e32 v24, 0x71, v99
	v_cmp_gt_u32_e32 vcc_lo, 0x72, v99
	v_cndmask_b32_e32 v24, 0, v24, vcc_lo
	v_cmp_eq_u32_e32 vcc_lo, 0, v99
	s_delay_alu instid0(VALU_DEP_2) | instskip(NEXT) | instid1(VALU_DEP_1)
	v_cndmask_b32_e64 v103, v24, 0x70, vcc_lo
	v_dual_cndmask_b32 v52, v96, v52, vcc_lo :: v_dual_add_nc_u32 v24, 21, v103
	v_add_nc_u32_e32 v97, 20, v103
	s_delay_alu instid0(VALU_DEP_2) | instskip(NEXT) | instid1(VALU_DEP_2)
	v_lshlrev_b64_e64 v[24:25], v24, -1
	v_lshlrev_b64_e64 v[96:97], v97, 1
	s_delay_alu instid0(VALU_DEP_2) | instskip(NEXT) | instid1(VALU_DEP_3)
	v_bfi_b32 v113, v25, 0, 0
	v_bfi_b32 v112, v24, 0, v52
	v_lshrrev_b64 v[24:25], v103, v[52:53]
	s_delay_alu instid0(VALU_DEP_2) | instskip(NEXT) | instid1(VALU_DEP_2)
	v_cmp_eq_u64_e64 s10, v[112:113], v[96:97]
	v_mov_b64_e32 v[96:97], v[24:25]
	s_and_saveexec_b32 s14, s10
; %bb.6610:                             ;   in Loop: Header=BB4_6458 Depth=2
	v_bfe_u32 v52, v24, 21, 1
	s_delay_alu instid0(VALU_DEP_1) | instskip(NEXT) | instid1(VALU_DEP_1)
	v_add_nc_u64_e32 v[96:97], v[24:25], v[52:53]
	v_add_nc_u64_e32 v[96:97], -1, v[96:97]
; %bb.6611:                             ;   in Loop: Header=BB4_6458 Depth=2
	s_or_b32 exec_lo, exec_lo, s14
	v_add_nc_u32_e32 v25, 0xffffff81, v99
	v_lshrrev_b32_e32 v52, 23, v24
	s_mov_b32 s10, exec_lo
	s_delay_alu instid0(VALU_DEP_2) | instskip(NEXT) | instid1(VALU_DEP_1)
	v_cndmask_b32_e64 v25, v25, 0xffffff82, vcc_lo
	v_add3_u32 v97, v103, v25, v52
	v_and_b32_e32 v25, 0x1fffff, v96
                                        ; implicit-def: $vgpr96
	s_delay_alu instid0(VALU_DEP_1) | instskip(NEXT) | instid1(VALU_DEP_1)
	v_dual_add_nc_u32 v99, 14, v97 :: v_dual_add_nc_u32 v52, v25, v24
                                        ; implicit-def: $vgpr24_vgpr25
	v_cmpx_ne_u32_e32 0, v99
	s_xor_b32 s10, exec_lo, s10
; %bb.6612:                             ;   in Loop: Header=BB4_6458 Depth=2
	s_delay_alu instid0(VALU_DEP_2) | instskip(SKIP_1) | instid1(VALU_DEP_1)
	v_cmp_lt_u64_e32 vcc_lo, 0xffffff, v[52:53]
	v_add_nc_u32_e32 v24, 15, v97
	v_cndmask_b32_e32 v96, v99, v24, vcc_lo
	v_cndmask_b32_e64 v24, 0, 1, vcc_lo
	s_delay_alu instid0(VALU_DEP_1)
	v_lshrrev_b64 v[24:25], v24, v[52:53]
; %bb.6613:                             ;   in Loop: Header=BB4_6458 Depth=2
	s_and_not1_saveexec_b32 s10, s10
; %bb.6614:                             ;   in Loop: Header=BB4_6458 Depth=2
	v_mov_b64_e32 v[24:25], v[52:53]
	v_bfe_u32 v96, v52, 23, 1
; %bb.6615:                             ;   in Loop: Header=BB4_6458 Depth=2
	s_or_b32 exec_lo, exec_lo, s10
	s_delay_alu instid0(VALU_DEP_2) | instskip(NEXT) | instid1(VALU_DEP_2)
	v_lshrrev_b64 v[24:25], 21, v[24:25]
	v_cmp_gt_i32_e32 vcc_lo, 32, v96
	v_min_i32_e32 v52, 31, v96
	v_cmp_eq_u32_e64 s10, 0, v96
	s_delay_alu instid0(VALU_DEP_2) | instskip(SKIP_1) | instid1(VALU_DEP_2)
	v_dual_cndmask_b32 v25, 0, v25 :: v_dual_lshlrev_b32 v52, 2, v52
	v_cndmask_b32_e32 v24, 3, v24, vcc_lo
	v_and_b32_e32 v52, 0xfc, v52
	s_delay_alu instid0(VALU_DEP_2) | instskip(NEXT) | instid1(VALU_DEP_2)
	v_cmp_eq_u64_e32 vcc_lo, 0, v[24:25]
	v_and_or_b32 v24, v24, 3, v52
	s_and_b32 s10, s10, vcc_lo
	s_delay_alu instid0(VALU_DEP_1) | instid1(SALU_CYCLE_1)
	v_cndmask_b32_e64 v24, v24, 0, s10
	s_delay_alu instid0(VALU_DEP_1)
	v_or_b32_e32 v103, v24, v98
.LBB4_6616:                             ;   in Loop: Header=BB4_6458 Depth=2
	s_or_b32 exec_lo, exec_lo, s13
                                        ; implicit-def: $vgpr98
.LBB4_6617:                             ;   in Loop: Header=BB4_6458 Depth=2
	s_and_not1_saveexec_b32 s10, s12
; %bb.6618:                             ;   in Loop: Header=BB4_6458 Depth=2
	v_or_b32_e32 v103, 0x7b, v98
; %bb.6619:                             ;   in Loop: Header=BB4_6458 Depth=2
	s_or_b32 exec_lo, exec_lo, s10
                                        ; implicit-def: $vgpr113
                                        ; implicit-def: $vgpr24
.LBB4_6620:                             ;   in Loop: Header=BB4_6458 Depth=2
	s_and_not1_saveexec_b32 s10, s11
	s_cbranch_execz .LBB4_6626
; %bb.6621:                             ;   in Loop: Header=BB4_6458 Depth=2
	s_mov_b32 s11, exec_lo
                                        ; implicit-def: $vgpr103
	v_cmpx_ne_u64_e32 0, v[52:53]
	s_xor_b32 s11, exec_lo, s11
; %bb.6622:                             ;   in Loop: Header=BB4_6458 Depth=2
	v_or_b32_e32 v103, 0x7f, v24
                                        ; implicit-def: $vgpr113
; %bb.6623:                             ;   in Loop: Header=BB4_6458 Depth=2
	s_and_not1_saveexec_b32 s11, s11
; %bb.6624:                             ;   in Loop: Header=BB4_6458 Depth=2
	v_cmp_lt_i32_e32 vcc_lo, -1, v113
	v_cndmask_b32_e32 v103, 0xfc, v110, vcc_lo
; %bb.6625:                             ;   in Loop: Header=BB4_6458 Depth=2
	s_or_b32 exec_lo, exec_lo, s11
.LBB4_6626:                             ;   in Loop: Header=BB4_6458 Depth=2
	s_delay_alu instid0(SALU_CYCLE_1)
	s_or_b32 exec_lo, exec_lo, s10
	v_bfe_u32 v25, v14, 24, 2
	v_lshrrev_b32_e32 v98, 24, v14
	v_cmp_lt_i32_e32 vcc_lo, -1, v14
	v_and_b32_e32 v97, 0x7c000000, v14
	v_cmp_gt_u32_e64 s10, 0x1000000, v14
	v_clz_i32_u32_e32 v52, v25
	v_and_or_b32 v96, 0x80000000, v14, s27
	v_cndmask_b32_e32 v114, 0xff800000, v109, vcc_lo
	v_cmp_eq_u32_e32 vcc_lo, 0, v25
	v_cmp_lt_u32_e64 s14, 0xffffff, v10
	v_min_u32_e32 v99, 32, v52
	v_bfe_u32 v52, v14, 26, 5
	v_lshrrev_b32_e32 v24, 24, v10
	v_cmp_eq_u32_e64 s11, 0x80, v98
	v_cmp_eq_u32_e64 s12, 0x7c000000, v97
	v_subrev_nc_u32_e32 v112, 29, v99
	v_cmp_eq_u32_e64 s13, 0, v52
	v_cndmask_b32_e32 v97, 0x7f800001, v114, vcc_lo
	s_and_b32 vcc_lo, exec_lo, s44
	s_mov_b32 s45, -1
	v_lshlrev_b64_e32 v[112:113], v112, v[98:99]
	v_sub_nc_u32_e32 v98, 30, v99
                                        ; implicit-def: $vgpr113
	s_delay_alu instid0(VALU_DEP_2)
	v_and_b32_e32 v99, 3, v112
	s_cbranch_vccz .LBB4_6638
; %bb.6627:                             ;   in Loop: Header=BB4_6458 Depth=2
	v_mov_b32_e32 v112, 0
	s_and_saveexec_b32 s45, s14
	s_cbranch_execz .LBB4_6637
; %bb.6628:                             ;   in Loop: Header=BB4_6458 Depth=2
	v_bfrev_b32_e32 v112, 1
	s_mov_b32 s46, exec_lo
	v_cmpx_ne_u32_e32 0x80, v24
	s_cbranch_execz .LBB4_6636
; %bb.6629:                             ;   in Loop: Header=BB4_6458 Depth=2
	v_and_b32_e32 v112, 0x7c000000, v10
	v_bfe_u32 v113, v10, 24, 2
	s_delay_alu instid0(VALU_DEP_2) | instskip(SKIP_1) | instid1(SALU_CYCLE_1)
	v_cmp_ne_u32_e32 vcc_lo, 0x7c000000, v112
                                        ; implicit-def: $vgpr112
	s_and_saveexec_b32 s47, vcc_lo
	s_xor_b32 s47, exec_lo, s47
	s_cbranch_execz .LBB4_6633
; %bb.6630:                             ;   in Loop: Header=BB4_6458 Depth=2
	v_bfe_u32 v112, v10, 26, 5
	s_mov_b32 s56, exec_lo
	s_delay_alu instid0(VALU_DEP_1)
	v_cmpx_eq_u32_e32 0, v112
; %bb.6631:                             ;   in Loop: Header=BB4_6458 Depth=2
	v_clz_i32_u32_e32 v112, v113
	s_delay_alu instid0(VALU_DEP_1) | instskip(NEXT) | instid1(VALU_DEP_1)
	v_min_u32_e32 v112, 32, v112
	v_subrev_nc_u32_e32 v113, 29, v112
	s_delay_alu instid0(VALU_DEP_1) | instskip(NEXT) | instid1(VALU_DEP_1)
	v_lshlrev_b64_e32 v[114:115], v113, v[24:25]
	v_dual_sub_nc_u32 v112, 30, v112 :: v_dual_bitop2_b32 v113, 3, v114 bitop3:0x40
; %bb.6632:                             ;   in Loop: Header=BB4_6458 Depth=2
	s_or_b32 exec_lo, exec_lo, s56
	v_and_b32_e32 v114, 0x80000000, v10
	s_delay_alu instid0(VALU_DEP_1) | instskip(NEXT) | instid1(VALU_DEP_1)
	v_lshl_add_u32 v112, v112, 23, v114
	v_lshl_or_b32 v112, v113, 21, v112
                                        ; implicit-def: $vgpr113
	s_delay_alu instid0(VALU_DEP_1)
	v_add_nc_u32_e32 v112, 0x38000000, v112
.LBB4_6633:                             ;   in Loop: Header=BB4_6458 Depth=2
	s_and_not1_saveexec_b32 s47, s47
; %bb.6634:                             ;   in Loop: Header=BB4_6458 Depth=2
	v_cmp_lt_i32_e32 vcc_lo, -1, v10
	v_cndmask_b32_e32 v112, 0xff800000, v109, vcc_lo
	v_cmp_eq_u32_e32 vcc_lo, 0, v113
	s_delay_alu instid0(VALU_DEP_2)
	v_cndmask_b32_e32 v112, 0x7f800001, v112, vcc_lo
; %bb.6635:                             ;   in Loop: Header=BB4_6458 Depth=2
	s_or_b32 exec_lo, exec_lo, s47
.LBB4_6636:                             ;   in Loop: Header=BB4_6458 Depth=2
	s_delay_alu instid0(SALU_CYCLE_1)
	s_or_b32 exec_lo, exec_lo, s46
.LBB4_6637:                             ;   in Loop: Header=BB4_6458 Depth=2
	s_delay_alu instid0(SALU_CYCLE_1) | instskip(SKIP_3) | instid1(VALU_DEP_2)
	s_or_b32 exec_lo, exec_lo, s45
	v_dual_cndmask_b32 v113, v52, v98, s13 :: v_dual_cndmask_b32 v114, v25, v99, s13
	s_mov_b32 s45, 0
	v_max_num_f32_e32 v112, v112, v112
	v_lshl_add_u32 v113, v113, 23, v96
	s_delay_alu instid0(VALU_DEP_1) | instskip(NEXT) | instid1(VALU_DEP_1)
	v_lshl_or_b32 v113, v114, 21, v113
	v_cndmask_b32_e64 v113, v113, v97, s12
	s_delay_alu instid0(VALU_DEP_1) | instskip(NEXT) | instid1(VALU_DEP_1)
	v_cndmask_b32_e64 v113, v113, 0x80000000, s11
	v_cndmask_b32_e64 v113, v113, 0, s10
	s_delay_alu instid0(VALU_DEP_1) | instskip(NEXT) | instid1(VALU_DEP_1)
	v_max_num_f32_e32 v113, v113, v113
	v_max_num_f32_e32 v113, v112, v113
.LBB4_6638:                             ;   in Loop: Header=BB4_6458 Depth=2
	s_and_b32 vcc_lo, exec_lo, s45
	s_cbranch_vccz .LBB4_6650
; %bb.6639:                             ;   in Loop: Header=BB4_6458 Depth=2
	v_mov_b32_e32 v112, 0
	s_and_saveexec_b32 s45, s14
	s_cbranch_execz .LBB4_6649
; %bb.6640:                             ;   in Loop: Header=BB4_6458 Depth=2
	v_bfrev_b32_e32 v112, 1
	s_mov_b32 s14, exec_lo
	v_cmpx_ne_u32_e32 0x80, v24
	s_cbranch_execz .LBB4_6648
; %bb.6641:                             ;   in Loop: Header=BB4_6458 Depth=2
	v_and_b32_e32 v112, 0x7c000000, v10
	v_bfe_u32 v113, v10, 24, 2
	s_delay_alu instid0(VALU_DEP_2) | instskip(SKIP_1) | instid1(SALU_CYCLE_1)
	v_cmp_ne_u32_e32 vcc_lo, 0x7c000000, v112
                                        ; implicit-def: $vgpr112
	s_and_saveexec_b32 s46, vcc_lo
	s_xor_b32 s46, exec_lo, s46
	s_cbranch_execz .LBB4_6645
; %bb.6642:                             ;   in Loop: Header=BB4_6458 Depth=2
	v_bfe_u32 v112, v10, 26, 5
	s_mov_b32 s47, exec_lo
	s_delay_alu instid0(VALU_DEP_1)
	v_cmpx_eq_u32_e32 0, v112
; %bb.6643:                             ;   in Loop: Header=BB4_6458 Depth=2
	v_clz_i32_u32_e32 v112, v113
	s_delay_alu instid0(VALU_DEP_1) | instskip(NEXT) | instid1(VALU_DEP_1)
	v_min_u32_e32 v112, 32, v112
	v_subrev_nc_u32_e32 v113, 29, v112
	s_delay_alu instid0(VALU_DEP_1) | instskip(NEXT) | instid1(VALU_DEP_1)
	v_lshlrev_b64_e32 v[114:115], v113, v[24:25]
	v_dual_sub_nc_u32 v112, 30, v112 :: v_dual_bitop2_b32 v113, 3, v114 bitop3:0x40
; %bb.6644:                             ;   in Loop: Header=BB4_6458 Depth=2
	s_or_b32 exec_lo, exec_lo, s47
	v_and_b32_e32 v24, 0x80000000, v10
	s_delay_alu instid0(VALU_DEP_1) | instskip(NEXT) | instid1(VALU_DEP_1)
	v_lshl_add_u32 v24, v112, 23, v24
	v_lshl_or_b32 v24, v113, 21, v24
                                        ; implicit-def: $vgpr113
	s_delay_alu instid0(VALU_DEP_1)
	v_add_nc_u32_e32 v112, 0x38000000, v24
.LBB4_6645:                             ;   in Loop: Header=BB4_6458 Depth=2
	s_and_not1_saveexec_b32 s46, s46
; %bb.6646:                             ;   in Loop: Header=BB4_6458 Depth=2
	v_cmp_lt_i32_e32 vcc_lo, -1, v10
	v_cndmask_b32_e32 v24, 0xff800000, v109, vcc_lo
	v_cmp_eq_u32_e32 vcc_lo, 0, v113
	s_delay_alu instid0(VALU_DEP_2)
	v_cndmask_b32_e32 v112, 0x7f800001, v24, vcc_lo
; %bb.6647:                             ;   in Loop: Header=BB4_6458 Depth=2
	s_or_b32 exec_lo, exec_lo, s46
.LBB4_6648:                             ;   in Loop: Header=BB4_6458 Depth=2
	s_delay_alu instid0(SALU_CYCLE_1)
	s_or_b32 exec_lo, exec_lo, s14
.LBB4_6649:                             ;   in Loop: Header=BB4_6458 Depth=2
	s_delay_alu instid0(SALU_CYCLE_1) | instskip(SKIP_1) | instid1(VALU_DEP_1)
	s_or_b32 exec_lo, exec_lo, s45
	v_dual_cndmask_b32 v24, v52, v98, s13 :: v_dual_cndmask_b32 v25, v25, v99, s13
	v_lshl_add_u32 v24, v24, 23, v96
	s_delay_alu instid0(VALU_DEP_1) | instskip(SKIP_1) | instid1(VALU_DEP_2)
	v_lshl_or_b32 v24, v25, 21, v24
	v_max_num_f32_e32 v25, v112, v112
	v_cndmask_b32_e64 v24, v24, v97, s12
	s_delay_alu instid0(VALU_DEP_1) | instskip(NEXT) | instid1(VALU_DEP_1)
	v_cndmask_b32_e64 v24, v24, 0x80000000, s11
	v_cndmask_b32_e64 v24, v24, 0, s10
	s_delay_alu instid0(VALU_DEP_1) | instskip(NEXT) | instid1(VALU_DEP_1)
	v_max_num_f32_e32 v24, v24, v24
	v_min_num_f32_e32 v113, v25, v24
.LBB4_6650:                             ;   in Loop: Header=BB4_6458 Depth=2
	s_delay_alu instid0(VALU_DEP_1) | instskip(SKIP_2) | instid1(VALU_DEP_2)
	v_and_b32_e32 v24, 0x7f800000, v113
	v_mov_b32_e32 v25, v53
	v_and_b32_e32 v52, 0x7fffff, v113
                                        ; implicit-def: $vgpr112
	v_cmp_ne_u64_e32 vcc_lo, 0x7f800000, v[24:25]
	v_lshrrev_b32_e32 v24, 24, v113
	s_and_saveexec_b32 s10, vcc_lo
	s_delay_alu instid0(SALU_CYCLE_1)
	s_xor_b32 s11, exec_lo, s10
	s_cbranch_execz .LBB4_6664
; %bb.6651:                             ;   in Loop: Header=BB4_6458 Depth=2
	v_and_b32_e32 v96, 0x7fffffff, v113
	v_mov_b32_e32 v97, v53
	v_and_b32_e32 v98, 0x80, v24
                                        ; implicit-def: $vgpr112
	s_mov_b32 s10, exec_lo
	s_delay_alu instid0(VALU_DEP_2)
	v_cmpx_gt_u64_e32 0x47600001, v[96:97]
	s_xor_b32 s12, exec_lo, s10
	s_cbranch_execz .LBB4_6661
; %bb.6652:                             ;   in Loop: Header=BB4_6458 Depth=2
	v_mov_b32_e32 v112, 0
	s_mov_b32 s13, exec_lo
	v_cmpx_ne_u32_e32 0, v113
	s_cbranch_execz .LBB4_6660
; %bb.6653:                             ;   in Loop: Header=BB4_6458 Depth=2
	v_bfe_u32 v99, v113, 23, 8
	v_or_b32_e32 v96, 0x800000, v52
	s_delay_alu instid0(VALU_DEP_2) | instskip(SKIP_1) | instid1(VALU_DEP_2)
	v_sub_nc_u32_e32 v24, 0x71, v99
	v_cmp_gt_u32_e32 vcc_lo, 0x72, v99
	v_cndmask_b32_e32 v24, 0, v24, vcc_lo
	v_cmp_eq_u32_e32 vcc_lo, 0, v99
	s_delay_alu instid0(VALU_DEP_2) | instskip(SKIP_1) | instid1(VALU_DEP_2)
	v_cndmask_b32_e64 v112, v24, 0x70, vcc_lo
	v_cndmask_b32_e32 v52, v96, v52, vcc_lo
	v_dual_add_nc_u32 v24, 21, v112 :: v_dual_add_nc_u32 v97, 20, v112
	s_delay_alu instid0(VALU_DEP_1) | instskip(NEXT) | instid1(VALU_DEP_2)
	v_lshlrev_b64_e64 v[24:25], v24, -1
	v_lshlrev_b64_e64 v[96:97], v97, 1
	s_delay_alu instid0(VALU_DEP_2) | instskip(NEXT) | instid1(VALU_DEP_3)
	v_bfi_b32 v115, v25, 0, 0
	v_bfi_b32 v114, v24, 0, v52
	v_lshrrev_b64 v[24:25], v112, v[52:53]
	s_delay_alu instid0(VALU_DEP_2) | instskip(NEXT) | instid1(VALU_DEP_2)
	v_cmp_eq_u64_e64 s10, v[114:115], v[96:97]
	v_mov_b64_e32 v[96:97], v[24:25]
	s_and_saveexec_b32 s14, s10
; %bb.6654:                             ;   in Loop: Header=BB4_6458 Depth=2
	v_bfe_u32 v52, v24, 21, 1
	s_delay_alu instid0(VALU_DEP_1) | instskip(NEXT) | instid1(VALU_DEP_1)
	v_add_nc_u64_e32 v[96:97], v[24:25], v[52:53]
	v_add_nc_u64_e32 v[96:97], -1, v[96:97]
; %bb.6655:                             ;   in Loop: Header=BB4_6458 Depth=2
	s_or_b32 exec_lo, exec_lo, s14
	v_add_nc_u32_e32 v25, 0xffffff81, v99
	v_lshrrev_b32_e32 v52, 23, v24
	s_mov_b32 s10, exec_lo
	s_delay_alu instid0(VALU_DEP_2) | instskip(NEXT) | instid1(VALU_DEP_1)
	v_cndmask_b32_e64 v25, v25, 0xffffff82, vcc_lo
	v_add3_u32 v97, v112, v25, v52
	v_and_b32_e32 v25, 0x1fffff, v96
                                        ; implicit-def: $vgpr96
	s_delay_alu instid0(VALU_DEP_1) | instskip(NEXT) | instid1(VALU_DEP_1)
	v_dual_add_nc_u32 v99, 14, v97 :: v_dual_add_nc_u32 v52, v25, v24
                                        ; implicit-def: $vgpr24_vgpr25
	v_cmpx_ne_u32_e32 0, v99
	s_xor_b32 s10, exec_lo, s10
; %bb.6656:                             ;   in Loop: Header=BB4_6458 Depth=2
	s_delay_alu instid0(VALU_DEP_2) | instskip(SKIP_1) | instid1(VALU_DEP_1)
	v_cmp_lt_u64_e32 vcc_lo, 0xffffff, v[52:53]
	v_add_nc_u32_e32 v24, 15, v97
	v_cndmask_b32_e32 v96, v99, v24, vcc_lo
	v_cndmask_b32_e64 v24, 0, 1, vcc_lo
	s_delay_alu instid0(VALU_DEP_1)
	v_lshrrev_b64 v[24:25], v24, v[52:53]
; %bb.6657:                             ;   in Loop: Header=BB4_6458 Depth=2
	s_and_not1_saveexec_b32 s10, s10
; %bb.6658:                             ;   in Loop: Header=BB4_6458 Depth=2
	v_mov_b64_e32 v[24:25], v[52:53]
	v_bfe_u32 v96, v52, 23, 1
; %bb.6659:                             ;   in Loop: Header=BB4_6458 Depth=2
	s_or_b32 exec_lo, exec_lo, s10
	s_delay_alu instid0(VALU_DEP_2) | instskip(NEXT) | instid1(VALU_DEP_2)
	v_lshrrev_b64 v[24:25], 21, v[24:25]
	v_cmp_gt_i32_e32 vcc_lo, 32, v96
	v_min_i32_e32 v52, 31, v96
	v_cmp_eq_u32_e64 s10, 0, v96
	s_delay_alu instid0(VALU_DEP_2) | instskip(SKIP_1) | instid1(VALU_DEP_2)
	v_dual_cndmask_b32 v25, 0, v25 :: v_dual_lshlrev_b32 v52, 2, v52
	v_cndmask_b32_e32 v24, 3, v24, vcc_lo
	v_and_b32_e32 v52, 0xfc, v52
	s_delay_alu instid0(VALU_DEP_2) | instskip(NEXT) | instid1(VALU_DEP_2)
	v_cmp_eq_u64_e32 vcc_lo, 0, v[24:25]
	v_and_or_b32 v24, v24, 3, v52
	s_and_b32 s10, s10, vcc_lo
	s_delay_alu instid0(VALU_DEP_1) | instid1(SALU_CYCLE_1)
	v_cndmask_b32_e64 v24, v24, 0, s10
	s_delay_alu instid0(VALU_DEP_1)
	v_or_b32_e32 v112, v24, v98
.LBB4_6660:                             ;   in Loop: Header=BB4_6458 Depth=2
	s_or_b32 exec_lo, exec_lo, s13
                                        ; implicit-def: $vgpr98
.LBB4_6661:                             ;   in Loop: Header=BB4_6458 Depth=2
	s_and_not1_saveexec_b32 s10, s12
; %bb.6662:                             ;   in Loop: Header=BB4_6458 Depth=2
	v_or_b32_e32 v112, 0x7b, v98
; %bb.6663:                             ;   in Loop: Header=BB4_6458 Depth=2
	s_or_b32 exec_lo, exec_lo, s10
                                        ; implicit-def: $vgpr113
                                        ; implicit-def: $vgpr24
.LBB4_6664:                             ;   in Loop: Header=BB4_6458 Depth=2
	s_and_not1_saveexec_b32 s10, s11
	s_cbranch_execz .LBB4_6670
; %bb.6665:                             ;   in Loop: Header=BB4_6458 Depth=2
	s_mov_b32 s11, exec_lo
                                        ; implicit-def: $vgpr112
	v_cmpx_ne_u64_e32 0, v[52:53]
	s_xor_b32 s11, exec_lo, s11
; %bb.6666:                             ;   in Loop: Header=BB4_6458 Depth=2
	v_or_b32_e32 v112, 0x7f, v24
                                        ; implicit-def: $vgpr113
; %bb.6667:                             ;   in Loop: Header=BB4_6458 Depth=2
	s_and_not1_saveexec_b32 s11, s11
; %bb.6668:                             ;   in Loop: Header=BB4_6458 Depth=2
	v_cmp_lt_i32_e32 vcc_lo, -1, v113
	v_cndmask_b32_e32 v112, 0xfc, v110, vcc_lo
; %bb.6669:                             ;   in Loop: Header=BB4_6458 Depth=2
	s_or_b32 exec_lo, exec_lo, s11
.LBB4_6670:                             ;   in Loop: Header=BB4_6458 Depth=2
	s_delay_alu instid0(SALU_CYCLE_1) | instskip(SKIP_4) | instid1(VALU_DEP_4)
	s_or_b32 exec_lo, exec_lo, s10
	v_dual_mov_b32 v52, v15 :: v_dual_bitop2_b32 v96, 3, v15 bitop3:0x40
	v_bfe_i32 v115, v15, 0, 8
	v_bfe_u32 v97, v15, 2, 5
	v_and_b32_e32 v98, 0x7c, v15
	v_clz_i32_u32_e32 v24, v96
	v_lshlrev_b32_e32 v99, 24, v15
	v_cmp_lt_i16_e32 vcc_lo, -1, v115
	v_and_b32_e32 v116, 0xff, v11
	v_cmp_eq_u32_e64 s10, 0x7c, v98
	v_min_u32_e32 v113, 32, v24
	v_dual_mov_b32 v24, v11 :: v_dual_cndmask_b32 v117, 0xff800000, v109
	v_cmp_eq_u32_e32 vcc_lo, 0, v96
	v_mov_b32_e32 v25, v53
	s_delay_alu instid0(VALU_DEP_4)
	v_subrev_nc_u32_e32 v114, 29, v113
	v_cmp_eq_u32_e64 s11, 0, v97
	v_and_or_b32 v98, 0x80000000, v99, s27
	v_cmp_ne_u16_e64 s12, 0, v116
	v_cndmask_b32_e32 v99, 0x7f800001, v117, vcc_lo
	v_lshlrev_b64_e32 v[118:119], v114, v[52:53]
	v_sub_nc_u32_e32 v113, 30, v113
	s_and_b32 vcc_lo, exec_lo, s44
	s_mov_b32 s13, -1
                                        ; implicit-def: $vgpr117
	s_delay_alu instid0(VALU_DEP_2)
	v_and_b32_e32 v114, 3, v118
	s_cbranch_vccz .LBB4_6688
; %bb.6671:                             ;   in Loop: Header=BB4_6458 Depth=2
	v_mov_b32_e32 v117, 0
	s_and_saveexec_b32 s13, s12
	s_cbranch_execz .LBB4_6681
; %bb.6672:                             ;   in Loop: Header=BB4_6458 Depth=2
	v_bfrev_b32_e32 v117, 1
	s_mov_b32 s14, exec_lo
	v_cmpx_ne_u16_e32 0x80, v116
	s_cbranch_execz .LBB4_6680
; %bb.6673:                             ;   in Loop: Header=BB4_6458 Depth=2
	v_and_b32_e32 v117, 0x7c, v11
	v_and_b32_e32 v118, 3, v11
	s_delay_alu instid0(VALU_DEP_2) | instskip(SKIP_1) | instid1(SALU_CYCLE_1)
	v_cmp_ne_u32_e32 vcc_lo, 0x7c, v117
                                        ; implicit-def: $vgpr117
	s_and_saveexec_b32 s45, vcc_lo
	s_xor_b32 s45, exec_lo, s45
	s_cbranch_execz .LBB4_6677
; %bb.6674:                             ;   in Loop: Header=BB4_6458 Depth=2
	v_bfe_u32 v117, v11, 2, 5
	s_mov_b32 s46, exec_lo
	s_delay_alu instid0(VALU_DEP_1)
	v_cmpx_eq_u32_e32 0, v117
; %bb.6675:                             ;   in Loop: Header=BB4_6458 Depth=2
	v_clz_i32_u32_e32 v117, v118
	s_delay_alu instid0(VALU_DEP_1) | instskip(NEXT) | instid1(VALU_DEP_1)
	v_min_u32_e32 v117, 32, v117
	v_subrev_nc_u32_e32 v118, 29, v117
	s_delay_alu instid0(VALU_DEP_1) | instskip(NEXT) | instid1(VALU_DEP_1)
	v_lshlrev_b64_e32 v[118:119], v118, v[24:25]
	v_dual_sub_nc_u32 v117, 30, v117 :: v_dual_bitop2_b32 v118, 3, v118 bitop3:0x40
; %bb.6676:                             ;   in Loop: Header=BB4_6458 Depth=2
	s_or_b32 exec_lo, exec_lo, s46
	v_lshlrev_b32_e32 v119, 24, v11
	s_delay_alu instid0(VALU_DEP_1) | instskip(NEXT) | instid1(VALU_DEP_1)
	v_and_b32_e32 v119, 0x80000000, v119
	v_lshl_add_u32 v117, v117, 23, v119
	s_delay_alu instid0(VALU_DEP_1) | instskip(NEXT) | instid1(VALU_DEP_1)
	v_lshl_or_b32 v117, v118, 21, v117
                                        ; implicit-def: $vgpr118
	v_add_nc_u32_e32 v117, 0x38000000, v117
.LBB4_6677:                             ;   in Loop: Header=BB4_6458 Depth=2
	s_and_not1_saveexec_b32 s45, s45
; %bb.6678:                             ;   in Loop: Header=BB4_6458 Depth=2
	v_bfe_i32 v117, v11, 0, 8
	s_delay_alu instid0(VALU_DEP_1) | instskip(SKIP_2) | instid1(VALU_DEP_2)
	v_cmp_lt_i16_e32 vcc_lo, -1, v117
	v_cndmask_b32_e32 v117, 0xff800000, v109, vcc_lo
	v_cmp_eq_u32_e32 vcc_lo, 0, v118
	v_cndmask_b32_e32 v117, 0x7f800001, v117, vcc_lo
; %bb.6679:                             ;   in Loop: Header=BB4_6458 Depth=2
	s_or_b32 exec_lo, exec_lo, s45
.LBB4_6680:                             ;   in Loop: Header=BB4_6458 Depth=2
	s_delay_alu instid0(SALU_CYCLE_1)
	s_or_b32 exec_lo, exec_lo, s14
.LBB4_6681:                             ;   in Loop: Header=BB4_6458 Depth=2
	s_delay_alu instid0(SALU_CYCLE_1) | instskip(SKIP_3) | instid1(VALU_DEP_1)
	s_or_b32 exec_lo, exec_lo, s13
	v_and_b32_e32 v119, 0xff, v115
	s_mov_b32 s13, 0
	s_mov_b32 s14, exec_lo
	v_cmpx_lt_i16_e32 0x7f, v119
	s_xor_b32 s14, exec_lo, s14
	s_cbranch_execz .LBB4_7317
; %bb.6682:                             ;   in Loop: Header=BB4_6458 Depth=2
	s_mov_b32 s13, -1
	s_mov_b32 s45, exec_lo
	v_cmpx_eq_u16_e32 0x80, v119
; %bb.6683:                             ;   in Loop: Header=BB4_6458 Depth=2
	s_xor_b32 s13, exec_lo, -1
; %bb.6684:                             ;   in Loop: Header=BB4_6458 Depth=2
	s_or_b32 exec_lo, exec_lo, s45
	s_delay_alu instid0(SALU_CYCLE_1)
	s_and_b32 s13, s13, exec_lo
                                        ; implicit-def: $vgpr119
	s_or_saveexec_b32 s14, s14
	v_bfrev_b32_e32 v118, 1
	s_xor_b32 exec_lo, exec_lo, s14
	s_cbranch_execnz .LBB4_7318
.LBB4_6685:                             ;   in Loop: Header=BB4_6458 Depth=2
	s_or_b32 exec_lo, exec_lo, s14
	s_and_saveexec_b32 s14, s13
.LBB4_6686:                             ;   in Loop: Header=BB4_6458 Depth=2
	v_dual_cndmask_b32 v118, v97, v113, s11 :: v_dual_cndmask_b32 v119, v96, v114, s11
	s_delay_alu instid0(VALU_DEP_1) | instskip(NEXT) | instid1(VALU_DEP_1)
	v_lshl_add_u32 v118, v118, 23, v98
	v_lshl_or_b32 v118, v119, 21, v118
	s_delay_alu instid0(VALU_DEP_1)
	v_cndmask_b32_e64 v118, v118, v99, s10
.LBB4_6687:                             ;   in Loop: Header=BB4_6458 Depth=2
	s_or_b32 exec_lo, exec_lo, s14
	s_delay_alu instid0(VALU_DEP_1) | instskip(SKIP_1) | instid1(VALU_DEP_1)
	v_dual_max_num_f32 v118, v118, v118 :: v_dual_max_num_f32 v117, v117, v117
	s_mov_b32 s13, 0
	v_max_num_f32_e32 v117, v117, v118
.LBB4_6688:                             ;   in Loop: Header=BB4_6458 Depth=2
	s_and_b32 vcc_lo, exec_lo, s13
	s_cbranch_vccz .LBB4_6706
; %bb.6689:                             ;   in Loop: Header=BB4_6458 Depth=2
	v_mov_b32_e32 v117, 0
	s_and_saveexec_b32 s13, s12
	s_cbranch_execz .LBB4_6699
; %bb.6690:                             ;   in Loop: Header=BB4_6458 Depth=2
	v_bfrev_b32_e32 v117, 1
	s_mov_b32 s12, exec_lo
	v_cmpx_ne_u16_e32 0x80, v116
	s_cbranch_execz .LBB4_6698
; %bb.6691:                             ;   in Loop: Header=BB4_6458 Depth=2
	v_and_b32_e32 v117, 0x7c, v11
	v_and_b32_e32 v116, 3, v11
	s_delay_alu instid0(VALU_DEP_2) | instskip(SKIP_1) | instid1(SALU_CYCLE_1)
	v_cmp_ne_u32_e32 vcc_lo, 0x7c, v117
                                        ; implicit-def: $vgpr117
	s_and_saveexec_b32 s14, vcc_lo
	s_xor_b32 s14, exec_lo, s14
	s_cbranch_execz .LBB4_6695
; %bb.6692:                             ;   in Loop: Header=BB4_6458 Depth=2
	v_bfe_u32 v117, v11, 2, 5
	s_mov_b32 s45, exec_lo
	s_delay_alu instid0(VALU_DEP_1)
	v_cmpx_eq_u32_e32 0, v117
; %bb.6693:                             ;   in Loop: Header=BB4_6458 Depth=2
	v_clz_i32_u32_e32 v116, v116
	s_delay_alu instid0(VALU_DEP_1) | instskip(NEXT) | instid1(VALU_DEP_1)
	v_min_u32_e32 v118, 32, v116
	v_subrev_nc_u32_e32 v116, 29, v118
	s_delay_alu instid0(VALU_DEP_1) | instskip(NEXT) | instid1(VALU_DEP_1)
	v_lshlrev_b64_e32 v[116:117], v116, v[24:25]
	v_dual_sub_nc_u32 v117, 30, v118 :: v_dual_bitop2_b32 v116, 3, v116 bitop3:0x40
; %bb.6694:                             ;   in Loop: Header=BB4_6458 Depth=2
	s_or_b32 exec_lo, exec_lo, s45
	v_lshlrev_b32_e32 v25, 24, v11
	s_delay_alu instid0(VALU_DEP_1) | instskip(NEXT) | instid1(VALU_DEP_1)
	v_and_b32_e32 v25, 0x80000000, v25
	v_lshl_add_u32 v25, v117, 23, v25
	s_delay_alu instid0(VALU_DEP_1) | instskip(NEXT) | instid1(VALU_DEP_1)
	v_lshl_or_b32 v25, v116, 21, v25
                                        ; implicit-def: $vgpr116
	v_add_nc_u32_e32 v117, 0x38000000, v25
.LBB4_6695:                             ;   in Loop: Header=BB4_6458 Depth=2
	s_and_not1_saveexec_b32 s14, s14
; %bb.6696:                             ;   in Loop: Header=BB4_6458 Depth=2
	v_bfe_i32 v25, v11, 0, 8
	s_delay_alu instid0(VALU_DEP_1) | instskip(SKIP_2) | instid1(VALU_DEP_2)
	v_cmp_lt_i16_e32 vcc_lo, -1, v25
	v_cndmask_b32_e32 v25, 0xff800000, v109, vcc_lo
	v_cmp_eq_u32_e32 vcc_lo, 0, v116
	v_cndmask_b32_e32 v117, 0x7f800001, v25, vcc_lo
; %bb.6697:                             ;   in Loop: Header=BB4_6458 Depth=2
	s_or_b32 exec_lo, exec_lo, s14
.LBB4_6698:                             ;   in Loop: Header=BB4_6458 Depth=2
	s_delay_alu instid0(SALU_CYCLE_1)
	s_or_b32 exec_lo, exec_lo, s12
.LBB4_6699:                             ;   in Loop: Header=BB4_6458 Depth=2
	s_delay_alu instid0(SALU_CYCLE_1) | instskip(SKIP_3) | instid1(VALU_DEP_1)
	s_or_b32 exec_lo, exec_lo, s13
	v_and_b32_e32 v115, 0xff, v115
	s_mov_b32 s12, 0
	s_mov_b32 s13, exec_lo
	v_cmpx_lt_i16_e32 0x7f, v115
	s_xor_b32 s13, exec_lo, s13
	s_cbranch_execz .LBB4_7319
; %bb.6700:                             ;   in Loop: Header=BB4_6458 Depth=2
	s_mov_b32 s12, -1
	s_mov_b32 s14, exec_lo
	v_cmpx_eq_u16_e32 0x80, v115
; %bb.6701:                             ;   in Loop: Header=BB4_6458 Depth=2
	s_xor_b32 s12, exec_lo, -1
; %bb.6702:                             ;   in Loop: Header=BB4_6458 Depth=2
	s_or_b32 exec_lo, exec_lo, s14
	s_delay_alu instid0(SALU_CYCLE_1)
	s_and_b32 s12, s12, exec_lo
                                        ; implicit-def: $vgpr115
	s_or_saveexec_b32 s13, s13
	v_bfrev_b32_e32 v25, 1
	s_xor_b32 exec_lo, exec_lo, s13
	s_cbranch_execnz .LBB4_7320
.LBB4_6703:                             ;   in Loop: Header=BB4_6458 Depth=2
	s_or_b32 exec_lo, exec_lo, s13
	s_and_saveexec_b32 s13, s12
.LBB4_6704:                             ;   in Loop: Header=BB4_6458 Depth=2
	v_dual_cndmask_b32 v25, v97, v113, s11 :: v_dual_cndmask_b32 v96, v96, v114, s11
	s_delay_alu instid0(VALU_DEP_1) | instskip(NEXT) | instid1(VALU_DEP_1)
	v_lshl_add_u32 v25, v25, 23, v98
	v_lshl_or_b32 v25, v96, 21, v25
	s_delay_alu instid0(VALU_DEP_1)
	v_cndmask_b32_e64 v25, v25, v99, s10
.LBB4_6705:                             ;   in Loop: Header=BB4_6458 Depth=2
	s_or_b32 exec_lo, exec_lo, s13
	s_delay_alu instid0(VALU_DEP_1) | instskip(SKIP_1) | instid1(VALU_DEP_1)
	v_max_num_f32_e32 v25, v25, v25
	v_max_num_f32_e32 v96, v117, v117
	v_min_num_f32_e32 v117, v96, v25
.LBB4_6706:                             ;   in Loop: Header=BB4_6458 Depth=2
	s_delay_alu instid0(VALU_DEP_1) | instskip(SKIP_4) | instid1(VALU_DEP_3)
	v_and_b32_e32 v98, 0x7f800000, v117
	v_dual_mov_b32 v99, v53 :: v_dual_mov_b32 v97, v53
	v_and_b32_e32 v96, 0x7fffff, v117
	v_lshrrev_b32_e32 v25, 24, v117
                                        ; implicit-def: $vgpr113
	s_mov_b32 s10, exec_lo
	v_cmpx_ne_u64_e32 0x7f800000, v[98:99]
	s_xor_b32 s11, exec_lo, s10
	s_cbranch_execz .LBB4_6720
; %bb.6707:                             ;   in Loop: Header=BB4_6458 Depth=2
	v_and_b32_e32 v98, 0x7fffffff, v117
	v_mov_b32_e32 v99, v53
	v_and_b32_e32 v25, 0x80, v25
                                        ; implicit-def: $vgpr113
	s_mov_b32 s10, exec_lo
	s_delay_alu instid0(VALU_DEP_2)
	v_cmpx_gt_u64_e32 0x47600001, v[98:99]
	s_xor_b32 s12, exec_lo, s10
	s_cbranch_execz .LBB4_6717
; %bb.6708:                             ;   in Loop: Header=BB4_6458 Depth=2
	v_mov_b32_e32 v113, 0
	s_mov_b32 s13, exec_lo
	v_cmpx_ne_u32_e32 0, v117
	s_cbranch_execz .LBB4_6716
; %bb.6709:                             ;   in Loop: Header=BB4_6458 Depth=2
	v_bfe_u32 v113, v117, 23, 8
	v_or_b32_e32 v115, 0x800000, v96
	s_delay_alu instid0(VALU_DEP_2) | instskip(SKIP_1) | instid1(VALU_DEP_2)
	v_sub_nc_u32_e32 v98, 0x71, v113
	v_cmp_gt_u32_e32 vcc_lo, 0x72, v113
	v_cndmask_b32_e32 v98, 0, v98, vcc_lo
	v_cmp_eq_u32_e32 vcc_lo, 0, v113
	v_cndmask_b32_e32 v96, v115, v96, vcc_lo
	s_delay_alu instid0(VALU_DEP_3) | instskip(NEXT) | instid1(VALU_DEP_1)
	v_cndmask_b32_e64 v114, v98, 0x70, vcc_lo
	v_dual_add_nc_u32 v98, 21, v114 :: v_dual_add_nc_u32 v116, 20, v114
	s_delay_alu instid0(VALU_DEP_1) | instskip(NEXT) | instid1(VALU_DEP_2)
	v_lshlrev_b64_e64 v[98:99], v98, -1
	v_lshlrev_b64_e64 v[116:117], v116, 1
	s_delay_alu instid0(VALU_DEP_2) | instskip(SKIP_1) | instid1(VALU_DEP_4)
	v_bfi_b32 v98, v98, 0, v96
	v_lshrrev_b64 v[96:97], v114, v[96:97]
	v_bfi_b32 v99, v99, 0, 0
	s_delay_alu instid0(VALU_DEP_1) | instskip(NEXT) | instid1(VALU_DEP_3)
	v_cmp_eq_u64_e64 s10, v[98:99], v[116:117]
	v_mov_b64_e32 v[98:99], v[96:97]
	s_and_saveexec_b32 s14, s10
; %bb.6710:                             ;   in Loop: Header=BB4_6458 Depth=2
	v_bfe_u32 v98, v96, 21, 1
	v_mov_b32_e32 v99, v53
	s_delay_alu instid0(VALU_DEP_1) | instskip(NEXT) | instid1(VALU_DEP_1)
	v_add_nc_u64_e32 v[98:99], v[96:97], v[98:99]
	v_add_nc_u64_e32 v[98:99], -1, v[98:99]
; %bb.6711:                             ;   in Loop: Header=BB4_6458 Depth=2
	s_or_b32 exec_lo, exec_lo, s14
	v_add_nc_u32_e32 v97, 0xffffff81, v113
	v_lshrrev_b32_e32 v99, 23, v96
	s_mov_b32 s10, exec_lo
	s_delay_alu instid0(VALU_DEP_2) | instskip(NEXT) | instid1(VALU_DEP_1)
	v_cndmask_b32_e64 v97, v97, 0xffffff82, vcc_lo
	v_add3_u32 v99, v114, v97, v99
	v_and_b32_e32 v97, 0x1fffff, v98
                                        ; implicit-def: $vgpr98
	s_delay_alu instid0(VALU_DEP_1) | instskip(SKIP_1) | instid1(VALU_DEP_2)
	v_dual_add_nc_u32 v113, 14, v99 :: v_dual_add_nc_u32 v96, v97, v96
	v_mov_b32_e32 v97, v53
	v_cmpx_ne_u32_e32 0, v113
	s_xor_b32 s10, exec_lo, s10
; %bb.6712:                             ;   in Loop: Header=BB4_6458 Depth=2
	s_delay_alu instid0(VALU_DEP_2) | instskip(SKIP_2) | instid1(VALU_DEP_2)
	v_cmp_lt_u64_e32 vcc_lo, 0xffffff, v[96:97]
	v_add_nc_u32_e32 v98, 15, v99
	v_cndmask_b32_e64 v99, 0, 1, vcc_lo
	v_cndmask_b32_e32 v98, v113, v98, vcc_lo
	s_delay_alu instid0(VALU_DEP_2)
	v_lshrrev_b64 v[96:97], v99, v[96:97]
; %bb.6713:                             ;   in Loop: Header=BB4_6458 Depth=2
	s_and_not1_saveexec_b32 s10, s10
; %bb.6714:                             ;   in Loop: Header=BB4_6458 Depth=2
	s_delay_alu instid0(VALU_DEP_1)
	v_bfe_u32 v98, v96, 23, 1
; %bb.6715:                             ;   in Loop: Header=BB4_6458 Depth=2
	s_or_b32 exec_lo, exec_lo, s10
	s_delay_alu instid0(VALU_DEP_2) | instskip(NEXT) | instid1(VALU_DEP_2)
	v_lshrrev_b64 v[96:97], 21, v[96:97]
	v_cmp_gt_i32_e32 vcc_lo, 32, v98
	v_min_i32_e32 v99, 31, v98
	v_cmp_eq_u32_e64 s10, 0, v98
	s_delay_alu instid0(VALU_DEP_2) | instskip(SKIP_1) | instid1(VALU_DEP_2)
	v_dual_cndmask_b32 v97, 0, v97, vcc_lo :: v_dual_lshlrev_b32 v99, 2, v99
	v_cndmask_b32_e32 v96, 3, v96, vcc_lo
	v_and_b32_e32 v99, 0xfc, v99
	s_delay_alu instid0(VALU_DEP_2) | instskip(NEXT) | instid1(VALU_DEP_2)
	v_cmp_eq_u64_e32 vcc_lo, 0, v[96:97]
	v_and_or_b32 v96, v96, 3, v99
	s_and_b32 s10, s10, vcc_lo
	s_delay_alu instid0(VALU_DEP_1) | instid1(SALU_CYCLE_1)
	v_cndmask_b32_e64 v96, v96, 0, s10
	s_delay_alu instid0(VALU_DEP_1)
	v_or_b32_e32 v113, v96, v25
.LBB4_6716:                             ;   in Loop: Header=BB4_6458 Depth=2
	s_or_b32 exec_lo, exec_lo, s13
                                        ; implicit-def: $vgpr25
.LBB4_6717:                             ;   in Loop: Header=BB4_6458 Depth=2
	s_and_not1_saveexec_b32 s10, s12
; %bb.6718:                             ;   in Loop: Header=BB4_6458 Depth=2
	v_or_b32_e32 v113, 0x7b, v25
; %bb.6719:                             ;   in Loop: Header=BB4_6458 Depth=2
	s_or_b32 exec_lo, exec_lo, s10
                                        ; implicit-def: $vgpr117
                                        ; implicit-def: $vgpr96_vgpr97
                                        ; implicit-def: $vgpr25
.LBB4_6720:                             ;   in Loop: Header=BB4_6458 Depth=2
	s_and_not1_saveexec_b32 s10, s11
	s_cbranch_execz .LBB4_6726
; %bb.6721:                             ;   in Loop: Header=BB4_6458 Depth=2
	s_mov_b32 s11, exec_lo
                                        ; implicit-def: $vgpr113
	v_cmpx_ne_u64_e32 0, v[96:97]
	s_xor_b32 s11, exec_lo, s11
; %bb.6722:                             ;   in Loop: Header=BB4_6458 Depth=2
	v_or_b32_e32 v113, 0x7f, v25
                                        ; implicit-def: $vgpr117
; %bb.6723:                             ;   in Loop: Header=BB4_6458 Depth=2
	s_and_not1_saveexec_b32 s11, s11
; %bb.6724:                             ;   in Loop: Header=BB4_6458 Depth=2
	v_cmp_lt_i32_e32 vcc_lo, -1, v117
	v_cndmask_b32_e32 v113, 0xfc, v110, vcc_lo
; %bb.6725:                             ;   in Loop: Header=BB4_6458 Depth=2
	s_or_b32 exec_lo, exec_lo, s11
.LBB4_6726:                             ;   in Loop: Header=BB4_6458 Depth=2
	s_delay_alu instid0(SALU_CYCLE_1)
	s_or_b32 exec_lo, exec_lo, s10
	v_lshrrev_b16 v96, 8, v52
	v_cmp_lt_i16_e32 vcc_lo, -1, v52
	v_lshrrev_b16 v98, 8, v24
	s_mov_b32 s13, -1
	v_mov_b32_e32 v97, v53
	v_and_b32_e32 v99, 0xffff, v96
	v_lshlrev_b32_e32 v117, 24, v96
	v_cmp_ne_u16_e64 s12, 0, v98
	s_delay_alu instid0(VALU_DEP_3) | instskip(SKIP_2) | instid1(VALU_DEP_3)
	v_and_b32_e32 v114, 3, v99
	v_and_b32_e32 v40, 0x7c, v99
	v_bfe_u32 v52, v99, 2, 5
	v_clz_i32_u32_e32 v25, v114
	s_delay_alu instid0(VALU_DEP_3) | instskip(NEXT) | instid1(VALU_DEP_3)
	v_cmp_eq_u32_e64 s10, 0x7c, v40
	v_cmp_eq_u32_e64 s11, 0, v52
	s_delay_alu instid0(VALU_DEP_3) | instskip(SKIP_3) | instid1(VALU_DEP_4)
	v_min_u32_e32 v116, 32, v25
	v_cndmask_b32_e32 v115, 0xff800000, v109, vcc_lo
	v_cmp_eq_u32_e32 vcc_lo, 0, v114
	v_and_b32_e32 v25, 0xffff, v98
	v_subrev_nc_u32_e32 v118, 29, v116
	s_delay_alu instid0(VALU_DEP_4) | instskip(SKIP_1) | instid1(VALU_DEP_2)
	v_dual_cndmask_b32 v115, 0x7f800001, v115 :: v_dual_sub_nc_u32 v116, 30, v116
	s_and_b32 vcc_lo, exec_lo, s44
	v_lshlrev_b64_e32 v[118:119], v118, v[96:97]
	v_and_or_b32 v97, 0x80000000, v117, s27
	s_delay_alu instid0(VALU_DEP_2)
	v_and_b32_e32 v117, 3, v118
                                        ; implicit-def: $vgpr118
	s_cbranch_vccz .LBB4_6744
; %bb.6727:                             ;   in Loop: Header=BB4_6458 Depth=2
	v_mov_b32_e32 v99, 0
	s_and_saveexec_b32 s13, s12
	s_cbranch_execz .LBB4_6737
; %bb.6728:                             ;   in Loop: Header=BB4_6458 Depth=2
	v_bfrev_b32_e32 v99, 1
	s_mov_b32 s14, exec_lo
	v_cmpx_ne_u16_e32 0x80, v98
	s_cbranch_execz .LBB4_6736
; %bb.6729:                             ;   in Loop: Header=BB4_6458 Depth=2
	v_and_b32_e32 v99, 0x7c, v25
	v_and_b32_e32 v118, 3, v25
	s_delay_alu instid0(VALU_DEP_2) | instskip(SKIP_1) | instid1(SALU_CYCLE_1)
	v_cmp_ne_u32_e32 vcc_lo, 0x7c, v99
                                        ; implicit-def: $vgpr99
	s_and_saveexec_b32 s45, vcc_lo
	s_xor_b32 s45, exec_lo, s45
	s_cbranch_execz .LBB4_6733
; %bb.6730:                             ;   in Loop: Header=BB4_6458 Depth=2
	v_bfe_u32 v99, v25, 2, 5
	s_mov_b32 s46, exec_lo
	s_delay_alu instid0(VALU_DEP_1)
	v_cmpx_eq_u32_e32 0, v99
; %bb.6731:                             ;   in Loop: Header=BB4_6458 Depth=2
	v_clz_i32_u32_e32 v99, v118
	s_delay_alu instid0(VALU_DEP_1) | instskip(SKIP_1) | instid1(VALU_DEP_2)
	v_min_u32_e32 v40, 32, v99
	v_mov_b32_e32 v99, v53
	v_subrev_nc_u32_e32 v118, 29, v40
	s_delay_alu instid0(VALU_DEP_1) | instskip(NEXT) | instid1(VALU_DEP_1)
	v_lshlrev_b64_e32 v[118:119], v118, v[98:99]
	v_dual_sub_nc_u32 v99, 30, v40 :: v_dual_bitop2_b32 v118, 3, v118 bitop3:0x40
; %bb.6732:                             ;   in Loop: Header=BB4_6458 Depth=2
	s_or_b32 exec_lo, exec_lo, s46
	v_lshlrev_b32_e32 v119, 16, v24
	s_delay_alu instid0(VALU_DEP_1) | instskip(NEXT) | instid1(VALU_DEP_1)
	v_and_b32_e32 v119, 0x80000000, v119
	v_lshl_add_u32 v99, v99, 23, v119
	s_delay_alu instid0(VALU_DEP_1) | instskip(NEXT) | instid1(VALU_DEP_1)
	v_lshl_or_b32 v99, v118, 21, v99
                                        ; implicit-def: $vgpr118
	v_add_nc_u32_e32 v99, 0x38000000, v99
.LBB4_6733:                             ;   in Loop: Header=BB4_6458 Depth=2
	s_and_not1_saveexec_b32 s45, s45
; %bb.6734:                             ;   in Loop: Header=BB4_6458 Depth=2
	v_cmp_lt_i16_e32 vcc_lo, -1, v24
	v_cndmask_b32_e32 v99, 0xff800000, v109, vcc_lo
	v_cmp_eq_u32_e32 vcc_lo, 0, v118
	s_delay_alu instid0(VALU_DEP_2)
	v_cndmask_b32_e32 v99, 0x7f800001, v99, vcc_lo
; %bb.6735:                             ;   in Loop: Header=BB4_6458 Depth=2
	s_or_b32 exec_lo, exec_lo, s45
.LBB4_6736:                             ;   in Loop: Header=BB4_6458 Depth=2
	s_delay_alu instid0(SALU_CYCLE_1)
	s_or_b32 exec_lo, exec_lo, s14
.LBB4_6737:                             ;   in Loop: Header=BB4_6458 Depth=2
	s_delay_alu instid0(SALU_CYCLE_1)
	s_or_b32 exec_lo, exec_lo, s13
	s_mov_b32 s13, 0
	s_mov_b32 s14, exec_lo
	v_cmpx_lt_i16_e32 0x7f, v96
	s_xor_b32 s14, exec_lo, s14
	s_cbranch_execz .LBB4_7321
; %bb.6738:                             ;   in Loop: Header=BB4_6458 Depth=2
	s_mov_b32 s13, -1
	s_mov_b32 s45, exec_lo
	v_cmpx_eq_u16_e32 0x80, v96
; %bb.6739:                             ;   in Loop: Header=BB4_6458 Depth=2
	s_xor_b32 s13, exec_lo, -1
; %bb.6740:                             ;   in Loop: Header=BB4_6458 Depth=2
	s_or_b32 exec_lo, exec_lo, s45
	s_delay_alu instid0(SALU_CYCLE_1)
	s_and_b32 s13, s13, exec_lo
	s_or_saveexec_b32 s14, s14
	v_bfrev_b32_e32 v118, 1
	s_xor_b32 exec_lo, exec_lo, s14
	s_cbranch_execnz .LBB4_7322
.LBB4_6741:                             ;   in Loop: Header=BB4_6458 Depth=2
	s_or_b32 exec_lo, exec_lo, s14
	s_and_saveexec_b32 s14, s13
.LBB4_6742:                             ;   in Loop: Header=BB4_6458 Depth=2
	v_dual_cndmask_b32 v118, v52, v116, s11 :: v_dual_cndmask_b32 v119, v114, v117, s11
	s_delay_alu instid0(VALU_DEP_1) | instskip(NEXT) | instid1(VALU_DEP_1)
	v_lshl_add_u32 v118, v118, 23, v97
	v_lshl_or_b32 v118, v119, 21, v118
	s_delay_alu instid0(VALU_DEP_1)
	v_cndmask_b32_e64 v118, v118, v115, s10
.LBB4_6743:                             ;   in Loop: Header=BB4_6458 Depth=2
	s_or_b32 exec_lo, exec_lo, s14
	s_delay_alu instid0(VALU_DEP_1) | instskip(SKIP_1) | instid1(VALU_DEP_1)
	v_dual_max_num_f32 v118, v118, v118 :: v_dual_max_num_f32 v99, v99, v99
	s_mov_b32 s13, 0
	v_max_num_f32_e32 v118, v99, v118
.LBB4_6744:                             ;   in Loop: Header=BB4_6458 Depth=2
	s_and_b32 vcc_lo, exec_lo, s13
	s_cbranch_vccz .LBB4_6762
; %bb.6745:                             ;   in Loop: Header=BB4_6458 Depth=2
	v_mov_b32_e32 v99, 0
	s_and_saveexec_b32 s13, s12
	s_cbranch_execz .LBB4_6755
; %bb.6746:                             ;   in Loop: Header=BB4_6458 Depth=2
	v_bfrev_b32_e32 v99, 1
	s_mov_b32 s12, exec_lo
	v_cmpx_ne_u16_e32 0x80, v98
	s_cbranch_execz .LBB4_6754
; %bb.6747:                             ;   in Loop: Header=BB4_6458 Depth=2
	v_and_b32_e32 v99, 0x7c, v25
	v_and_b32_e32 v118, 3, v25
	s_delay_alu instid0(VALU_DEP_2) | instskip(SKIP_1) | instid1(SALU_CYCLE_1)
	v_cmp_ne_u32_e32 vcc_lo, 0x7c, v99
                                        ; implicit-def: $vgpr99
	s_and_saveexec_b32 s14, vcc_lo
	s_xor_b32 s14, exec_lo, s14
	s_cbranch_execz .LBB4_6751
; %bb.6748:                             ;   in Loop: Header=BB4_6458 Depth=2
	v_bfe_u32 v25, v25, 2, 5
	s_mov_b32 s45, exec_lo
	s_delay_alu instid0(VALU_DEP_1)
	v_cmpx_eq_u32_e32 0, v25
	s_cbranch_execz .LBB4_6750
; %bb.6749:                             ;   in Loop: Header=BB4_6458 Depth=2
	v_clz_i32_u32_e32 v25, v118
	s_delay_alu instid0(VALU_DEP_1) | instskip(SKIP_1) | instid1(VALU_DEP_2)
	v_min_u32_e32 v25, 32, v25
	v_mov_b32_e32 v99, v53
	v_subrev_nc_u32_e32 v118, 29, v25
	v_sub_nc_u32_e32 v25, 30, v25
	s_delay_alu instid0(VALU_DEP_2) | instskip(NEXT) | instid1(VALU_DEP_1)
	v_lshlrev_b64_e32 v[98:99], v118, v[98:99]
	v_and_b32_e32 v118, 3, v98
.LBB4_6750:                             ;   in Loop: Header=BB4_6458 Depth=2
	s_or_b32 exec_lo, exec_lo, s45
	v_lshlrev_b32_e32 v24, 16, v24
	s_delay_alu instid0(VALU_DEP_1) | instskip(NEXT) | instid1(VALU_DEP_1)
	v_and_b32_e32 v24, 0x80000000, v24
	v_lshl_add_u32 v24, v25, 23, v24
	s_delay_alu instid0(VALU_DEP_1) | instskip(NEXT) | instid1(VALU_DEP_1)
	v_lshl_or_b32 v24, v118, 21, v24
                                        ; implicit-def: $vgpr118
	v_add_nc_u32_e32 v99, 0x38000000, v24
                                        ; implicit-def: $vgpr24_vgpr25
.LBB4_6751:                             ;   in Loop: Header=BB4_6458 Depth=2
	s_and_not1_saveexec_b32 s14, s14
; %bb.6752:                             ;   in Loop: Header=BB4_6458 Depth=2
	v_cmp_lt_i16_e32 vcc_lo, -1, v24
	v_cndmask_b32_e32 v24, 0xff800000, v109, vcc_lo
	v_cmp_eq_u32_e32 vcc_lo, 0, v118
	s_delay_alu instid0(VALU_DEP_2)
	v_cndmask_b32_e32 v99, 0x7f800001, v24, vcc_lo
; %bb.6753:                             ;   in Loop: Header=BB4_6458 Depth=2
	s_or_b32 exec_lo, exec_lo, s14
.LBB4_6754:                             ;   in Loop: Header=BB4_6458 Depth=2
	s_delay_alu instid0(SALU_CYCLE_1)
	s_or_b32 exec_lo, exec_lo, s12
.LBB4_6755:                             ;   in Loop: Header=BB4_6458 Depth=2
	s_delay_alu instid0(SALU_CYCLE_1)
	s_or_b32 exec_lo, exec_lo, s13
	s_mov_b32 s12, 0
	s_mov_b32 s13, exec_lo
	v_cmpx_lt_i16_e32 0x7f, v96
	s_xor_b32 s13, exec_lo, s13
	s_cbranch_execz .LBB4_7323
; %bb.6756:                             ;   in Loop: Header=BB4_6458 Depth=2
	s_mov_b32 s12, -1
	s_mov_b32 s14, exec_lo
	v_cmpx_eq_u16_e32 0x80, v96
; %bb.6757:                             ;   in Loop: Header=BB4_6458 Depth=2
	s_xor_b32 s12, exec_lo, -1
; %bb.6758:                             ;   in Loop: Header=BB4_6458 Depth=2
	s_or_b32 exec_lo, exec_lo, s14
	s_delay_alu instid0(SALU_CYCLE_1)
	s_and_b32 s12, s12, exec_lo
                                        ; implicit-def: $vgpr96
	s_or_saveexec_b32 s13, s13
	v_bfrev_b32_e32 v24, 1
	s_xor_b32 exec_lo, exec_lo, s13
	s_cbranch_execnz .LBB4_7324
.LBB4_6759:                             ;   in Loop: Header=BB4_6458 Depth=2
	s_or_b32 exec_lo, exec_lo, s13
	s_and_saveexec_b32 s13, s12
.LBB4_6760:                             ;   in Loop: Header=BB4_6458 Depth=2
	v_dual_cndmask_b32 v24, v52, v116, s11 :: v_dual_cndmask_b32 v25, v114, v117, s11
	s_delay_alu instid0(VALU_DEP_1) | instskip(NEXT) | instid1(VALU_DEP_1)
	v_lshl_add_u32 v24, v24, 23, v97
	v_lshl_or_b32 v24, v25, 21, v24
	s_delay_alu instid0(VALU_DEP_1)
	v_cndmask_b32_e64 v24, v24, v115, s10
.LBB4_6761:                             ;   in Loop: Header=BB4_6458 Depth=2
	s_or_b32 exec_lo, exec_lo, s13
	s_delay_alu instid0(VALU_DEP_1) | instskip(NEXT) | instid1(VALU_DEP_1)
	v_dual_max_num_f32 v24, v24, v24 :: v_dual_max_num_f32 v25, v99, v99
	v_min_num_f32_e32 v118, v25, v24
.LBB4_6762:                             ;   in Loop: Header=BB4_6458 Depth=2
	s_delay_alu instid0(VALU_DEP_1) | instskip(SKIP_2) | instid1(VALU_DEP_2)
	v_and_b32_e32 v24, 0x7f800000, v118
	v_mov_b32_e32 v25, v53
	v_and_b32_e32 v52, 0x7fffff, v118
                                        ; implicit-def: $vgpr98
	v_cmp_ne_u64_e32 vcc_lo, 0x7f800000, v[24:25]
	v_lshrrev_b32_e32 v24, 24, v118
	s_and_saveexec_b32 s10, vcc_lo
	s_delay_alu instid0(SALU_CYCLE_1)
	s_xor_b32 s11, exec_lo, s10
	s_cbranch_execz .LBB4_6776
; %bb.6763:                             ;   in Loop: Header=BB4_6458 Depth=2
	v_and_b32_e32 v96, 0x7fffffff, v118
	v_mov_b32_e32 v97, v53
	v_and_b32_e32 v99, 0x80, v24
                                        ; implicit-def: $vgpr98
	s_mov_b32 s10, exec_lo
	s_delay_alu instid0(VALU_DEP_2)
	v_cmpx_gt_u64_e32 0x47600001, v[96:97]
	s_xor_b32 s12, exec_lo, s10
	s_cbranch_execz .LBB4_6773
; %bb.6764:                             ;   in Loop: Header=BB4_6458 Depth=2
	v_mov_b32_e32 v98, 0
	s_mov_b32 s13, exec_lo
	v_cmpx_ne_u32_e32 0, v118
	s_cbranch_execz .LBB4_6772
; %bb.6765:                             ;   in Loop: Header=BB4_6458 Depth=2
	v_bfe_u32 v98, v118, 23, 8
	v_or_b32_e32 v96, 0x800000, v52
	s_delay_alu instid0(VALU_DEP_2) | instskip(SKIP_1) | instid1(VALU_DEP_2)
	v_sub_nc_u32_e32 v24, 0x71, v98
	v_cmp_gt_u32_e32 vcc_lo, 0x72, v98
	v_cndmask_b32_e32 v24, 0, v24, vcc_lo
	v_cmp_eq_u32_e32 vcc_lo, 0, v98
	s_delay_alu instid0(VALU_DEP_2) | instskip(NEXT) | instid1(VALU_DEP_1)
	v_cndmask_b32_e64 v114, v24, 0x70, vcc_lo
	v_dual_cndmask_b32 v52, v96, v52, vcc_lo :: v_dual_add_nc_u32 v24, 21, v114
	v_add_nc_u32_e32 v97, 20, v114
	s_delay_alu instid0(VALU_DEP_2) | instskip(NEXT) | instid1(VALU_DEP_2)
	v_lshlrev_b64_e64 v[24:25], v24, -1
	v_lshlrev_b64_e64 v[96:97], v97, 1
	s_delay_alu instid0(VALU_DEP_2) | instskip(NEXT) | instid1(VALU_DEP_3)
	v_bfi_b32 v117, v25, 0, 0
	v_bfi_b32 v116, v24, 0, v52
	v_lshrrev_b64 v[24:25], v114, v[52:53]
	s_delay_alu instid0(VALU_DEP_2) | instskip(NEXT) | instid1(VALU_DEP_2)
	v_cmp_eq_u64_e64 s10, v[116:117], v[96:97]
	v_mov_b64_e32 v[96:97], v[24:25]
	s_and_saveexec_b32 s14, s10
; %bb.6766:                             ;   in Loop: Header=BB4_6458 Depth=2
	v_bfe_u32 v52, v24, 21, 1
	s_delay_alu instid0(VALU_DEP_1) | instskip(NEXT) | instid1(VALU_DEP_1)
	v_add_nc_u64_e32 v[96:97], v[24:25], v[52:53]
	v_add_nc_u64_e32 v[96:97], -1, v[96:97]
; %bb.6767:                             ;   in Loop: Header=BB4_6458 Depth=2
	s_or_b32 exec_lo, exec_lo, s14
	v_add_nc_u32_e32 v25, 0xffffff81, v98
	v_lshrrev_b32_e32 v52, 23, v24
	s_mov_b32 s10, exec_lo
	s_delay_alu instid0(VALU_DEP_2) | instskip(NEXT) | instid1(VALU_DEP_1)
	v_cndmask_b32_e64 v25, v25, 0xffffff82, vcc_lo
	v_add3_u32 v97, v114, v25, v52
	v_and_b32_e32 v25, 0x1fffff, v96
                                        ; implicit-def: $vgpr96
	s_delay_alu instid0(VALU_DEP_1) | instskip(NEXT) | instid1(VALU_DEP_1)
	v_dual_add_nc_u32 v98, 14, v97 :: v_dual_add_nc_u32 v52, v25, v24
                                        ; implicit-def: $vgpr24_vgpr25
	v_cmpx_ne_u32_e32 0, v98
	s_xor_b32 s10, exec_lo, s10
; %bb.6768:                             ;   in Loop: Header=BB4_6458 Depth=2
	s_delay_alu instid0(VALU_DEP_2) | instskip(SKIP_1) | instid1(VALU_DEP_1)
	v_cmp_lt_u64_e32 vcc_lo, 0xffffff, v[52:53]
	v_add_nc_u32_e32 v24, 15, v97
	v_cndmask_b32_e32 v96, v98, v24, vcc_lo
	v_cndmask_b32_e64 v24, 0, 1, vcc_lo
	s_delay_alu instid0(VALU_DEP_1)
	v_lshrrev_b64 v[24:25], v24, v[52:53]
; %bb.6769:                             ;   in Loop: Header=BB4_6458 Depth=2
	s_and_not1_saveexec_b32 s10, s10
; %bb.6770:                             ;   in Loop: Header=BB4_6458 Depth=2
	v_mov_b64_e32 v[24:25], v[52:53]
	v_bfe_u32 v96, v52, 23, 1
; %bb.6771:                             ;   in Loop: Header=BB4_6458 Depth=2
	s_or_b32 exec_lo, exec_lo, s10
	s_delay_alu instid0(VALU_DEP_2) | instskip(NEXT) | instid1(VALU_DEP_2)
	v_lshrrev_b64 v[24:25], 21, v[24:25]
	v_cmp_gt_i32_e32 vcc_lo, 32, v96
	v_min_i32_e32 v52, 31, v96
	v_cmp_eq_u32_e64 s10, 0, v96
	s_delay_alu instid0(VALU_DEP_2) | instskip(SKIP_1) | instid1(VALU_DEP_2)
	v_dual_cndmask_b32 v25, 0, v25 :: v_dual_lshlrev_b32 v52, 2, v52
	v_cndmask_b32_e32 v24, 3, v24, vcc_lo
	v_and_b32_e32 v52, 0xfc, v52
	s_delay_alu instid0(VALU_DEP_2) | instskip(NEXT) | instid1(VALU_DEP_2)
	v_cmp_eq_u64_e32 vcc_lo, 0, v[24:25]
	v_and_or_b32 v24, v24, 3, v52
	s_and_b32 s10, s10, vcc_lo
	s_delay_alu instid0(VALU_DEP_1) | instid1(SALU_CYCLE_1)
	v_cndmask_b32_e64 v24, v24, 0, s10
	s_delay_alu instid0(VALU_DEP_1)
	v_or_b32_e32 v98, v24, v99
.LBB4_6772:                             ;   in Loop: Header=BB4_6458 Depth=2
	s_or_b32 exec_lo, exec_lo, s13
                                        ; implicit-def: $vgpr99
.LBB4_6773:                             ;   in Loop: Header=BB4_6458 Depth=2
	s_and_not1_saveexec_b32 s10, s12
; %bb.6774:                             ;   in Loop: Header=BB4_6458 Depth=2
	v_or_b32_e32 v98, 0x7b, v99
; %bb.6775:                             ;   in Loop: Header=BB4_6458 Depth=2
	s_or_b32 exec_lo, exec_lo, s10
                                        ; implicit-def: $vgpr118
                                        ; implicit-def: $vgpr24
.LBB4_6776:                             ;   in Loop: Header=BB4_6458 Depth=2
	s_and_not1_saveexec_b32 s10, s11
	s_cbranch_execz .LBB4_6782
; %bb.6777:                             ;   in Loop: Header=BB4_6458 Depth=2
	s_mov_b32 s11, exec_lo
                                        ; implicit-def: $vgpr98
	v_cmpx_ne_u64_e32 0, v[52:53]
	s_xor_b32 s11, exec_lo, s11
; %bb.6778:                             ;   in Loop: Header=BB4_6458 Depth=2
	v_or_b32_e32 v98, 0x7f, v24
                                        ; implicit-def: $vgpr118
; %bb.6779:                             ;   in Loop: Header=BB4_6458 Depth=2
	s_and_not1_saveexec_b32 s11, s11
; %bb.6780:                             ;   in Loop: Header=BB4_6458 Depth=2
	v_cmp_lt_i32_e32 vcc_lo, -1, v118
	v_cndmask_b32_e32 v98, 0xfc, v110, vcc_lo
; %bb.6781:                             ;   in Loop: Header=BB4_6458 Depth=2
	s_or_b32 exec_lo, exec_lo, s11
.LBB4_6782:                             ;   in Loop: Header=BB4_6458 Depth=2
	s_delay_alu instid0(SALU_CYCLE_1) | instskip(SKIP_4) | instid1(VALU_DEP_3)
	s_or_b32 exec_lo, exec_lo, s10
	v_bfe_u32 v25, v15, 16, 2
	v_dual_lshrrev_b32 v96, 16, v15 :: v_dual_lshlrev_b32 v114, 8, v15
	v_and_b32_e32 v99, 0x7c0000, v15
	s_mov_b32 s13, -1
	v_clz_i32_u32_e32 v52, v25
	s_delay_alu instid0(VALU_DEP_3) | instskip(NEXT) | instid1(VALU_DEP_3)
	v_bfe_i32 v115, v96, 0, 8
	v_cmp_eq_u32_e64 s10, 0x7c0000, v99
	s_delay_alu instid0(VALU_DEP_3) | instskip(NEXT) | instid1(VALU_DEP_3)
	v_min_u32_e32 v97, 32, v52
	v_cmp_lt_i16_e32 vcc_lo, -1, v115
	v_lshrrev_b32_e32 v24, 16, v11
	v_bfe_u32 v52, v15, 18, 5
	s_delay_alu instid0(VALU_DEP_4) | instskip(NEXT) | instid1(VALU_DEP_2)
	v_subrev_nc_u32_e32 v117, 29, v97
	v_cmp_eq_u32_e64 s11, 0, v52
	s_delay_alu instid0(VALU_DEP_2)
	v_lshlrev_b64_e32 v[118:119], v117, v[96:97]
	v_cndmask_b32_e32 v117, 0xff800000, v109, vcc_lo
	v_and_b32_e32 v116, 0xff, v24
	v_cmp_eq_u32_e32 vcc_lo, 0, v25
	v_and_or_b32 v96, 0x80000000, v114, s27
	v_dual_sub_nc_u32 v99, 30, v97 :: v_dual_bitop2_b32 v114, 3, v118 bitop3:0x40
	s_delay_alu instid0(VALU_DEP_4)
	v_cmp_ne_u16_e64 s12, 0, v116
	v_cndmask_b32_e32 v97, 0x7f800001, v117, vcc_lo
	s_and_b32 vcc_lo, exec_lo, s44
                                        ; implicit-def: $vgpr117
	s_cbranch_vccz .LBB4_6800
; %bb.6783:                             ;   in Loop: Header=BB4_6458 Depth=2
	v_mov_b32_e32 v117, 0
	s_and_saveexec_b32 s13, s12
	s_cbranch_execz .LBB4_6793
; %bb.6784:                             ;   in Loop: Header=BB4_6458 Depth=2
	v_bfrev_b32_e32 v117, 1
	s_mov_b32 s14, exec_lo
	v_cmpx_ne_u16_e32 0x80, v116
	s_cbranch_execz .LBB4_6792
; %bb.6785:                             ;   in Loop: Header=BB4_6458 Depth=2
	v_and_b32_e32 v117, 0x7c0000, v11
	v_bfe_u32 v118, v11, 16, 2
	s_delay_alu instid0(VALU_DEP_2) | instskip(SKIP_1) | instid1(SALU_CYCLE_1)
	v_cmp_ne_u32_e32 vcc_lo, 0x7c0000, v117
                                        ; implicit-def: $vgpr117
	s_and_saveexec_b32 s45, vcc_lo
	s_xor_b32 s45, exec_lo, s45
	s_cbranch_execz .LBB4_6789
; %bb.6786:                             ;   in Loop: Header=BB4_6458 Depth=2
	v_bfe_u32 v117, v11, 18, 5
	s_mov_b32 s46, exec_lo
	s_delay_alu instid0(VALU_DEP_1)
	v_cmpx_eq_u32_e32 0, v117
; %bb.6787:                             ;   in Loop: Header=BB4_6458 Depth=2
	v_clz_i32_u32_e32 v117, v118
	s_delay_alu instid0(VALU_DEP_1) | instskip(NEXT) | instid1(VALU_DEP_1)
	v_min_u32_e32 v117, 32, v117
	v_subrev_nc_u32_e32 v118, 29, v117
	s_delay_alu instid0(VALU_DEP_1) | instskip(NEXT) | instid1(VALU_DEP_1)
	v_lshlrev_b64_e32 v[118:119], v118, v[24:25]
	v_dual_sub_nc_u32 v117, 30, v117 :: v_dual_bitop2_b32 v118, 3, v118 bitop3:0x40
; %bb.6788:                             ;   in Loop: Header=BB4_6458 Depth=2
	s_or_b32 exec_lo, exec_lo, s46
	v_lshlrev_b32_e32 v119, 24, v24
	s_delay_alu instid0(VALU_DEP_1) | instskip(NEXT) | instid1(VALU_DEP_1)
	v_and_b32_e32 v119, 0x80000000, v119
	v_lshl_add_u32 v117, v117, 23, v119
	s_delay_alu instid0(VALU_DEP_1) | instskip(NEXT) | instid1(VALU_DEP_1)
	v_lshl_or_b32 v117, v118, 21, v117
                                        ; implicit-def: $vgpr118
	v_add_nc_u32_e32 v117, 0x38000000, v117
.LBB4_6789:                             ;   in Loop: Header=BB4_6458 Depth=2
	s_and_not1_saveexec_b32 s45, s45
; %bb.6790:                             ;   in Loop: Header=BB4_6458 Depth=2
	v_bfe_i32 v117, v24, 0, 8
	s_delay_alu instid0(VALU_DEP_1) | instskip(SKIP_2) | instid1(VALU_DEP_2)
	v_cmp_lt_i16_e32 vcc_lo, -1, v117
	v_cndmask_b32_e32 v117, 0xff800000, v109, vcc_lo
	v_cmp_eq_u32_e32 vcc_lo, 0, v118
	v_cndmask_b32_e32 v117, 0x7f800001, v117, vcc_lo
; %bb.6791:                             ;   in Loop: Header=BB4_6458 Depth=2
	s_or_b32 exec_lo, exec_lo, s45
.LBB4_6792:                             ;   in Loop: Header=BB4_6458 Depth=2
	s_delay_alu instid0(SALU_CYCLE_1)
	s_or_b32 exec_lo, exec_lo, s14
.LBB4_6793:                             ;   in Loop: Header=BB4_6458 Depth=2
	s_delay_alu instid0(SALU_CYCLE_1) | instskip(SKIP_3) | instid1(VALU_DEP_1)
	s_or_b32 exec_lo, exec_lo, s13
	v_and_b32_e32 v119, 0xff, v115
	s_mov_b32 s13, 0
	s_mov_b32 s14, exec_lo
	v_cmpx_lt_i16_e32 0x7f, v119
	s_xor_b32 s14, exec_lo, s14
	s_cbranch_execz .LBB4_7325
; %bb.6794:                             ;   in Loop: Header=BB4_6458 Depth=2
	s_mov_b32 s13, -1
	s_mov_b32 s45, exec_lo
	v_cmpx_eq_u16_e32 0x80, v119
; %bb.6795:                             ;   in Loop: Header=BB4_6458 Depth=2
	s_xor_b32 s13, exec_lo, -1
; %bb.6796:                             ;   in Loop: Header=BB4_6458 Depth=2
	s_or_b32 exec_lo, exec_lo, s45
	s_delay_alu instid0(SALU_CYCLE_1)
	s_and_b32 s13, s13, exec_lo
                                        ; implicit-def: $vgpr119
	s_or_saveexec_b32 s14, s14
	v_bfrev_b32_e32 v118, 1
	s_xor_b32 exec_lo, exec_lo, s14
	s_cbranch_execnz .LBB4_7326
.LBB4_6797:                             ;   in Loop: Header=BB4_6458 Depth=2
	s_or_b32 exec_lo, exec_lo, s14
	s_and_saveexec_b32 s14, s13
.LBB4_6798:                             ;   in Loop: Header=BB4_6458 Depth=2
	v_dual_cndmask_b32 v118, v52, v99, s11 :: v_dual_cndmask_b32 v119, v25, v114, s11
	s_delay_alu instid0(VALU_DEP_1) | instskip(NEXT) | instid1(VALU_DEP_1)
	v_lshl_add_u32 v118, v118, 23, v96
	v_lshl_or_b32 v118, v119, 21, v118
	s_delay_alu instid0(VALU_DEP_1)
	v_cndmask_b32_e64 v118, v118, v97, s10
.LBB4_6799:                             ;   in Loop: Header=BB4_6458 Depth=2
	s_or_b32 exec_lo, exec_lo, s14
	s_delay_alu instid0(VALU_DEP_1) | instskip(SKIP_1) | instid1(VALU_DEP_1)
	v_dual_max_num_f32 v118, v118, v118 :: v_dual_max_num_f32 v117, v117, v117
	s_mov_b32 s13, 0
	v_max_num_f32_e32 v117, v117, v118
.LBB4_6800:                             ;   in Loop: Header=BB4_6458 Depth=2
	s_and_b32 vcc_lo, exec_lo, s13
	s_cbranch_vccz .LBB4_6818
; %bb.6801:                             ;   in Loop: Header=BB4_6458 Depth=2
	v_mov_b32_e32 v117, 0
	s_and_saveexec_b32 s13, s12
	s_cbranch_execz .LBB4_6811
; %bb.6802:                             ;   in Loop: Header=BB4_6458 Depth=2
	v_bfrev_b32_e32 v117, 1
	s_mov_b32 s12, exec_lo
	v_cmpx_ne_u16_e32 0x80, v116
	s_cbranch_execz .LBB4_6810
; %bb.6803:                             ;   in Loop: Header=BB4_6458 Depth=2
	v_and_b32_e32 v117, 0x7c0000, v11
	v_bfe_u32 v116, v11, 16, 2
	s_delay_alu instid0(VALU_DEP_2) | instskip(SKIP_1) | instid1(SALU_CYCLE_1)
	v_cmp_ne_u32_e32 vcc_lo, 0x7c0000, v117
                                        ; implicit-def: $vgpr117
	s_and_saveexec_b32 s14, vcc_lo
	s_xor_b32 s14, exec_lo, s14
	s_cbranch_execz .LBB4_6807
; %bb.6804:                             ;   in Loop: Header=BB4_6458 Depth=2
	v_bfe_u32 v117, v11, 18, 5
	s_mov_b32 s45, exec_lo
	s_delay_alu instid0(VALU_DEP_1)
	v_cmpx_eq_u32_e32 0, v117
; %bb.6805:                             ;   in Loop: Header=BB4_6458 Depth=2
	v_clz_i32_u32_e32 v116, v116
	s_delay_alu instid0(VALU_DEP_1) | instskip(NEXT) | instid1(VALU_DEP_1)
	v_min_u32_e32 v118, 32, v116
	v_subrev_nc_u32_e32 v116, 29, v118
	s_delay_alu instid0(VALU_DEP_1) | instskip(NEXT) | instid1(VALU_DEP_1)
	v_lshlrev_b64_e32 v[116:117], v116, v[24:25]
	v_dual_sub_nc_u32 v117, 30, v118 :: v_dual_bitop2_b32 v116, 3, v116 bitop3:0x40
; %bb.6806:                             ;   in Loop: Header=BB4_6458 Depth=2
	s_or_b32 exec_lo, exec_lo, s45
	v_lshlrev_b32_e32 v24, 24, v24
	s_delay_alu instid0(VALU_DEP_1) | instskip(NEXT) | instid1(VALU_DEP_1)
	v_and_b32_e32 v24, 0x80000000, v24
	v_lshl_add_u32 v24, v117, 23, v24
	s_delay_alu instid0(VALU_DEP_1) | instskip(NEXT) | instid1(VALU_DEP_1)
	v_lshl_or_b32 v24, v116, 21, v24
                                        ; implicit-def: $vgpr116
	v_add_nc_u32_e32 v117, 0x38000000, v24
                                        ; implicit-def: $vgpr24
.LBB4_6807:                             ;   in Loop: Header=BB4_6458 Depth=2
	s_and_not1_saveexec_b32 s14, s14
; %bb.6808:                             ;   in Loop: Header=BB4_6458 Depth=2
	v_bfe_i32 v24, v24, 0, 8
	s_delay_alu instid0(VALU_DEP_1) | instskip(SKIP_2) | instid1(VALU_DEP_2)
	v_cmp_lt_i16_e32 vcc_lo, -1, v24
	v_cndmask_b32_e32 v24, 0xff800000, v109, vcc_lo
	v_cmp_eq_u32_e32 vcc_lo, 0, v116
	v_cndmask_b32_e32 v117, 0x7f800001, v24, vcc_lo
; %bb.6809:                             ;   in Loop: Header=BB4_6458 Depth=2
	s_or_b32 exec_lo, exec_lo, s14
.LBB4_6810:                             ;   in Loop: Header=BB4_6458 Depth=2
	s_delay_alu instid0(SALU_CYCLE_1)
	s_or_b32 exec_lo, exec_lo, s12
.LBB4_6811:                             ;   in Loop: Header=BB4_6458 Depth=2
	s_delay_alu instid0(SALU_CYCLE_1) | instskip(SKIP_3) | instid1(VALU_DEP_1)
	s_or_b32 exec_lo, exec_lo, s13
	v_and_b32_e32 v115, 0xff, v115
	s_mov_b32 s12, 0
	s_mov_b32 s13, exec_lo
	v_cmpx_lt_i16_e32 0x7f, v115
	s_xor_b32 s13, exec_lo, s13
	s_cbranch_execz .LBB4_7327
; %bb.6812:                             ;   in Loop: Header=BB4_6458 Depth=2
	s_mov_b32 s12, -1
	s_mov_b32 s14, exec_lo
	v_cmpx_eq_u16_e32 0x80, v115
; %bb.6813:                             ;   in Loop: Header=BB4_6458 Depth=2
	s_xor_b32 s12, exec_lo, -1
; %bb.6814:                             ;   in Loop: Header=BB4_6458 Depth=2
	s_or_b32 exec_lo, exec_lo, s14
	s_delay_alu instid0(SALU_CYCLE_1)
	s_and_b32 s12, s12, exec_lo
                                        ; implicit-def: $vgpr115
	s_or_saveexec_b32 s13, s13
	v_bfrev_b32_e32 v24, 1
	s_xor_b32 exec_lo, exec_lo, s13
	s_cbranch_execnz .LBB4_7328
.LBB4_6815:                             ;   in Loop: Header=BB4_6458 Depth=2
	s_or_b32 exec_lo, exec_lo, s13
	s_and_saveexec_b32 s13, s12
.LBB4_6816:                             ;   in Loop: Header=BB4_6458 Depth=2
	v_dual_cndmask_b32 v24, v52, v99, s11 :: v_dual_cndmask_b32 v25, v25, v114, s11
	s_delay_alu instid0(VALU_DEP_1) | instskip(NEXT) | instid1(VALU_DEP_1)
	v_lshl_add_u32 v24, v24, 23, v96
	v_lshl_or_b32 v24, v25, 21, v24
	s_delay_alu instid0(VALU_DEP_1)
	v_cndmask_b32_e64 v24, v24, v97, s10
.LBB4_6817:                             ;   in Loop: Header=BB4_6458 Depth=2
	s_or_b32 exec_lo, exec_lo, s13
	s_delay_alu instid0(VALU_DEP_1) | instskip(NEXT) | instid1(VALU_DEP_1)
	v_dual_max_num_f32 v24, v24, v24 :: v_dual_max_num_f32 v25, v117, v117
	v_min_num_f32_e32 v117, v25, v24
.LBB4_6818:                             ;   in Loop: Header=BB4_6458 Depth=2
	s_delay_alu instid0(VALU_DEP_1) | instskip(SKIP_2) | instid1(VALU_DEP_2)
	v_and_b32_e32 v24, 0x7f800000, v117
	v_mov_b32_e32 v25, v53
	v_and_b32_e32 v52, 0x7fffff, v117
                                        ; implicit-def: $vgpr96
	v_cmp_ne_u64_e32 vcc_lo, 0x7f800000, v[24:25]
	v_lshrrev_b32_e32 v24, 24, v117
	s_and_saveexec_b32 s10, vcc_lo
	s_delay_alu instid0(SALU_CYCLE_1)
	s_xor_b32 s11, exec_lo, s10
	s_cbranch_execz .LBB4_6832
; %bb.6819:                             ;   in Loop: Header=BB4_6458 Depth=2
	v_and_b32_e32 v96, 0x7fffffff, v117
	v_mov_b32_e32 v97, v53
	v_and_b32_e32 v99, 0x80, v24
	s_delay_alu instid0(VALU_DEP_2) | instskip(SKIP_1) | instid1(SALU_CYCLE_1)
	v_cmp_gt_u64_e32 vcc_lo, 0x47600001, v[96:97]
                                        ; implicit-def: $vgpr96
	s_and_saveexec_b32 s10, vcc_lo
	s_xor_b32 s12, exec_lo, s10
	s_cbranch_execz .LBB4_6829
; %bb.6820:                             ;   in Loop: Header=BB4_6458 Depth=2
	v_mov_b32_e32 v96, 0
	s_mov_b32 s13, exec_lo
	v_cmpx_ne_u32_e32 0, v117
	s_cbranch_execz .LBB4_6828
; %bb.6821:                             ;   in Loop: Header=BB4_6458 Depth=2
	v_bfe_u32 v114, v117, 23, 8
	v_or_b32_e32 v96, 0x800000, v52
	s_delay_alu instid0(VALU_DEP_2) | instskip(SKIP_1) | instid1(VALU_DEP_2)
	v_sub_nc_u32_e32 v24, 0x71, v114
	v_cmp_gt_u32_e32 vcc_lo, 0x72, v114
	v_cndmask_b32_e32 v24, 0, v24, vcc_lo
	v_cmp_eq_u32_e32 vcc_lo, 0, v114
	s_delay_alu instid0(VALU_DEP_2) | instskip(NEXT) | instid1(VALU_DEP_1)
	v_cndmask_b32_e64 v115, v24, 0x70, vcc_lo
	v_dual_cndmask_b32 v52, v96, v52, vcc_lo :: v_dual_add_nc_u32 v24, 21, v115
	v_add_nc_u32_e32 v97, 20, v115
	s_delay_alu instid0(VALU_DEP_2) | instskip(NEXT) | instid1(VALU_DEP_2)
	v_lshlrev_b64_e64 v[24:25], v24, -1
	v_lshlrev_b64_e64 v[96:97], v97, 1
	s_delay_alu instid0(VALU_DEP_2) | instskip(NEXT) | instid1(VALU_DEP_3)
	v_bfi_b32 v117, v25, 0, 0
	v_bfi_b32 v116, v24, 0, v52
	v_lshrrev_b64 v[24:25], v115, v[52:53]
	s_delay_alu instid0(VALU_DEP_2) | instskip(NEXT) | instid1(VALU_DEP_2)
	v_cmp_eq_u64_e64 s10, v[116:117], v[96:97]
	v_mov_b64_e32 v[96:97], v[24:25]
	s_and_saveexec_b32 s14, s10
; %bb.6822:                             ;   in Loop: Header=BB4_6458 Depth=2
	v_bfe_u32 v52, v24, 21, 1
	s_delay_alu instid0(VALU_DEP_1) | instskip(NEXT) | instid1(VALU_DEP_1)
	v_add_nc_u64_e32 v[96:97], v[24:25], v[52:53]
	v_add_nc_u64_e32 v[96:97], -1, v[96:97]
; %bb.6823:                             ;   in Loop: Header=BB4_6458 Depth=2
	s_or_b32 exec_lo, exec_lo, s14
	v_add_nc_u32_e32 v25, 0xffffff81, v114
	v_lshrrev_b32_e32 v52, 23, v24
	s_mov_b32 s10, exec_lo
	s_delay_alu instid0(VALU_DEP_2) | instskip(NEXT) | instid1(VALU_DEP_1)
	v_cndmask_b32_e64 v25, v25, 0xffffff82, vcc_lo
	v_add3_u32 v97, v115, v25, v52
	v_and_b32_e32 v25, 0x1fffff, v96
                                        ; implicit-def: $vgpr96
	s_delay_alu instid0(VALU_DEP_1) | instskip(NEXT) | instid1(VALU_DEP_1)
	v_dual_add_nc_u32 v114, 14, v97 :: v_dual_add_nc_u32 v52, v25, v24
                                        ; implicit-def: $vgpr24_vgpr25
	v_cmpx_ne_u32_e32 0, v114
	s_xor_b32 s10, exec_lo, s10
; %bb.6824:                             ;   in Loop: Header=BB4_6458 Depth=2
	s_delay_alu instid0(VALU_DEP_2) | instskip(SKIP_1) | instid1(VALU_DEP_1)
	v_cmp_lt_u64_e32 vcc_lo, 0xffffff, v[52:53]
	v_add_nc_u32_e32 v24, 15, v97
	v_cndmask_b32_e32 v96, v114, v24, vcc_lo
	v_cndmask_b32_e64 v24, 0, 1, vcc_lo
	s_delay_alu instid0(VALU_DEP_1)
	v_lshrrev_b64 v[24:25], v24, v[52:53]
; %bb.6825:                             ;   in Loop: Header=BB4_6458 Depth=2
	s_and_not1_saveexec_b32 s10, s10
; %bb.6826:                             ;   in Loop: Header=BB4_6458 Depth=2
	v_mov_b64_e32 v[24:25], v[52:53]
	v_bfe_u32 v96, v52, 23, 1
; %bb.6827:                             ;   in Loop: Header=BB4_6458 Depth=2
	s_or_b32 exec_lo, exec_lo, s10
	s_delay_alu instid0(VALU_DEP_2) | instskip(NEXT) | instid1(VALU_DEP_2)
	v_lshrrev_b64 v[24:25], 21, v[24:25]
	v_cmp_gt_i32_e32 vcc_lo, 32, v96
	v_min_i32_e32 v52, 31, v96
	v_cmp_eq_u32_e64 s10, 0, v96
	s_delay_alu instid0(VALU_DEP_2) | instskip(SKIP_1) | instid1(VALU_DEP_2)
	v_dual_cndmask_b32 v25, 0, v25 :: v_dual_lshlrev_b32 v52, 2, v52
	v_cndmask_b32_e32 v24, 3, v24, vcc_lo
	v_and_b32_e32 v52, 0xfc, v52
	s_delay_alu instid0(VALU_DEP_2) | instskip(NEXT) | instid1(VALU_DEP_2)
	v_cmp_eq_u64_e32 vcc_lo, 0, v[24:25]
	v_and_or_b32 v24, v24, 3, v52
	s_and_b32 s10, s10, vcc_lo
	s_delay_alu instid0(VALU_DEP_1) | instid1(SALU_CYCLE_1)
	v_cndmask_b32_e64 v24, v24, 0, s10
	s_delay_alu instid0(VALU_DEP_1)
	v_or_b32_e32 v96, v24, v99
.LBB4_6828:                             ;   in Loop: Header=BB4_6458 Depth=2
	s_or_b32 exec_lo, exec_lo, s13
                                        ; implicit-def: $vgpr99
.LBB4_6829:                             ;   in Loop: Header=BB4_6458 Depth=2
	s_and_not1_saveexec_b32 s10, s12
; %bb.6830:                             ;   in Loop: Header=BB4_6458 Depth=2
	v_or_b32_e32 v96, 0x7b, v99
; %bb.6831:                             ;   in Loop: Header=BB4_6458 Depth=2
	s_or_b32 exec_lo, exec_lo, s10
                                        ; implicit-def: $vgpr117
                                        ; implicit-def: $vgpr24
.LBB4_6832:                             ;   in Loop: Header=BB4_6458 Depth=2
	s_and_not1_saveexec_b32 s10, s11
	s_cbranch_execz .LBB4_6838
; %bb.6833:                             ;   in Loop: Header=BB4_6458 Depth=2
	s_mov_b32 s11, exec_lo
                                        ; implicit-def: $vgpr96
	v_cmpx_ne_u64_e32 0, v[52:53]
	s_xor_b32 s11, exec_lo, s11
; %bb.6834:                             ;   in Loop: Header=BB4_6458 Depth=2
	v_or_b32_e32 v96, 0x7f, v24
                                        ; implicit-def: $vgpr117
; %bb.6835:                             ;   in Loop: Header=BB4_6458 Depth=2
	s_and_not1_saveexec_b32 s11, s11
; %bb.6836:                             ;   in Loop: Header=BB4_6458 Depth=2
	v_cmp_lt_i32_e32 vcc_lo, -1, v117
	v_cndmask_b32_e32 v96, 0xfc, v110, vcc_lo
; %bb.6837:                             ;   in Loop: Header=BB4_6458 Depth=2
	s_or_b32 exec_lo, exec_lo, s11
.LBB4_6838:                             ;   in Loop: Header=BB4_6458 Depth=2
	s_delay_alu instid0(SALU_CYCLE_1)
	s_or_b32 exec_lo, exec_lo, s10
	v_bfe_u32 v25, v15, 24, 2
	v_lshrrev_b32_e32 v114, 24, v15
	v_and_b32_e32 v115, 0x7c000000, v15
	v_cmp_lt_i64_e32 vcc_lo, -1, v[14:15]
	v_cmp_gt_u64_e64 s10, s[18:19], v[14:15]
	v_clz_i32_u32_e32 v52, v25
	v_cmp_lt_u64_e64 s14, s[16:17], v[10:11]
	v_and_or_b32 v97, 0x80000000, v15, s27
	v_cmp_eq_u32_e64 s11, 0x80, v114
	v_cmp_eq_u32_e64 s12, 0x7c000000, v115
	v_min_u32_e32 v99, 32, v52
	v_bfe_u32 v52, v15, 26, 5
	v_cndmask_b32_e32 v14, 0xff800000, v109, vcc_lo
	v_cmp_eq_u32_e32 vcc_lo, 0, v25
	s_mov_b32 s45, -1
	v_subrev_nc_u32_e32 v116, 29, v99
	v_cmp_eq_u32_e64 s13, 0, v52
	v_dual_cndmask_b32 v14, 0x7f800001, v14 :: v_dual_sub_nc_u32 v15, 30, v99
	s_and_b32 vcc_lo, exec_lo, s44
	v_lshlrev_b64_e32 v[116:117], v116, v[114:115]
	v_lshrrev_b32_e32 v24, 24, v11
                                        ; implicit-def: $vgpr114
	s_delay_alu instid0(VALU_DEP_2)
	v_and_b32_e32 v99, 3, v116
	s_cbranch_vccz .LBB4_6850
; %bb.6839:                             ;   in Loop: Header=BB4_6458 Depth=2
	v_mov_b32_e32 v114, 0
	s_and_saveexec_b32 s45, s14
	s_cbranch_execz .LBB4_6849
; %bb.6840:                             ;   in Loop: Header=BB4_6458 Depth=2
	v_bfrev_b32_e32 v114, 1
	s_mov_b32 s46, exec_lo
	v_cmpx_ne_u32_e32 0x80, v24
	s_cbranch_execz .LBB4_6848
; %bb.6841:                             ;   in Loop: Header=BB4_6458 Depth=2
	v_and_b32_e32 v114, 0x7c000000, v11
	v_bfe_u32 v115, v11, 24, 2
	s_delay_alu instid0(VALU_DEP_2) | instskip(SKIP_1) | instid1(SALU_CYCLE_1)
	v_cmp_ne_u32_e32 vcc_lo, 0x7c000000, v114
                                        ; implicit-def: $vgpr114
	s_and_saveexec_b32 s47, vcc_lo
	s_xor_b32 s47, exec_lo, s47
	s_cbranch_execz .LBB4_6845
; %bb.6842:                             ;   in Loop: Header=BB4_6458 Depth=2
	v_bfe_u32 v114, v11, 26, 5
	s_mov_b32 s56, exec_lo
	s_delay_alu instid0(VALU_DEP_1)
	v_cmpx_eq_u32_e32 0, v114
; %bb.6843:                             ;   in Loop: Header=BB4_6458 Depth=2
	v_clz_i32_u32_e32 v114, v115
	s_delay_alu instid0(VALU_DEP_1) | instskip(NEXT) | instid1(VALU_DEP_1)
	v_min_u32_e32 v114, 32, v114
	v_subrev_nc_u32_e32 v115, 29, v114
	s_delay_alu instid0(VALU_DEP_1) | instskip(NEXT) | instid1(VALU_DEP_1)
	v_lshlrev_b64_e32 v[116:117], v115, v[24:25]
	v_dual_sub_nc_u32 v114, 30, v114 :: v_dual_bitop2_b32 v115, 3, v116 bitop3:0x40
; %bb.6844:                             ;   in Loop: Header=BB4_6458 Depth=2
	s_or_b32 exec_lo, exec_lo, s56
	v_and_b32_e32 v116, 0x80000000, v11
	s_delay_alu instid0(VALU_DEP_1) | instskip(NEXT) | instid1(VALU_DEP_1)
	v_lshl_add_u32 v114, v114, 23, v116
	v_lshl_or_b32 v114, v115, 21, v114
                                        ; implicit-def: $vgpr115
	s_delay_alu instid0(VALU_DEP_1)
	v_add_nc_u32_e32 v114, 0x38000000, v114
.LBB4_6845:                             ;   in Loop: Header=BB4_6458 Depth=2
	s_and_not1_saveexec_b32 s47, s47
; %bb.6846:                             ;   in Loop: Header=BB4_6458 Depth=2
	v_cmp_lt_i64_e32 vcc_lo, -1, v[10:11]
	v_cndmask_b32_e32 v114, 0xff800000, v109, vcc_lo
	v_cmp_eq_u32_e32 vcc_lo, 0, v115
	s_delay_alu instid0(VALU_DEP_2)
	v_cndmask_b32_e32 v114, 0x7f800001, v114, vcc_lo
; %bb.6847:                             ;   in Loop: Header=BB4_6458 Depth=2
	s_or_b32 exec_lo, exec_lo, s47
.LBB4_6848:                             ;   in Loop: Header=BB4_6458 Depth=2
	s_delay_alu instid0(SALU_CYCLE_1)
	s_or_b32 exec_lo, exec_lo, s46
.LBB4_6849:                             ;   in Loop: Header=BB4_6458 Depth=2
	s_delay_alu instid0(SALU_CYCLE_1) | instskip(NEXT) | instid1(VALU_DEP_1)
	s_or_b32 exec_lo, exec_lo, s45
	v_dual_cndmask_b32 v115, v52, v15, s13 :: v_dual_max_num_f32 v114, v114, v114
	v_cndmask_b32_e64 v116, v25, v99, s13
	s_mov_b32 s45, 0
	s_delay_alu instid0(VALU_DEP_2) | instskip(NEXT) | instid1(VALU_DEP_1)
	v_lshl_add_u32 v115, v115, 23, v97
	v_lshl_or_b32 v115, v116, 21, v115
	s_delay_alu instid0(VALU_DEP_1) | instskip(NEXT) | instid1(VALU_DEP_1)
	v_cndmask_b32_e64 v115, v115, v14, s12
	v_cndmask_b32_e64 v115, v115, 0x80000000, s11
	s_delay_alu instid0(VALU_DEP_1) | instskip(NEXT) | instid1(VALU_DEP_1)
	v_cndmask_b32_e64 v115, v115, 0, s10
	v_max_num_f32_e32 v115, v115, v115
	s_delay_alu instid0(VALU_DEP_1)
	v_max_num_f32_e32 v114, v114, v115
.LBB4_6850:                             ;   in Loop: Header=BB4_6458 Depth=2
	s_and_b32 vcc_lo, exec_lo, s45
	s_cbranch_vccz .LBB4_6862
; %bb.6851:                             ;   in Loop: Header=BB4_6458 Depth=2
	v_mov_b32_e32 v114, 0
	s_and_saveexec_b32 s45, s14
	s_cbranch_execz .LBB4_6861
; %bb.6852:                             ;   in Loop: Header=BB4_6458 Depth=2
	v_bfrev_b32_e32 v114, 1
	s_mov_b32 s14, exec_lo
	v_cmpx_ne_u32_e32 0x80, v24
	s_cbranch_execz .LBB4_6860
; %bb.6853:                             ;   in Loop: Header=BB4_6458 Depth=2
	v_and_b32_e32 v114, 0x7c000000, v11
	v_bfe_u32 v115, v11, 24, 2
	s_delay_alu instid0(VALU_DEP_2) | instskip(SKIP_1) | instid1(SALU_CYCLE_1)
	v_cmp_ne_u32_e32 vcc_lo, 0x7c000000, v114
                                        ; implicit-def: $vgpr114
	s_and_saveexec_b32 s46, vcc_lo
	s_xor_b32 s46, exec_lo, s46
	s_cbranch_execz .LBB4_6857
; %bb.6854:                             ;   in Loop: Header=BB4_6458 Depth=2
	v_bfe_u32 v114, v11, 26, 5
	s_mov_b32 s47, exec_lo
	s_delay_alu instid0(VALU_DEP_1)
	v_cmpx_eq_u32_e32 0, v114
; %bb.6855:                             ;   in Loop: Header=BB4_6458 Depth=2
	v_clz_i32_u32_e32 v114, v115
	s_delay_alu instid0(VALU_DEP_1) | instskip(NEXT) | instid1(VALU_DEP_1)
	v_min_u32_e32 v114, 32, v114
	v_subrev_nc_u32_e32 v115, 29, v114
	s_delay_alu instid0(VALU_DEP_1) | instskip(NEXT) | instid1(VALU_DEP_1)
	v_lshlrev_b64_e32 v[116:117], v115, v[24:25]
	v_dual_sub_nc_u32 v114, 30, v114 :: v_dual_bitop2_b32 v115, 3, v116 bitop3:0x40
; %bb.6856:                             ;   in Loop: Header=BB4_6458 Depth=2
	s_or_b32 exec_lo, exec_lo, s47
	v_and_b32_e32 v24, 0x80000000, v11
	s_delay_alu instid0(VALU_DEP_1) | instskip(NEXT) | instid1(VALU_DEP_1)
	v_lshl_add_u32 v24, v114, 23, v24
	v_lshl_or_b32 v24, v115, 21, v24
                                        ; implicit-def: $vgpr115
	s_delay_alu instid0(VALU_DEP_1)
	v_add_nc_u32_e32 v114, 0x38000000, v24
.LBB4_6857:                             ;   in Loop: Header=BB4_6458 Depth=2
	s_and_not1_saveexec_b32 s46, s46
; %bb.6858:                             ;   in Loop: Header=BB4_6458 Depth=2
	v_cmp_lt_i64_e32 vcc_lo, -1, v[10:11]
	v_cndmask_b32_e32 v10, 0xff800000, v109, vcc_lo
	v_cmp_eq_u32_e32 vcc_lo, 0, v115
	s_delay_alu instid0(VALU_DEP_2)
	v_cndmask_b32_e32 v114, 0x7f800001, v10, vcc_lo
; %bb.6859:                             ;   in Loop: Header=BB4_6458 Depth=2
	s_or_b32 exec_lo, exec_lo, s46
.LBB4_6860:                             ;   in Loop: Header=BB4_6458 Depth=2
	s_delay_alu instid0(SALU_CYCLE_1)
	s_or_b32 exec_lo, exec_lo, s14
.LBB4_6861:                             ;   in Loop: Header=BB4_6458 Depth=2
	s_delay_alu instid0(SALU_CYCLE_1) | instskip(SKIP_2) | instid1(VALU_DEP_2)
	s_or_b32 exec_lo, exec_lo, s45
	v_cndmask_b32_e64 v10, v52, v15, s13
	v_cndmask_b32_e64 v11, v25, v99, s13
	v_lshl_add_u32 v10, v10, 23, v97
	s_delay_alu instid0(VALU_DEP_1) | instskip(SKIP_1) | instid1(VALU_DEP_2)
	v_lshl_or_b32 v10, v11, 21, v10
	v_max_num_f32_e32 v11, v114, v114
	v_cndmask_b32_e64 v10, v10, v14, s12
	s_delay_alu instid0(VALU_DEP_1) | instskip(NEXT) | instid1(VALU_DEP_1)
	v_cndmask_b32_e64 v10, v10, 0x80000000, s11
	v_cndmask_b32_e64 v10, v10, 0, s10
	s_delay_alu instid0(VALU_DEP_1) | instskip(NEXT) | instid1(VALU_DEP_1)
	v_max_num_f32_e32 v10, v10, v10
	v_min_num_f32_e32 v114, v11, v10
.LBB4_6862:                             ;   in Loop: Header=BB4_6458 Depth=2
	s_delay_alu instid0(VALU_DEP_1) | instskip(SKIP_2) | instid1(VALU_DEP_2)
	v_and_b32_e32 v10, 0x7f800000, v114
	v_mov_b32_e32 v11, v53
	v_and_b32_e32 v52, 0x7fffff, v114
                                        ; implicit-def: $vgpr97
	v_cmp_ne_u64_e32 vcc_lo, 0x7f800000, v[10:11]
	v_lshrrev_b32_e32 v10, 24, v114
	s_and_saveexec_b32 s10, vcc_lo
	s_delay_alu instid0(SALU_CYCLE_1)
	s_xor_b32 s11, exec_lo, s10
	s_cbranch_execz .LBB4_6876
; %bb.6863:                             ;   in Loop: Header=BB4_6458 Depth=2
	v_and_b32_e32 v14, 0x7fffffff, v114
	v_mov_b32_e32 v15, v53
	v_and_b32_e32 v24, 0x80, v10
                                        ; implicit-def: $vgpr97
	s_mov_b32 s10, exec_lo
	s_delay_alu instid0(VALU_DEP_2)
	v_cmpx_gt_u64_e32 0x47600001, v[14:15]
	s_xor_b32 s12, exec_lo, s10
	s_cbranch_execz .LBB4_6873
; %bb.6864:                             ;   in Loop: Header=BB4_6458 Depth=2
	v_mov_b32_e32 v97, 0
	s_mov_b32 s13, exec_lo
	v_cmpx_ne_u32_e32 0, v114
	s_cbranch_execz .LBB4_6872
; %bb.6865:                             ;   in Loop: Header=BB4_6458 Depth=2
	v_bfe_u32 v25, v114, 23, 8
	v_or_b32_e32 v14, 0x800000, v52
	s_delay_alu instid0(VALU_DEP_2) | instskip(SKIP_1) | instid1(VALU_DEP_2)
	v_sub_nc_u32_e32 v10, 0x71, v25
	v_cmp_gt_u32_e32 vcc_lo, 0x72, v25
	v_cndmask_b32_e32 v10, 0, v10, vcc_lo
	v_cmp_eq_u32_e32 vcc_lo, 0, v25
	s_delay_alu instid0(VALU_DEP_2) | instskip(NEXT) | instid1(VALU_DEP_1)
	v_cndmask_b32_e64 v97, v10, 0x70, vcc_lo
	v_dual_cndmask_b32 v52, v14, v52, vcc_lo :: v_dual_add_nc_u32 v10, 21, v97
	v_add_nc_u32_e32 v15, 20, v97
	s_delay_alu instid0(VALU_DEP_2) | instskip(NEXT) | instid1(VALU_DEP_2)
	v_lshlrev_b64_e64 v[10:11], v10, -1
	v_lshlrev_b64_e64 v[14:15], v15, 1
	s_delay_alu instid0(VALU_DEP_2) | instskip(NEXT) | instid1(VALU_DEP_3)
	v_bfi_b32 v115, v11, 0, 0
	v_bfi_b32 v114, v10, 0, v52
	v_lshrrev_b64 v[10:11], v97, v[52:53]
	s_delay_alu instid0(VALU_DEP_2) | instskip(NEXT) | instid1(VALU_DEP_2)
	v_cmp_eq_u64_e64 s10, v[114:115], v[14:15]
	v_mov_b64_e32 v[14:15], v[10:11]
	s_and_saveexec_b32 s14, s10
; %bb.6866:                             ;   in Loop: Header=BB4_6458 Depth=2
	v_bfe_u32 v52, v10, 21, 1
	s_delay_alu instid0(VALU_DEP_1) | instskip(NEXT) | instid1(VALU_DEP_1)
	v_add_nc_u64_e32 v[14:15], v[10:11], v[52:53]
	v_add_nc_u64_e32 v[14:15], -1, v[14:15]
; %bb.6867:                             ;   in Loop: Header=BB4_6458 Depth=2
	s_or_b32 exec_lo, exec_lo, s14
	v_add_nc_u32_e32 v11, 0xffffff81, v25
	v_lshrrev_b32_e32 v15, 23, v10
	s_mov_b32 s10, exec_lo
	s_delay_alu instid0(VALU_DEP_2) | instskip(NEXT) | instid1(VALU_DEP_1)
	v_cndmask_b32_e64 v11, v11, 0xffffff82, vcc_lo
	v_add3_u32 v15, v97, v11, v15
	v_and_b32_e32 v11, 0x1fffff, v14
                                        ; implicit-def: $vgpr14
	s_delay_alu instid0(VALU_DEP_1) | instskip(NEXT) | instid1(VALU_DEP_1)
	v_dual_add_nc_u32 v25, 14, v15 :: v_dual_add_nc_u32 v52, v11, v10
                                        ; implicit-def: $vgpr10_vgpr11
	v_cmpx_ne_u32_e32 0, v25
	s_xor_b32 s10, exec_lo, s10
; %bb.6868:                             ;   in Loop: Header=BB4_6458 Depth=2
	s_delay_alu instid0(VALU_DEP_2) | instskip(SKIP_1) | instid1(VALU_DEP_1)
	v_cmp_lt_u64_e32 vcc_lo, 0xffffff, v[52:53]
	v_add_nc_u32_e32 v10, 15, v15
	v_cndmask_b32_e32 v14, v25, v10, vcc_lo
	v_cndmask_b32_e64 v10, 0, 1, vcc_lo
	s_delay_alu instid0(VALU_DEP_1)
	v_lshrrev_b64 v[10:11], v10, v[52:53]
; %bb.6869:                             ;   in Loop: Header=BB4_6458 Depth=2
	s_and_not1_saveexec_b32 s10, s10
; %bb.6870:                             ;   in Loop: Header=BB4_6458 Depth=2
	v_mov_b64_e32 v[10:11], v[52:53]
	v_bfe_u32 v14, v52, 23, 1
; %bb.6871:                             ;   in Loop: Header=BB4_6458 Depth=2
	s_or_b32 exec_lo, exec_lo, s10
	s_delay_alu instid0(VALU_DEP_2) | instskip(NEXT) | instid1(VALU_DEP_2)
	v_lshrrev_b64 v[10:11], 21, v[10:11]
	v_cmp_gt_i32_e32 vcc_lo, 32, v14
	v_min_i32_e32 v15, 31, v14
	v_cmp_eq_u32_e64 s10, 0, v14
	s_delay_alu instid0(VALU_DEP_4) | instskip(NEXT) | instid1(VALU_DEP_3)
	v_cndmask_b32_e32 v11, 0, v11, vcc_lo
	v_dual_cndmask_b32 v10, 3, v10 :: v_dual_lshlrev_b32 v15, 2, v15
	s_delay_alu instid0(VALU_DEP_1) | instskip(NEXT) | instid1(VALU_DEP_2)
	v_and_b32_e32 v15, 0xfc, v15
	v_cmp_eq_u64_e32 vcc_lo, 0, v[10:11]
	s_delay_alu instid0(VALU_DEP_2)
	v_and_or_b32 v10, v10, 3, v15
	s_and_b32 s10, s10, vcc_lo
	s_delay_alu instid0(VALU_DEP_1) | instid1(SALU_CYCLE_1)
	v_cndmask_b32_e64 v10, v10, 0, s10
	s_delay_alu instid0(VALU_DEP_1)
	v_or_b32_e32 v97, v10, v24
.LBB4_6872:                             ;   in Loop: Header=BB4_6458 Depth=2
	s_or_b32 exec_lo, exec_lo, s13
                                        ; implicit-def: $vgpr24
.LBB4_6873:                             ;   in Loop: Header=BB4_6458 Depth=2
	s_and_not1_saveexec_b32 s10, s12
; %bb.6874:                             ;   in Loop: Header=BB4_6458 Depth=2
	v_or_b32_e32 v97, 0x7b, v24
; %bb.6875:                             ;   in Loop: Header=BB4_6458 Depth=2
	s_or_b32 exec_lo, exec_lo, s10
                                        ; implicit-def: $vgpr114
                                        ; implicit-def: $vgpr10
.LBB4_6876:                             ;   in Loop: Header=BB4_6458 Depth=2
	s_and_not1_saveexec_b32 s10, s11
	s_cbranch_execz .LBB4_6882
; %bb.6877:                             ;   in Loop: Header=BB4_6458 Depth=2
	s_mov_b32 s11, exec_lo
                                        ; implicit-def: $vgpr97
	v_cmpx_ne_u64_e32 0, v[52:53]
	s_xor_b32 s11, exec_lo, s11
; %bb.6878:                             ;   in Loop: Header=BB4_6458 Depth=2
	v_or_b32_e32 v97, 0x7f, v10
                                        ; implicit-def: $vgpr114
; %bb.6879:                             ;   in Loop: Header=BB4_6458 Depth=2
	s_and_not1_saveexec_b32 s11, s11
; %bb.6880:                             ;   in Loop: Header=BB4_6458 Depth=2
	v_cmp_lt_i32_e32 vcc_lo, -1, v114
	v_cndmask_b32_e32 v97, 0xfc, v110, vcc_lo
; %bb.6881:                             ;   in Loop: Header=BB4_6458 Depth=2
	s_or_b32 exec_lo, exec_lo, s11
.LBB4_6882:                             ;   in Loop: Header=BB4_6458 Depth=2
	s_delay_alu instid0(SALU_CYCLE_1) | instskip(SKIP_4) | instid1(VALU_DEP_4)
	s_or_b32 exec_lo, exec_lo, s10
	v_dual_lshlrev_b32 v15, 24, v16 :: v_dual_bitop2_b32 v10, 3, v16 bitop3:0x40
	v_bfe_i32 v52, v16, 0, 8
	v_and_b32_e32 v14, 0x7c, v16
	v_and_b32_e32 v25, 0xff, v12
	v_clz_i32_u32_e32 v11, v10
	v_bfe_i32 v99, v12, 0, 8
	v_cmp_lt_i16_e32 vcc_lo, -1, v52
	v_cmp_eq_u32_e64 s10, 0x7c, v14
	v_and_or_b32 v14, 0x80000000, v15, s27
	v_min_u32_e32 v24, 32, v11
	v_bfe_u32 v11, v16, 2, 5
	v_cndmask_b32_e32 v116, 0xff800000, v109, vcc_lo
	v_cmp_eq_u32_e32 vcc_lo, 0, v10
	v_cmp_ne_u16_e64 s12, 0, v25
	v_subrev_nc_u32_e32 v114, 29, v24
	v_cmp_eq_u32_e64 s11, 0, v11
	s_mov_b32 s13, -1
	v_cndmask_b32_e32 v15, 0x7f800001, v116, vcc_lo
	s_and_b32 vcc_lo, exec_lo, s44
	v_lshlrev_b64_e32 v[114:115], v114, v[16:17]
	s_delay_alu instid0(VALU_DEP_1)
	v_dual_sub_nc_u32 v24, 30, v24 :: v_dual_bitop2_b32 v25, 3, v114 bitop3:0x40
                                        ; implicit-def: $vgpr114
	s_cbranch_vccz .LBB4_6900
; %bb.6883:                             ;   in Loop: Header=BB4_6458 Depth=2
	v_mov_b32_e32 v114, 0
	s_and_saveexec_b32 s13, s12
	s_cbranch_execz .LBB4_6893
; %bb.6884:                             ;   in Loop: Header=BB4_6458 Depth=2
	v_bfrev_b32_e32 v114, 1
	s_mov_b32 s14, exec_lo
	v_cmpx_ne_u16_e32 0xff80, v99
	s_cbranch_execz .LBB4_6892
; %bb.6885:                             ;   in Loop: Header=BB4_6458 Depth=2
	v_and_b32_e32 v114, 0x7c, v12
	v_and_b32_e32 v115, 3, v12
	s_delay_alu instid0(VALU_DEP_2) | instskip(SKIP_1) | instid1(SALU_CYCLE_1)
	v_cmp_ne_u32_e32 vcc_lo, 0x7c, v114
                                        ; implicit-def: $vgpr114
	s_and_saveexec_b32 s45, vcc_lo
	s_xor_b32 s45, exec_lo, s45
	s_cbranch_execz .LBB4_6889
; %bb.6886:                             ;   in Loop: Header=BB4_6458 Depth=2
	v_bfe_u32 v114, v12, 2, 5
	s_mov_b32 s46, exec_lo
	s_delay_alu instid0(VALU_DEP_1)
	v_cmpx_eq_u32_e32 0, v114
; %bb.6887:                             ;   in Loop: Header=BB4_6458 Depth=2
	v_clz_i32_u32_e32 v114, v115
	s_delay_alu instid0(VALU_DEP_1) | instskip(NEXT) | instid1(VALU_DEP_1)
	v_min_u32_e32 v114, 32, v114
	v_subrev_nc_u32_e32 v115, 29, v114
	s_delay_alu instid0(VALU_DEP_1) | instskip(NEXT) | instid1(VALU_DEP_1)
	v_lshlrev_b64_e32 v[116:117], v115, v[12:13]
	v_dual_sub_nc_u32 v114, 30, v114 :: v_dual_bitop2_b32 v115, 3, v116 bitop3:0x40
; %bb.6888:                             ;   in Loop: Header=BB4_6458 Depth=2
	s_or_b32 exec_lo, exec_lo, s46
	v_lshlrev_b32_e32 v116, 24, v12
	s_delay_alu instid0(VALU_DEP_1) | instskip(NEXT) | instid1(VALU_DEP_1)
	v_and_b32_e32 v116, 0x80000000, v116
	v_lshl_add_u32 v114, v114, 23, v116
	s_delay_alu instid0(VALU_DEP_1) | instskip(NEXT) | instid1(VALU_DEP_1)
	v_lshl_or_b32 v114, v115, 21, v114
                                        ; implicit-def: $vgpr115
	v_add_nc_u32_e32 v114, 0x38000000, v114
.LBB4_6889:                             ;   in Loop: Header=BB4_6458 Depth=2
	s_and_not1_saveexec_b32 s45, s45
; %bb.6890:                             ;   in Loop: Header=BB4_6458 Depth=2
	v_cmp_lt_i16_e32 vcc_lo, -1, v99
	v_cndmask_b32_e32 v114, 0xff800000, v109, vcc_lo
	v_cmp_eq_u32_e32 vcc_lo, 0, v115
	s_delay_alu instid0(VALU_DEP_2)
	v_cndmask_b32_e32 v114, 0x7f800001, v114, vcc_lo
; %bb.6891:                             ;   in Loop: Header=BB4_6458 Depth=2
	s_or_b32 exec_lo, exec_lo, s45
.LBB4_6892:                             ;   in Loop: Header=BB4_6458 Depth=2
	s_delay_alu instid0(SALU_CYCLE_1)
	s_or_b32 exec_lo, exec_lo, s14
.LBB4_6893:                             ;   in Loop: Header=BB4_6458 Depth=2
	s_delay_alu instid0(SALU_CYCLE_1) | instskip(SKIP_3) | instid1(VALU_DEP_1)
	s_or_b32 exec_lo, exec_lo, s13
	v_and_b32_e32 v116, 0xff, v52
	s_mov_b32 s13, 0
	s_mov_b32 s14, exec_lo
	v_cmpx_lt_i16_e32 0x7f, v116
	s_xor_b32 s14, exec_lo, s14
	s_cbranch_execz .LBB4_7329
; %bb.6894:                             ;   in Loop: Header=BB4_6458 Depth=2
	s_mov_b32 s13, -1
	s_mov_b32 s45, exec_lo
	v_cmpx_eq_u16_e32 0x80, v116
; %bb.6895:                             ;   in Loop: Header=BB4_6458 Depth=2
	s_xor_b32 s13, exec_lo, -1
; %bb.6896:                             ;   in Loop: Header=BB4_6458 Depth=2
	s_or_b32 exec_lo, exec_lo, s45
	s_delay_alu instid0(SALU_CYCLE_1)
	s_and_b32 s13, s13, exec_lo
                                        ; implicit-def: $vgpr116
	s_or_saveexec_b32 s14, s14
	v_bfrev_b32_e32 v115, 1
	s_xor_b32 exec_lo, exec_lo, s14
	s_cbranch_execnz .LBB4_7330
.LBB4_6897:                             ;   in Loop: Header=BB4_6458 Depth=2
	s_or_b32 exec_lo, exec_lo, s14
	s_and_saveexec_b32 s14, s13
.LBB4_6898:                             ;   in Loop: Header=BB4_6458 Depth=2
	v_dual_cndmask_b32 v115, v11, v24, s11 :: v_dual_cndmask_b32 v116, v10, v25, s11
	s_delay_alu instid0(VALU_DEP_1) | instskip(NEXT) | instid1(VALU_DEP_1)
	v_lshl_add_u32 v115, v115, 23, v14
	v_lshl_or_b32 v115, v116, 21, v115
	s_delay_alu instid0(VALU_DEP_1)
	v_cndmask_b32_e64 v115, v115, v15, s10
.LBB4_6899:                             ;   in Loop: Header=BB4_6458 Depth=2
	s_or_b32 exec_lo, exec_lo, s14
	s_delay_alu instid0(VALU_DEP_1) | instskip(SKIP_1) | instid1(VALU_DEP_1)
	v_dual_max_num_f32 v115, v115, v115 :: v_dual_max_num_f32 v114, v114, v114
	s_mov_b32 s13, 0
	v_max_num_f32_e32 v114, v114, v115
.LBB4_6900:                             ;   in Loop: Header=BB4_6458 Depth=2
	s_and_b32 vcc_lo, exec_lo, s13
	s_cbranch_vccz .LBB4_6918
; %bb.6901:                             ;   in Loop: Header=BB4_6458 Depth=2
	v_mov_b32_e32 v114, 0
	s_and_saveexec_b32 s13, s12
	s_cbranch_execz .LBB4_6911
; %bb.6902:                             ;   in Loop: Header=BB4_6458 Depth=2
	v_bfrev_b32_e32 v114, 1
	s_mov_b32 s12, exec_lo
	v_cmpx_ne_u16_e32 0xff80, v99
	s_cbranch_execz .LBB4_6910
; %bb.6903:                             ;   in Loop: Header=BB4_6458 Depth=2
	v_and_b32_e32 v114, 0x7c, v12
	v_and_b32_e32 v115, 3, v12
	s_delay_alu instid0(VALU_DEP_2) | instskip(SKIP_1) | instid1(SALU_CYCLE_1)
	v_cmp_ne_u32_e32 vcc_lo, 0x7c, v114
                                        ; implicit-def: $vgpr114
	s_and_saveexec_b32 s14, vcc_lo
	s_xor_b32 s14, exec_lo, s14
	s_cbranch_execz .LBB4_6907
; %bb.6904:                             ;   in Loop: Header=BB4_6458 Depth=2
	v_bfe_u32 v99, v12, 2, 5
	s_mov_b32 s45, exec_lo
	s_delay_alu instid0(VALU_DEP_1)
	v_cmpx_eq_u32_e32 0, v99
; %bb.6905:                             ;   in Loop: Header=BB4_6458 Depth=2
	v_clz_i32_u32_e32 v99, v115
	s_delay_alu instid0(VALU_DEP_1) | instskip(NEXT) | instid1(VALU_DEP_1)
	v_min_u32_e32 v99, 32, v99
	v_subrev_nc_u32_e32 v114, 29, v99
	s_delay_alu instid0(VALU_DEP_1) | instskip(NEXT) | instid1(VALU_DEP_1)
	v_lshlrev_b64_e32 v[114:115], v114, v[12:13]
	v_dual_sub_nc_u32 v99, 30, v99 :: v_dual_bitop2_b32 v115, 3, v114 bitop3:0x40
; %bb.6906:                             ;   in Loop: Header=BB4_6458 Depth=2
	s_or_b32 exec_lo, exec_lo, s45
	v_lshlrev_b32_e32 v114, 24, v12
	s_delay_alu instid0(VALU_DEP_1) | instskip(NEXT) | instid1(VALU_DEP_1)
	v_and_b32_e32 v114, 0x80000000, v114
	v_lshl_add_u32 v99, v99, 23, v114
	s_delay_alu instid0(VALU_DEP_1) | instskip(NEXT) | instid1(VALU_DEP_1)
	v_lshl_or_b32 v99, v115, 21, v99
                                        ; implicit-def: $vgpr115
	v_add_nc_u32_e32 v114, 0x38000000, v99
                                        ; implicit-def: $vgpr99
.LBB4_6907:                             ;   in Loop: Header=BB4_6458 Depth=2
	s_and_not1_saveexec_b32 s14, s14
; %bb.6908:                             ;   in Loop: Header=BB4_6458 Depth=2
	v_cmp_lt_i16_e32 vcc_lo, -1, v99
	v_cndmask_b32_e32 v99, 0xff800000, v109, vcc_lo
	v_cmp_eq_u32_e32 vcc_lo, 0, v115
	s_delay_alu instid0(VALU_DEP_2)
	v_cndmask_b32_e32 v114, 0x7f800001, v99, vcc_lo
; %bb.6909:                             ;   in Loop: Header=BB4_6458 Depth=2
	s_or_b32 exec_lo, exec_lo, s14
.LBB4_6910:                             ;   in Loop: Header=BB4_6458 Depth=2
	s_delay_alu instid0(SALU_CYCLE_1)
	s_or_b32 exec_lo, exec_lo, s12
.LBB4_6911:                             ;   in Loop: Header=BB4_6458 Depth=2
	s_delay_alu instid0(SALU_CYCLE_1) | instskip(SKIP_3) | instid1(VALU_DEP_1)
	s_or_b32 exec_lo, exec_lo, s13
	v_and_b32_e32 v99, 0xff, v52
	s_mov_b32 s12, 0
	s_mov_b32 s13, exec_lo
	v_cmpx_lt_i16_e32 0x7f, v99
	s_xor_b32 s13, exec_lo, s13
	s_cbranch_execz .LBB4_7331
; %bb.6912:                             ;   in Loop: Header=BB4_6458 Depth=2
	s_mov_b32 s12, -1
	s_mov_b32 s14, exec_lo
	v_cmpx_eq_u16_e32 0x80, v99
; %bb.6913:                             ;   in Loop: Header=BB4_6458 Depth=2
	s_xor_b32 s12, exec_lo, -1
; %bb.6914:                             ;   in Loop: Header=BB4_6458 Depth=2
	s_or_b32 exec_lo, exec_lo, s14
	s_delay_alu instid0(SALU_CYCLE_1)
	s_and_b32 s12, s12, exec_lo
                                        ; implicit-def: $vgpr99
	s_or_saveexec_b32 s13, s13
	v_bfrev_b32_e32 v52, 1
	s_xor_b32 exec_lo, exec_lo, s13
	s_cbranch_execnz .LBB4_7332
.LBB4_6915:                             ;   in Loop: Header=BB4_6458 Depth=2
	s_or_b32 exec_lo, exec_lo, s13
	s_and_saveexec_b32 s13, s12
.LBB4_6916:                             ;   in Loop: Header=BB4_6458 Depth=2
	v_dual_cndmask_b32 v11, v11, v24, s11 :: v_dual_cndmask_b32 v10, v10, v25, s11
	s_delay_alu instid0(VALU_DEP_1) | instskip(NEXT) | instid1(VALU_DEP_1)
	v_lshl_add_u32 v11, v11, 23, v14
	v_lshl_or_b32 v10, v10, 21, v11
	s_delay_alu instid0(VALU_DEP_1)
	v_cndmask_b32_e64 v52, v10, v15, s10
.LBB4_6917:                             ;   in Loop: Header=BB4_6458 Depth=2
	s_or_b32 exec_lo, exec_lo, s13
	s_delay_alu instid0(VALU_DEP_1) | instskip(NEXT) | instid1(VALU_DEP_1)
	v_dual_max_num_f32 v10, v52, v52 :: v_dual_max_num_f32 v11, v114, v114
	v_min_num_f32_e32 v114, v11, v10
.LBB4_6918:                             ;   in Loop: Header=BB4_6458 Depth=2
	s_delay_alu instid0(VALU_DEP_1) | instskip(SKIP_2) | instid1(VALU_DEP_2)
	v_and_b32_e32 v10, 0x7f800000, v114
	v_mov_b32_e32 v11, v53
	v_and_b32_e32 v52, 0x7fffff, v114
                                        ; implicit-def: $vgpr99
	v_cmp_ne_u64_e32 vcc_lo, 0x7f800000, v[10:11]
	v_lshrrev_b32_e32 v10, 24, v114
	s_and_saveexec_b32 s10, vcc_lo
	s_delay_alu instid0(SALU_CYCLE_1)
	s_xor_b32 s11, exec_lo, s10
	s_cbranch_execz .LBB4_6932
; %bb.6919:                             ;   in Loop: Header=BB4_6458 Depth=2
	v_and_b32_e32 v14, 0x7fffffff, v114
	v_mov_b32_e32 v15, v53
	v_and_b32_e32 v24, 0x80, v10
                                        ; implicit-def: $vgpr99
	s_mov_b32 s10, exec_lo
	s_delay_alu instid0(VALU_DEP_2)
	v_cmpx_gt_u64_e32 0x47600001, v[14:15]
	s_xor_b32 s12, exec_lo, s10
	s_cbranch_execz .LBB4_6929
; %bb.6920:                             ;   in Loop: Header=BB4_6458 Depth=2
	v_mov_b32_e32 v99, 0
	s_mov_b32 s13, exec_lo
	v_cmpx_ne_u32_e32 0, v114
	s_cbranch_execz .LBB4_6928
; %bb.6921:                             ;   in Loop: Header=BB4_6458 Depth=2
	v_bfe_u32 v25, v114, 23, 8
	v_or_b32_e32 v14, 0x800000, v52
	s_delay_alu instid0(VALU_DEP_2) | instskip(SKIP_1) | instid1(VALU_DEP_2)
	v_sub_nc_u32_e32 v10, 0x71, v25
	v_cmp_gt_u32_e32 vcc_lo, 0x72, v25
	v_cndmask_b32_e32 v10, 0, v10, vcc_lo
	v_cmp_eq_u32_e32 vcc_lo, 0, v25
	s_delay_alu instid0(VALU_DEP_2) | instskip(NEXT) | instid1(VALU_DEP_1)
	v_cndmask_b32_e64 v99, v10, 0x70, vcc_lo
	v_dual_cndmask_b32 v52, v14, v52, vcc_lo :: v_dual_add_nc_u32 v10, 21, v99
	v_add_nc_u32_e32 v15, 20, v99
	s_delay_alu instid0(VALU_DEP_2) | instskip(NEXT) | instid1(VALU_DEP_2)
	v_lshlrev_b64_e64 v[10:11], v10, -1
	v_lshlrev_b64_e64 v[14:15], v15, 1
	s_delay_alu instid0(VALU_DEP_2) | instskip(NEXT) | instid1(VALU_DEP_3)
	v_bfi_b32 v115, v11, 0, 0
	v_bfi_b32 v114, v10, 0, v52
	v_lshrrev_b64 v[10:11], v99, v[52:53]
	s_delay_alu instid0(VALU_DEP_2) | instskip(NEXT) | instid1(VALU_DEP_2)
	v_cmp_eq_u64_e64 s10, v[114:115], v[14:15]
	v_mov_b64_e32 v[14:15], v[10:11]
	s_and_saveexec_b32 s14, s10
; %bb.6922:                             ;   in Loop: Header=BB4_6458 Depth=2
	v_bfe_u32 v52, v10, 21, 1
	s_delay_alu instid0(VALU_DEP_1) | instskip(NEXT) | instid1(VALU_DEP_1)
	v_add_nc_u64_e32 v[14:15], v[10:11], v[52:53]
	v_add_nc_u64_e32 v[14:15], -1, v[14:15]
; %bb.6923:                             ;   in Loop: Header=BB4_6458 Depth=2
	s_or_b32 exec_lo, exec_lo, s14
	v_add_nc_u32_e32 v11, 0xffffff81, v25
	v_lshrrev_b32_e32 v15, 23, v10
	s_mov_b32 s10, exec_lo
	s_delay_alu instid0(VALU_DEP_2) | instskip(NEXT) | instid1(VALU_DEP_1)
	v_cndmask_b32_e64 v11, v11, 0xffffff82, vcc_lo
	v_add3_u32 v15, v99, v11, v15
	v_and_b32_e32 v11, 0x1fffff, v14
                                        ; implicit-def: $vgpr14
	s_delay_alu instid0(VALU_DEP_1) | instskip(NEXT) | instid1(VALU_DEP_1)
	v_dual_add_nc_u32 v25, 14, v15 :: v_dual_add_nc_u32 v52, v11, v10
                                        ; implicit-def: $vgpr10_vgpr11
	v_cmpx_ne_u32_e32 0, v25
	s_xor_b32 s10, exec_lo, s10
; %bb.6924:                             ;   in Loop: Header=BB4_6458 Depth=2
	s_delay_alu instid0(VALU_DEP_2) | instskip(SKIP_1) | instid1(VALU_DEP_1)
	v_cmp_lt_u64_e32 vcc_lo, 0xffffff, v[52:53]
	v_add_nc_u32_e32 v10, 15, v15
	v_cndmask_b32_e32 v14, v25, v10, vcc_lo
	v_cndmask_b32_e64 v10, 0, 1, vcc_lo
	s_delay_alu instid0(VALU_DEP_1)
	v_lshrrev_b64 v[10:11], v10, v[52:53]
; %bb.6925:                             ;   in Loop: Header=BB4_6458 Depth=2
	s_and_not1_saveexec_b32 s10, s10
; %bb.6926:                             ;   in Loop: Header=BB4_6458 Depth=2
	v_mov_b64_e32 v[10:11], v[52:53]
	v_bfe_u32 v14, v52, 23, 1
; %bb.6927:                             ;   in Loop: Header=BB4_6458 Depth=2
	s_or_b32 exec_lo, exec_lo, s10
	s_delay_alu instid0(VALU_DEP_2) | instskip(NEXT) | instid1(VALU_DEP_2)
	v_lshrrev_b64 v[10:11], 21, v[10:11]
	v_cmp_gt_i32_e32 vcc_lo, 32, v14
	v_min_i32_e32 v15, 31, v14
	v_cmp_eq_u32_e64 s10, 0, v14
	s_delay_alu instid0(VALU_DEP_4) | instskip(NEXT) | instid1(VALU_DEP_3)
	v_cndmask_b32_e32 v11, 0, v11, vcc_lo
	v_dual_cndmask_b32 v10, 3, v10 :: v_dual_lshlrev_b32 v15, 2, v15
	s_delay_alu instid0(VALU_DEP_1) | instskip(NEXT) | instid1(VALU_DEP_2)
	v_and_b32_e32 v15, 0xfc, v15
	v_cmp_eq_u64_e32 vcc_lo, 0, v[10:11]
	s_delay_alu instid0(VALU_DEP_2)
	v_and_or_b32 v10, v10, 3, v15
	s_and_b32 s10, s10, vcc_lo
	s_delay_alu instid0(VALU_DEP_1) | instid1(SALU_CYCLE_1)
	v_cndmask_b32_e64 v10, v10, 0, s10
	s_delay_alu instid0(VALU_DEP_1)
	v_or_b32_e32 v99, v10, v24
.LBB4_6928:                             ;   in Loop: Header=BB4_6458 Depth=2
	s_or_b32 exec_lo, exec_lo, s13
                                        ; implicit-def: $vgpr24
.LBB4_6929:                             ;   in Loop: Header=BB4_6458 Depth=2
	s_and_not1_saveexec_b32 s10, s12
; %bb.6930:                             ;   in Loop: Header=BB4_6458 Depth=2
	v_or_b32_e32 v99, 0x7b, v24
; %bb.6931:                             ;   in Loop: Header=BB4_6458 Depth=2
	s_or_b32 exec_lo, exec_lo, s10
                                        ; implicit-def: $vgpr114
                                        ; implicit-def: $vgpr10
.LBB4_6932:                             ;   in Loop: Header=BB4_6458 Depth=2
	s_and_not1_saveexec_b32 s10, s11
	s_cbranch_execz .LBB4_6938
; %bb.6933:                             ;   in Loop: Header=BB4_6458 Depth=2
	s_mov_b32 s11, exec_lo
                                        ; implicit-def: $vgpr99
	v_cmpx_ne_u64_e32 0, v[52:53]
	s_xor_b32 s11, exec_lo, s11
; %bb.6934:                             ;   in Loop: Header=BB4_6458 Depth=2
	v_or_b32_e32 v99, 0x7f, v10
                                        ; implicit-def: $vgpr114
; %bb.6935:                             ;   in Loop: Header=BB4_6458 Depth=2
	s_and_not1_saveexec_b32 s11, s11
; %bb.6936:                             ;   in Loop: Header=BB4_6458 Depth=2
	v_cmp_lt_i32_e32 vcc_lo, -1, v114
	v_cndmask_b32_e32 v99, 0xfc, v110, vcc_lo
; %bb.6937:                             ;   in Loop: Header=BB4_6458 Depth=2
	s_or_b32 exec_lo, exec_lo, s11
.LBB4_6938:                             ;   in Loop: Header=BB4_6458 Depth=2
	s_delay_alu instid0(SALU_CYCLE_1) | instskip(SKIP_3) | instid1(VALU_DEP_2)
	s_or_b32 exec_lo, exec_lo, s10
	v_lshrrev_b16 v52, 8, v16
	v_cmp_lt_i16_e32 vcc_lo, -1, v16
	s_mov_b32 s13, -1
	v_and_b32_e32 v11, 0xffff, v52
	s_delay_alu instid0(VALU_DEP_1) | instskip(SKIP_2) | instid1(VALU_DEP_3)
	v_dual_lshlrev_b32 v24, 24, v52 :: v_dual_bitop2_b32 v14, 3, v11 bitop3:0x40
	v_and_b32_e32 v117, 0x7c, v11
	v_bfe_u32 v15, v11, 2, 5
                                        ; implicit-def: $vgpr11
	v_and_or_b32 v24, 0x80000000, v24, s27
	s_delay_alu instid0(VALU_DEP_4) | instskip(NEXT) | instid1(VALU_DEP_4)
	v_clz_i32_u32_e32 v10, v14
	v_cmp_eq_u32_e64 s10, 0x7c, v117
	s_delay_alu instid0(VALU_DEP_4) | instskip(NEXT) | instid1(VALU_DEP_3)
	v_cmp_eq_u32_e64 s11, 0, v15
	v_min_u32_e32 v114, 32, v10
	v_lshrrev_b16 v10, 8, v12
	v_cndmask_b32_e32 v25, 0xff800000, v109, vcc_lo
	v_cmp_eq_u32_e32 vcc_lo, 0, v14
	s_delay_alu instid0(VALU_DEP_4) | instskip(NEXT) | instid1(VALU_DEP_4)
	v_subrev_nc_u32_e32 v115, 29, v114
	v_and_b32_e32 v116, 0xffff, v10
	v_cmp_ne_u16_e64 s12, 0, v10
	v_dual_cndmask_b32 v25, 0x7f800001, v25 :: v_dual_sub_nc_u32 v114, 30, v114
	s_delay_alu instid0(VALU_DEP_4) | instskip(SKIP_1) | instid1(VALU_DEP_1)
	v_lshlrev_b64_e32 v[118:119], v115, v[52:53]
	s_and_b32 vcc_lo, exec_lo, s44
	v_and_b32_e32 v115, 3, v118
	s_cbranch_vccz .LBB4_6956
; %bb.6939:                             ;   in Loop: Header=BB4_6458 Depth=2
	v_mov_b32_e32 v11, 0
	s_and_saveexec_b32 s13, s12
	s_cbranch_execz .LBB4_6949
; %bb.6940:                             ;   in Loop: Header=BB4_6458 Depth=2
	v_bfrev_b32_e32 v11, 1
	s_mov_b32 s14, exec_lo
	v_cmpx_ne_u16_e32 0x80, v10
	s_cbranch_execz .LBB4_6948
; %bb.6941:                             ;   in Loop: Header=BB4_6458 Depth=2
	v_and_b32_e32 v11, 0x7c, v116
	v_and_b32_e32 v117, 3, v116
	s_delay_alu instid0(VALU_DEP_2) | instskip(SKIP_1) | instid1(SALU_CYCLE_1)
	v_cmp_ne_u32_e32 vcc_lo, 0x7c, v11
                                        ; implicit-def: $vgpr11
	s_and_saveexec_b32 s45, vcc_lo
	s_xor_b32 s45, exec_lo, s45
	s_cbranch_execz .LBB4_6945
; %bb.6942:                             ;   in Loop: Header=BB4_6458 Depth=2
	v_bfe_u32 v11, v116, 2, 5
	s_mov_b32 s46, exec_lo
	s_delay_alu instid0(VALU_DEP_1)
	v_cmpx_eq_u32_e32 0, v11
; %bb.6943:                             ;   in Loop: Header=BB4_6458 Depth=2
	v_clz_i32_u32_e32 v11, v117
	s_delay_alu instid0(VALU_DEP_1) | instskip(SKIP_1) | instid1(VALU_DEP_2)
	v_min_u32_e32 v117, 32, v11
	v_mov_b32_e32 v11, v53
	v_subrev_nc_u32_e32 v118, 29, v117
	s_delay_alu instid0(VALU_DEP_1) | instskip(NEXT) | instid1(VALU_DEP_1)
	v_lshlrev_b64_e32 v[118:119], v118, v[10:11]
	v_dual_sub_nc_u32 v11, 30, v117 :: v_dual_bitop2_b32 v117, 3, v118 bitop3:0x40
; %bb.6944:                             ;   in Loop: Header=BB4_6458 Depth=2
	s_or_b32 exec_lo, exec_lo, s46
	v_lshlrev_b32_e32 v118, 16, v12
	s_delay_alu instid0(VALU_DEP_1) | instskip(NEXT) | instid1(VALU_DEP_1)
	v_and_b32_e32 v118, 0x80000000, v118
	v_lshl_add_u32 v11, v11, 23, v118
	s_delay_alu instid0(VALU_DEP_1) | instskip(NEXT) | instid1(VALU_DEP_1)
	v_lshl_or_b32 v11, v117, 21, v11
                                        ; implicit-def: $vgpr117
	v_add_nc_u32_e32 v11, 0x38000000, v11
.LBB4_6945:                             ;   in Loop: Header=BB4_6458 Depth=2
	s_and_not1_saveexec_b32 s45, s45
; %bb.6946:                             ;   in Loop: Header=BB4_6458 Depth=2
	v_cmp_lt_i16_e32 vcc_lo, -1, v12
	v_cndmask_b32_e32 v11, 0xff800000, v109, vcc_lo
	v_cmp_eq_u32_e32 vcc_lo, 0, v117
	s_delay_alu instid0(VALU_DEP_2)
	v_cndmask_b32_e32 v11, 0x7f800001, v11, vcc_lo
; %bb.6947:                             ;   in Loop: Header=BB4_6458 Depth=2
	s_or_b32 exec_lo, exec_lo, s45
.LBB4_6948:                             ;   in Loop: Header=BB4_6458 Depth=2
	s_delay_alu instid0(SALU_CYCLE_1)
	s_or_b32 exec_lo, exec_lo, s14
.LBB4_6949:                             ;   in Loop: Header=BB4_6458 Depth=2
	s_delay_alu instid0(SALU_CYCLE_1)
	s_or_b32 exec_lo, exec_lo, s13
	s_mov_b32 s13, 0
	s_mov_b32 s14, exec_lo
	v_cmpx_lt_i16_e32 0x7f, v52
	s_xor_b32 s14, exec_lo, s14
	s_cbranch_execz .LBB4_7333
; %bb.6950:                             ;   in Loop: Header=BB4_6458 Depth=2
	s_mov_b32 s13, -1
	s_mov_b32 s45, exec_lo
	v_cmpx_eq_u16_e32 0x80, v52
; %bb.6951:                             ;   in Loop: Header=BB4_6458 Depth=2
	s_xor_b32 s13, exec_lo, -1
; %bb.6952:                             ;   in Loop: Header=BB4_6458 Depth=2
	s_or_b32 exec_lo, exec_lo, s45
	s_delay_alu instid0(SALU_CYCLE_1)
	s_and_b32 s13, s13, exec_lo
	s_or_saveexec_b32 s14, s14
	v_bfrev_b32_e32 v117, 1
	s_xor_b32 exec_lo, exec_lo, s14
	s_cbranch_execnz .LBB4_7334
.LBB4_6953:                             ;   in Loop: Header=BB4_6458 Depth=2
	s_or_b32 exec_lo, exec_lo, s14
	s_and_saveexec_b32 s14, s13
.LBB4_6954:                             ;   in Loop: Header=BB4_6458 Depth=2
	v_dual_cndmask_b32 v117, v15, v114, s11 :: v_dual_cndmask_b32 v118, v14, v115, s11
	s_delay_alu instid0(VALU_DEP_1) | instskip(NEXT) | instid1(VALU_DEP_1)
	v_lshl_add_u32 v117, v117, 23, v24
	v_lshl_or_b32 v117, v118, 21, v117
	s_delay_alu instid0(VALU_DEP_1)
	v_cndmask_b32_e64 v117, v117, v25, s10
.LBB4_6955:                             ;   in Loop: Header=BB4_6458 Depth=2
	s_or_b32 exec_lo, exec_lo, s14
	s_delay_alu instid0(VALU_DEP_1) | instskip(SKIP_1) | instid1(VALU_DEP_1)
	v_dual_max_num_f32 v117, v117, v117 :: v_dual_max_num_f32 v11, v11, v11
	s_mov_b32 s13, 0
	v_max_num_f32_e32 v11, v11, v117
.LBB4_6956:                             ;   in Loop: Header=BB4_6458 Depth=2
	s_and_b32 vcc_lo, exec_lo, s13
	s_cbranch_vccz .LBB4_6974
; %bb.6957:                             ;   in Loop: Header=BB4_6458 Depth=2
	v_mov_b32_e32 v11, 0
	s_and_saveexec_b32 s13, s12
	s_cbranch_execz .LBB4_6967
; %bb.6958:                             ;   in Loop: Header=BB4_6458 Depth=2
	v_bfrev_b32_e32 v11, 1
	s_mov_b32 s12, exec_lo
	v_cmpx_ne_u16_e32 0x80, v10
	s_cbranch_execz .LBB4_6966
; %bb.6959:                             ;   in Loop: Header=BB4_6458 Depth=2
	v_and_b32_e32 v11, 0x7c, v116
	v_and_b32_e32 v117, 3, v116
	s_delay_alu instid0(VALU_DEP_2) | instskip(SKIP_1) | instid1(SALU_CYCLE_1)
	v_cmp_ne_u32_e32 vcc_lo, 0x7c, v11
                                        ; implicit-def: $vgpr11
	s_and_saveexec_b32 s14, vcc_lo
	s_xor_b32 s14, exec_lo, s14
	s_cbranch_execz .LBB4_6963
; %bb.6960:                             ;   in Loop: Header=BB4_6458 Depth=2
	v_bfe_u32 v11, v116, 2, 5
	s_mov_b32 s45, exec_lo
	s_delay_alu instid0(VALU_DEP_1)
	v_cmpx_eq_u32_e32 0, v11
; %bb.6961:                             ;   in Loop: Header=BB4_6458 Depth=2
	v_clz_i32_u32_e32 v11, v117
	s_delay_alu instid0(VALU_DEP_1) | instskip(SKIP_1) | instid1(VALU_DEP_2)
	v_min_u32_e32 v116, 32, v11
	v_mov_b32_e32 v11, v53
	v_subrev_nc_u32_e32 v117, 29, v116
	s_delay_alu instid0(VALU_DEP_1) | instskip(NEXT) | instid1(VALU_DEP_1)
	v_lshlrev_b64_e32 v[10:11], v117, v[10:11]
	v_dual_sub_nc_u32 v11, 30, v116 :: v_dual_bitop2_b32 v117, 3, v10 bitop3:0x40
; %bb.6962:                             ;   in Loop: Header=BB4_6458 Depth=2
	s_or_b32 exec_lo, exec_lo, s45
	v_lshlrev_b32_e32 v10, 16, v12
	s_delay_alu instid0(VALU_DEP_1) | instskip(NEXT) | instid1(VALU_DEP_1)
	v_and_b32_e32 v10, 0x80000000, v10
	v_lshl_add_u32 v10, v11, 23, v10
	s_delay_alu instid0(VALU_DEP_1) | instskip(NEXT) | instid1(VALU_DEP_1)
	v_lshl_or_b32 v10, v117, 21, v10
                                        ; implicit-def: $vgpr117
	v_add_nc_u32_e32 v11, 0x38000000, v10
.LBB4_6963:                             ;   in Loop: Header=BB4_6458 Depth=2
	s_and_not1_saveexec_b32 s14, s14
; %bb.6964:                             ;   in Loop: Header=BB4_6458 Depth=2
	v_cmp_lt_i16_e32 vcc_lo, -1, v12
	v_cndmask_b32_e32 v10, 0xff800000, v109, vcc_lo
	v_cmp_eq_u32_e32 vcc_lo, 0, v117
	s_delay_alu instid0(VALU_DEP_2)
	v_cndmask_b32_e32 v11, 0x7f800001, v10, vcc_lo
; %bb.6965:                             ;   in Loop: Header=BB4_6458 Depth=2
	s_or_b32 exec_lo, exec_lo, s14
.LBB4_6966:                             ;   in Loop: Header=BB4_6458 Depth=2
	s_delay_alu instid0(SALU_CYCLE_1)
	s_or_b32 exec_lo, exec_lo, s12
.LBB4_6967:                             ;   in Loop: Header=BB4_6458 Depth=2
	s_delay_alu instid0(SALU_CYCLE_1)
	s_or_b32 exec_lo, exec_lo, s13
	s_mov_b32 s12, 0
	s_mov_b32 s13, exec_lo
	v_cmpx_lt_i16_e32 0x7f, v52
	s_xor_b32 s13, exec_lo, s13
	s_cbranch_execz .LBB4_7335
; %bb.6968:                             ;   in Loop: Header=BB4_6458 Depth=2
	s_mov_b32 s12, -1
	s_mov_b32 s14, exec_lo
	v_cmpx_eq_u16_e32 0x80, v52
; %bb.6969:                             ;   in Loop: Header=BB4_6458 Depth=2
	s_xor_b32 s12, exec_lo, -1
; %bb.6970:                             ;   in Loop: Header=BB4_6458 Depth=2
	s_or_b32 exec_lo, exec_lo, s14
	s_delay_alu instid0(SALU_CYCLE_1)
	s_and_b32 s12, s12, exec_lo
	s_or_saveexec_b32 s13, s13
	v_bfrev_b32_e32 v10, 1
	s_xor_b32 exec_lo, exec_lo, s13
	s_cbranch_execnz .LBB4_7336
.LBB4_6971:                             ;   in Loop: Header=BB4_6458 Depth=2
	s_or_b32 exec_lo, exec_lo, s13
	s_and_saveexec_b32 s13, s12
.LBB4_6972:                             ;   in Loop: Header=BB4_6458 Depth=2
	v_dual_cndmask_b32 v10, v15, v114, s11 :: v_dual_cndmask_b32 v14, v14, v115, s11
	s_delay_alu instid0(VALU_DEP_1) | instskip(NEXT) | instid1(VALU_DEP_1)
	v_lshl_add_u32 v10, v10, 23, v24
	v_lshl_or_b32 v10, v14, 21, v10
	s_delay_alu instid0(VALU_DEP_1)
	v_cndmask_b32_e64 v10, v10, v25, s10
.LBB4_6973:                             ;   in Loop: Header=BB4_6458 Depth=2
	s_or_b32 exec_lo, exec_lo, s13
	s_delay_alu instid0(VALU_DEP_1) | instskip(NEXT) | instid1(VALU_DEP_1)
	v_dual_max_num_f32 v10, v10, v10 :: v_dual_max_num_f32 v11, v11, v11
	v_min_num_f32_e32 v11, v11, v10
.LBB4_6974:                             ;   in Loop: Header=BB4_6458 Depth=2
	s_delay_alu instid0(VALU_DEP_1) | instskip(SKIP_3) | instid1(VALU_DEP_2)
	v_and_b32_e32 v14, 0x7f800000, v11
	v_dual_mov_b32 v15, v53 :: v_dual_lshrrev_b32 v10, 24, v11
	v_and_b32_e32 v52, 0x7fffff, v11
                                        ; implicit-def: $vgpr114
	s_mov_b32 s10, exec_lo
	v_cmpx_ne_u64_e32 0x7f800000, v[14:15]
	s_xor_b32 s11, exec_lo, s10
	s_cbranch_execz .LBB4_6988
; %bb.6975:                             ;   in Loop: Header=BB4_6458 Depth=2
	v_and_b32_e32 v14, 0x7fffffff, v11
	v_mov_b32_e32 v15, v53
	v_and_b32_e32 v24, 0x80, v10
                                        ; implicit-def: $vgpr114
	s_mov_b32 s10, exec_lo
	s_delay_alu instid0(VALU_DEP_2)
	v_cmpx_gt_u64_e32 0x47600001, v[14:15]
	s_xor_b32 s12, exec_lo, s10
	s_cbranch_execz .LBB4_6985
; %bb.6976:                             ;   in Loop: Header=BB4_6458 Depth=2
	v_mov_b32_e32 v114, 0
	s_mov_b32 s13, exec_lo
	v_cmpx_ne_u32_e32 0, v11
	s_cbranch_execz .LBB4_6984
; %bb.6977:                             ;   in Loop: Header=BB4_6458 Depth=2
	v_bfe_u32 v25, v11, 23, 8
	v_or_b32_e32 v14, 0x800000, v52
	s_delay_alu instid0(VALU_DEP_2) | instskip(SKIP_1) | instid1(VALU_DEP_2)
	v_sub_nc_u32_e32 v10, 0x71, v25
	v_cmp_gt_u32_e32 vcc_lo, 0x72, v25
	v_cndmask_b32_e32 v10, 0, v10, vcc_lo
	v_cmp_eq_u32_e32 vcc_lo, 0, v25
	v_cndmask_b32_e32 v52, v14, v52, vcc_lo
	s_delay_alu instid0(VALU_DEP_3) | instskip(NEXT) | instid1(VALU_DEP_1)
	v_cndmask_b32_e64 v114, v10, 0x70, vcc_lo
	v_dual_add_nc_u32 v10, 21, v114 :: v_dual_add_nc_u32 v15, 20, v114
	s_delay_alu instid0(VALU_DEP_1) | instskip(NEXT) | instid1(VALU_DEP_2)
	v_lshlrev_b64_e64 v[10:11], v10, -1
	v_lshlrev_b64_e64 v[14:15], v15, 1
	s_delay_alu instid0(VALU_DEP_2) | instskip(NEXT) | instid1(VALU_DEP_3)
	v_bfi_b32 v117, v11, 0, 0
	v_bfi_b32 v116, v10, 0, v52
	v_lshrrev_b64 v[10:11], v114, v[52:53]
	s_delay_alu instid0(VALU_DEP_2) | instskip(NEXT) | instid1(VALU_DEP_2)
	v_cmp_eq_u64_e64 s10, v[116:117], v[14:15]
	v_mov_b64_e32 v[14:15], v[10:11]
	s_and_saveexec_b32 s14, s10
; %bb.6978:                             ;   in Loop: Header=BB4_6458 Depth=2
	v_bfe_u32 v52, v10, 21, 1
	s_delay_alu instid0(VALU_DEP_1) | instskip(NEXT) | instid1(VALU_DEP_1)
	v_add_nc_u64_e32 v[14:15], v[10:11], v[52:53]
	v_add_nc_u64_e32 v[14:15], -1, v[14:15]
; %bb.6979:                             ;   in Loop: Header=BB4_6458 Depth=2
	s_or_b32 exec_lo, exec_lo, s14
	v_add_nc_u32_e32 v11, 0xffffff81, v25
	v_lshrrev_b32_e32 v15, 23, v10
	s_mov_b32 s10, exec_lo
	s_delay_alu instid0(VALU_DEP_2) | instskip(NEXT) | instid1(VALU_DEP_1)
	v_cndmask_b32_e64 v11, v11, 0xffffff82, vcc_lo
	v_add3_u32 v15, v114, v11, v15
	v_and_b32_e32 v11, 0x1fffff, v14
                                        ; implicit-def: $vgpr14
	s_delay_alu instid0(VALU_DEP_1) | instskip(NEXT) | instid1(VALU_DEP_1)
	v_dual_add_nc_u32 v25, 14, v15 :: v_dual_add_nc_u32 v52, v11, v10
                                        ; implicit-def: $vgpr10_vgpr11
	v_cmpx_ne_u32_e32 0, v25
	s_xor_b32 s10, exec_lo, s10
; %bb.6980:                             ;   in Loop: Header=BB4_6458 Depth=2
	s_delay_alu instid0(VALU_DEP_2) | instskip(SKIP_1) | instid1(VALU_DEP_1)
	v_cmp_lt_u64_e32 vcc_lo, 0xffffff, v[52:53]
	v_add_nc_u32_e32 v10, 15, v15
	v_cndmask_b32_e32 v14, v25, v10, vcc_lo
	v_cndmask_b32_e64 v10, 0, 1, vcc_lo
	s_delay_alu instid0(VALU_DEP_1)
	v_lshrrev_b64 v[10:11], v10, v[52:53]
; %bb.6981:                             ;   in Loop: Header=BB4_6458 Depth=2
	s_and_not1_saveexec_b32 s10, s10
; %bb.6982:                             ;   in Loop: Header=BB4_6458 Depth=2
	v_mov_b64_e32 v[10:11], v[52:53]
	v_bfe_u32 v14, v52, 23, 1
; %bb.6983:                             ;   in Loop: Header=BB4_6458 Depth=2
	s_or_b32 exec_lo, exec_lo, s10
	s_delay_alu instid0(VALU_DEP_2) | instskip(NEXT) | instid1(VALU_DEP_2)
	v_lshrrev_b64 v[10:11], 21, v[10:11]
	v_cmp_gt_i32_e32 vcc_lo, 32, v14
	v_min_i32_e32 v15, 31, v14
	v_cmp_eq_u32_e64 s10, 0, v14
	s_delay_alu instid0(VALU_DEP_4) | instskip(NEXT) | instid1(VALU_DEP_3)
	v_cndmask_b32_e32 v11, 0, v11, vcc_lo
	v_dual_cndmask_b32 v10, 3, v10 :: v_dual_lshlrev_b32 v15, 2, v15
	s_delay_alu instid0(VALU_DEP_1) | instskip(NEXT) | instid1(VALU_DEP_2)
	v_and_b32_e32 v15, 0xfc, v15
	v_cmp_eq_u64_e32 vcc_lo, 0, v[10:11]
	s_delay_alu instid0(VALU_DEP_2)
	v_and_or_b32 v10, v10, 3, v15
	s_and_b32 s10, s10, vcc_lo
	s_delay_alu instid0(VALU_DEP_1) | instid1(SALU_CYCLE_1)
	v_cndmask_b32_e64 v10, v10, 0, s10
	s_delay_alu instid0(VALU_DEP_1)
	v_or_b32_e32 v114, v10, v24
.LBB4_6984:                             ;   in Loop: Header=BB4_6458 Depth=2
	s_or_b32 exec_lo, exec_lo, s13
                                        ; implicit-def: $vgpr24
.LBB4_6985:                             ;   in Loop: Header=BB4_6458 Depth=2
	s_and_not1_saveexec_b32 s10, s12
; %bb.6986:                             ;   in Loop: Header=BB4_6458 Depth=2
	v_or_b32_e32 v114, 0x7b, v24
; %bb.6987:                             ;   in Loop: Header=BB4_6458 Depth=2
	s_or_b32 exec_lo, exec_lo, s10
                                        ; implicit-def: $vgpr11
                                        ; implicit-def: $vgpr10
.LBB4_6988:                             ;   in Loop: Header=BB4_6458 Depth=2
	s_and_not1_saveexec_b32 s10, s11
	s_cbranch_execz .LBB4_6994
; %bb.6989:                             ;   in Loop: Header=BB4_6458 Depth=2
	s_mov_b32 s11, exec_lo
                                        ; implicit-def: $vgpr114
	v_cmpx_ne_u64_e32 0, v[52:53]
	s_xor_b32 s11, exec_lo, s11
; %bb.6990:                             ;   in Loop: Header=BB4_6458 Depth=2
	v_or_b32_e32 v114, 0x7f, v10
                                        ; implicit-def: $vgpr11
; %bb.6991:                             ;   in Loop: Header=BB4_6458 Depth=2
	s_and_not1_saveexec_b32 s11, s11
; %bb.6992:                             ;   in Loop: Header=BB4_6458 Depth=2
	v_cmp_lt_i32_e32 vcc_lo, -1, v11
	v_cndmask_b32_e32 v114, 0xfc, v110, vcc_lo
; %bb.6993:                             ;   in Loop: Header=BB4_6458 Depth=2
	s_or_b32 exec_lo, exec_lo, s11
.LBB4_6994:                             ;   in Loop: Header=BB4_6458 Depth=2
	s_delay_alu instid0(SALU_CYCLE_1) | instskip(SKIP_4) | instid1(VALU_DEP_3)
	s_or_b32 exec_lo, exec_lo, s10
	v_bfe_u32 v11, v16, 16, 2
	v_dual_lshrrev_b32 v24, 16, v16 :: v_dual_lshlrev_b32 v52, 8, v16
	v_and_b32_e32 v15, 0x7c0000, v16
	s_mov_b32 s13, -1
	v_clz_i32_u32_e32 v14, v11
	s_delay_alu instid0(VALU_DEP_3) | instskip(NEXT) | instid1(VALU_DEP_3)
	v_bfe_i32 v115, v24, 0, 8
	v_cmp_eq_u32_e64 s10, 0x7c0000, v15
	v_and_or_b32 v15, 0x80000000, v52, s27
	s_delay_alu instid0(VALU_DEP_4) | instskip(SKIP_3) | instid1(VALU_DEP_4)
	v_min_u32_e32 v25, 32, v14
	v_lshrrev_b32_e32 v10, 16, v12
	v_cmp_lt_i16_e32 vcc_lo, -1, v115
	v_bfe_u32 v14, v16, 18, 5
	v_subrev_nc_u32_e32 v117, 29, v25
	s_delay_alu instid0(VALU_DEP_2) | instskip(NEXT) | instid1(VALU_DEP_2)
	v_cmp_eq_u32_e64 s11, 0, v14
	v_lshlrev_b64_e32 v[118:119], v117, v[24:25]
	v_cndmask_b32_e32 v24, 0xff800000, v109, vcc_lo
	v_sub_nc_u32_e32 v25, 30, v25
	v_and_b32_e32 v116, 0xff, v10
	v_cmp_eq_u32_e32 vcc_lo, 0, v11
                                        ; implicit-def: $vgpr117
	v_and_b32_e32 v52, 3, v118
	s_delay_alu instid0(VALU_DEP_3)
	v_cmp_ne_u16_e64 s12, 0, v116
	v_cndmask_b32_e32 v24, 0x7f800001, v24, vcc_lo
	s_and_b32 vcc_lo, exec_lo, s44
	s_cbranch_vccz .LBB4_7012
; %bb.6995:                             ;   in Loop: Header=BB4_6458 Depth=2
	v_mov_b32_e32 v117, 0
	s_and_saveexec_b32 s13, s12
	s_cbranch_execz .LBB4_7005
; %bb.6996:                             ;   in Loop: Header=BB4_6458 Depth=2
	v_bfrev_b32_e32 v117, 1
	s_mov_b32 s14, exec_lo
	v_cmpx_ne_u16_e32 0x80, v116
	s_cbranch_execz .LBB4_7004
; %bb.6997:                             ;   in Loop: Header=BB4_6458 Depth=2
	v_and_b32_e32 v117, 0x7c0000, v12
	v_bfe_u32 v118, v12, 16, 2
	s_delay_alu instid0(VALU_DEP_2) | instskip(SKIP_1) | instid1(SALU_CYCLE_1)
	v_cmp_ne_u32_e32 vcc_lo, 0x7c0000, v117
                                        ; implicit-def: $vgpr117
	s_and_saveexec_b32 s45, vcc_lo
	s_xor_b32 s45, exec_lo, s45
	s_cbranch_execz .LBB4_7001
; %bb.6998:                             ;   in Loop: Header=BB4_6458 Depth=2
	v_bfe_u32 v117, v12, 18, 5
	s_mov_b32 s46, exec_lo
	s_delay_alu instid0(VALU_DEP_1)
	v_cmpx_eq_u32_e32 0, v117
; %bb.6999:                             ;   in Loop: Header=BB4_6458 Depth=2
	v_clz_i32_u32_e32 v117, v118
	s_delay_alu instid0(VALU_DEP_1) | instskip(NEXT) | instid1(VALU_DEP_1)
	v_min_u32_e32 v117, 32, v117
	v_subrev_nc_u32_e32 v118, 29, v117
	s_delay_alu instid0(VALU_DEP_1) | instskip(NEXT) | instid1(VALU_DEP_1)
	v_lshlrev_b64_e32 v[118:119], v118, v[10:11]
	v_dual_sub_nc_u32 v117, 30, v117 :: v_dual_bitop2_b32 v118, 3, v118 bitop3:0x40
; %bb.7000:                             ;   in Loop: Header=BB4_6458 Depth=2
	s_or_b32 exec_lo, exec_lo, s46
	v_lshlrev_b32_e32 v119, 24, v10
	s_delay_alu instid0(VALU_DEP_1) | instskip(NEXT) | instid1(VALU_DEP_1)
	v_and_b32_e32 v119, 0x80000000, v119
	v_lshl_add_u32 v117, v117, 23, v119
	s_delay_alu instid0(VALU_DEP_1) | instskip(NEXT) | instid1(VALU_DEP_1)
	v_lshl_or_b32 v117, v118, 21, v117
                                        ; implicit-def: $vgpr118
	v_add_nc_u32_e32 v117, 0x38000000, v117
.LBB4_7001:                             ;   in Loop: Header=BB4_6458 Depth=2
	s_and_not1_saveexec_b32 s45, s45
; %bb.7002:                             ;   in Loop: Header=BB4_6458 Depth=2
	v_bfe_i32 v117, v10, 0, 8
	s_delay_alu instid0(VALU_DEP_1) | instskip(SKIP_2) | instid1(VALU_DEP_2)
	v_cmp_lt_i16_e32 vcc_lo, -1, v117
	v_cndmask_b32_e32 v117, 0xff800000, v109, vcc_lo
	v_cmp_eq_u32_e32 vcc_lo, 0, v118
	v_cndmask_b32_e32 v117, 0x7f800001, v117, vcc_lo
; %bb.7003:                             ;   in Loop: Header=BB4_6458 Depth=2
	s_or_b32 exec_lo, exec_lo, s45
.LBB4_7004:                             ;   in Loop: Header=BB4_6458 Depth=2
	s_delay_alu instid0(SALU_CYCLE_1)
	s_or_b32 exec_lo, exec_lo, s14
.LBB4_7005:                             ;   in Loop: Header=BB4_6458 Depth=2
	s_delay_alu instid0(SALU_CYCLE_1) | instskip(SKIP_3) | instid1(VALU_DEP_1)
	s_or_b32 exec_lo, exec_lo, s13
	v_and_b32_e32 v119, 0xff, v115
	s_mov_b32 s13, 0
	s_mov_b32 s14, exec_lo
	v_cmpx_lt_i16_e32 0x7f, v119
	s_xor_b32 s14, exec_lo, s14
	s_cbranch_execz .LBB4_7337
; %bb.7006:                             ;   in Loop: Header=BB4_6458 Depth=2
	s_mov_b32 s13, -1
	s_mov_b32 s45, exec_lo
	v_cmpx_eq_u16_e32 0x80, v119
; %bb.7007:                             ;   in Loop: Header=BB4_6458 Depth=2
	s_xor_b32 s13, exec_lo, -1
; %bb.7008:                             ;   in Loop: Header=BB4_6458 Depth=2
	s_or_b32 exec_lo, exec_lo, s45
	s_delay_alu instid0(SALU_CYCLE_1)
	s_and_b32 s13, s13, exec_lo
                                        ; implicit-def: $vgpr119
	s_or_saveexec_b32 s14, s14
	v_bfrev_b32_e32 v118, 1
	s_xor_b32 exec_lo, exec_lo, s14
	s_cbranch_execnz .LBB4_7338
.LBB4_7009:                             ;   in Loop: Header=BB4_6458 Depth=2
	s_or_b32 exec_lo, exec_lo, s14
	s_and_saveexec_b32 s14, s13
.LBB4_7010:                             ;   in Loop: Header=BB4_6458 Depth=2
	v_dual_cndmask_b32 v118, v14, v25, s11 :: v_dual_cndmask_b32 v119, v11, v52, s11
	s_delay_alu instid0(VALU_DEP_1) | instskip(NEXT) | instid1(VALU_DEP_1)
	v_lshl_add_u32 v118, v118, 23, v15
	v_lshl_or_b32 v118, v119, 21, v118
	s_delay_alu instid0(VALU_DEP_1)
	v_cndmask_b32_e64 v118, v118, v24, s10
.LBB4_7011:                             ;   in Loop: Header=BB4_6458 Depth=2
	s_or_b32 exec_lo, exec_lo, s14
	s_delay_alu instid0(VALU_DEP_1) | instskip(SKIP_1) | instid1(VALU_DEP_1)
	v_dual_max_num_f32 v118, v118, v118 :: v_dual_max_num_f32 v117, v117, v117
	s_mov_b32 s13, 0
	v_max_num_f32_e32 v117, v117, v118
.LBB4_7012:                             ;   in Loop: Header=BB4_6458 Depth=2
	s_and_b32 vcc_lo, exec_lo, s13
	s_cbranch_vccz .LBB4_7030
; %bb.7013:                             ;   in Loop: Header=BB4_6458 Depth=2
	v_mov_b32_e32 v117, 0
	s_and_saveexec_b32 s13, s12
	s_cbranch_execz .LBB4_7023
; %bb.7014:                             ;   in Loop: Header=BB4_6458 Depth=2
	v_bfrev_b32_e32 v117, 1
	s_mov_b32 s12, exec_lo
	v_cmpx_ne_u16_e32 0x80, v116
	s_cbranch_execz .LBB4_7022
; %bb.7015:                             ;   in Loop: Header=BB4_6458 Depth=2
	v_and_b32_e32 v117, 0x7c0000, v12
	v_bfe_u32 v116, v12, 16, 2
	s_delay_alu instid0(VALU_DEP_2) | instskip(SKIP_1) | instid1(SALU_CYCLE_1)
	v_cmp_ne_u32_e32 vcc_lo, 0x7c0000, v117
                                        ; implicit-def: $vgpr117
	s_and_saveexec_b32 s14, vcc_lo
	s_xor_b32 s14, exec_lo, s14
	s_cbranch_execz .LBB4_7019
; %bb.7016:                             ;   in Loop: Header=BB4_6458 Depth=2
	v_bfe_u32 v117, v12, 18, 5
	s_mov_b32 s45, exec_lo
	s_delay_alu instid0(VALU_DEP_1)
	v_cmpx_eq_u32_e32 0, v117
; %bb.7017:                             ;   in Loop: Header=BB4_6458 Depth=2
	v_clz_i32_u32_e32 v116, v116
	s_delay_alu instid0(VALU_DEP_1) | instskip(NEXT) | instid1(VALU_DEP_1)
	v_min_u32_e32 v118, 32, v116
	v_subrev_nc_u32_e32 v116, 29, v118
	s_delay_alu instid0(VALU_DEP_1) | instskip(NEXT) | instid1(VALU_DEP_1)
	v_lshlrev_b64_e32 v[116:117], v116, v[10:11]
	v_dual_sub_nc_u32 v117, 30, v118 :: v_dual_bitop2_b32 v116, 3, v116 bitop3:0x40
; %bb.7018:                             ;   in Loop: Header=BB4_6458 Depth=2
	s_or_b32 exec_lo, exec_lo, s45
	v_lshlrev_b32_e32 v10, 24, v10
	s_delay_alu instid0(VALU_DEP_1) | instskip(NEXT) | instid1(VALU_DEP_1)
	v_and_b32_e32 v10, 0x80000000, v10
	v_lshl_add_u32 v10, v117, 23, v10
	s_delay_alu instid0(VALU_DEP_1) | instskip(NEXT) | instid1(VALU_DEP_1)
	v_lshl_or_b32 v10, v116, 21, v10
                                        ; implicit-def: $vgpr116
	v_add_nc_u32_e32 v117, 0x38000000, v10
                                        ; implicit-def: $vgpr10
.LBB4_7019:                             ;   in Loop: Header=BB4_6458 Depth=2
	s_and_not1_saveexec_b32 s14, s14
; %bb.7020:                             ;   in Loop: Header=BB4_6458 Depth=2
	v_bfe_i32 v10, v10, 0, 8
	s_delay_alu instid0(VALU_DEP_1) | instskip(SKIP_2) | instid1(VALU_DEP_2)
	v_cmp_lt_i16_e32 vcc_lo, -1, v10
	v_cndmask_b32_e32 v10, 0xff800000, v109, vcc_lo
	v_cmp_eq_u32_e32 vcc_lo, 0, v116
	v_cndmask_b32_e32 v117, 0x7f800001, v10, vcc_lo
; %bb.7021:                             ;   in Loop: Header=BB4_6458 Depth=2
	s_or_b32 exec_lo, exec_lo, s14
.LBB4_7022:                             ;   in Loop: Header=BB4_6458 Depth=2
	s_delay_alu instid0(SALU_CYCLE_1)
	s_or_b32 exec_lo, exec_lo, s12
.LBB4_7023:                             ;   in Loop: Header=BB4_6458 Depth=2
	s_delay_alu instid0(SALU_CYCLE_1) | instskip(SKIP_3) | instid1(VALU_DEP_1)
	s_or_b32 exec_lo, exec_lo, s13
	v_and_b32_e32 v115, 0xff, v115
	s_mov_b32 s12, 0
	s_mov_b32 s13, exec_lo
	v_cmpx_lt_i16_e32 0x7f, v115
	s_xor_b32 s13, exec_lo, s13
	s_cbranch_execz .LBB4_7339
; %bb.7024:                             ;   in Loop: Header=BB4_6458 Depth=2
	s_mov_b32 s12, -1
	s_mov_b32 s14, exec_lo
	v_cmpx_eq_u16_e32 0x80, v115
; %bb.7025:                             ;   in Loop: Header=BB4_6458 Depth=2
	s_xor_b32 s12, exec_lo, -1
; %bb.7026:                             ;   in Loop: Header=BB4_6458 Depth=2
	s_or_b32 exec_lo, exec_lo, s14
	s_delay_alu instid0(SALU_CYCLE_1)
	s_and_b32 s12, s12, exec_lo
                                        ; implicit-def: $vgpr115
	s_or_saveexec_b32 s13, s13
	v_bfrev_b32_e32 v10, 1
	s_xor_b32 exec_lo, exec_lo, s13
	s_cbranch_execnz .LBB4_7340
.LBB4_7027:                             ;   in Loop: Header=BB4_6458 Depth=2
	s_or_b32 exec_lo, exec_lo, s13
	s_and_saveexec_b32 s13, s12
.LBB4_7028:                             ;   in Loop: Header=BB4_6458 Depth=2
	v_dual_cndmask_b32 v10, v14, v25, s11 :: v_dual_cndmask_b32 v11, v11, v52, s11
	s_delay_alu instid0(VALU_DEP_1) | instskip(NEXT) | instid1(VALU_DEP_1)
	v_lshl_add_u32 v10, v10, 23, v15
	v_lshl_or_b32 v10, v11, 21, v10
	s_delay_alu instid0(VALU_DEP_1)
	v_cndmask_b32_e64 v10, v10, v24, s10
.LBB4_7029:                             ;   in Loop: Header=BB4_6458 Depth=2
	s_or_b32 exec_lo, exec_lo, s13
	s_delay_alu instid0(VALU_DEP_1) | instskip(NEXT) | instid1(VALU_DEP_1)
	v_dual_max_num_f32 v10, v10, v10 :: v_dual_max_num_f32 v11, v117, v117
	v_min_num_f32_e32 v117, v11, v10
.LBB4_7030:                             ;   in Loop: Header=BB4_6458 Depth=2
	s_delay_alu instid0(VALU_DEP_1) | instskip(SKIP_2) | instid1(VALU_DEP_2)
	v_and_b32_e32 v10, 0x7f800000, v117
	v_mov_b32_e32 v11, v53
	v_and_b32_e32 v52, 0x7fffff, v117
                                        ; implicit-def: $vgpr115
	v_cmp_ne_u64_e32 vcc_lo, 0x7f800000, v[10:11]
	v_lshrrev_b32_e32 v10, 24, v117
	s_and_saveexec_b32 s10, vcc_lo
	s_delay_alu instid0(SALU_CYCLE_1)
	s_xor_b32 s11, exec_lo, s10
	s_cbranch_execz .LBB4_7044
; %bb.7031:                             ;   in Loop: Header=BB4_6458 Depth=2
	v_and_b32_e32 v14, 0x7fffffff, v117
	v_mov_b32_e32 v15, v53
	v_and_b32_e32 v24, 0x80, v10
                                        ; implicit-def: $vgpr115
	s_mov_b32 s10, exec_lo
	s_delay_alu instid0(VALU_DEP_2)
	v_cmpx_gt_u64_e32 0x47600001, v[14:15]
	s_xor_b32 s12, exec_lo, s10
	s_cbranch_execz .LBB4_7041
; %bb.7032:                             ;   in Loop: Header=BB4_6458 Depth=2
	v_mov_b32_e32 v115, 0
	s_mov_b32 s13, exec_lo
	v_cmpx_ne_u32_e32 0, v117
	s_cbranch_execz .LBB4_7040
; %bb.7033:                             ;   in Loop: Header=BB4_6458 Depth=2
	v_bfe_u32 v25, v117, 23, 8
	v_or_b32_e32 v14, 0x800000, v52
	s_delay_alu instid0(VALU_DEP_2) | instskip(SKIP_1) | instid1(VALU_DEP_2)
	v_sub_nc_u32_e32 v10, 0x71, v25
	v_cmp_gt_u32_e32 vcc_lo, 0x72, v25
	v_cndmask_b32_e32 v10, 0, v10, vcc_lo
	v_cmp_eq_u32_e32 vcc_lo, 0, v25
	s_delay_alu instid0(VALU_DEP_2) | instskip(NEXT) | instid1(VALU_DEP_1)
	v_cndmask_b32_e64 v115, v10, 0x70, vcc_lo
	v_dual_cndmask_b32 v52, v14, v52, vcc_lo :: v_dual_add_nc_u32 v10, 21, v115
	v_add_nc_u32_e32 v15, 20, v115
	s_delay_alu instid0(VALU_DEP_2) | instskip(NEXT) | instid1(VALU_DEP_2)
	v_lshlrev_b64_e64 v[10:11], v10, -1
	v_lshlrev_b64_e64 v[14:15], v15, 1
	s_delay_alu instid0(VALU_DEP_2) | instskip(NEXT) | instid1(VALU_DEP_3)
	v_bfi_b32 v117, v11, 0, 0
	v_bfi_b32 v116, v10, 0, v52
	v_lshrrev_b64 v[10:11], v115, v[52:53]
	s_delay_alu instid0(VALU_DEP_2) | instskip(NEXT) | instid1(VALU_DEP_2)
	v_cmp_eq_u64_e64 s10, v[116:117], v[14:15]
	v_mov_b64_e32 v[14:15], v[10:11]
	s_and_saveexec_b32 s14, s10
; %bb.7034:                             ;   in Loop: Header=BB4_6458 Depth=2
	v_bfe_u32 v52, v10, 21, 1
	s_delay_alu instid0(VALU_DEP_1) | instskip(NEXT) | instid1(VALU_DEP_1)
	v_add_nc_u64_e32 v[14:15], v[10:11], v[52:53]
	v_add_nc_u64_e32 v[14:15], -1, v[14:15]
; %bb.7035:                             ;   in Loop: Header=BB4_6458 Depth=2
	s_or_b32 exec_lo, exec_lo, s14
	v_add_nc_u32_e32 v11, 0xffffff81, v25
	v_lshrrev_b32_e32 v15, 23, v10
	s_mov_b32 s10, exec_lo
	s_delay_alu instid0(VALU_DEP_2) | instskip(NEXT) | instid1(VALU_DEP_1)
	v_cndmask_b32_e64 v11, v11, 0xffffff82, vcc_lo
	v_add3_u32 v15, v115, v11, v15
	v_and_b32_e32 v11, 0x1fffff, v14
                                        ; implicit-def: $vgpr14
	s_delay_alu instid0(VALU_DEP_1) | instskip(NEXT) | instid1(VALU_DEP_1)
	v_dual_add_nc_u32 v25, 14, v15 :: v_dual_add_nc_u32 v52, v11, v10
                                        ; implicit-def: $vgpr10_vgpr11
	v_cmpx_ne_u32_e32 0, v25
	s_xor_b32 s10, exec_lo, s10
; %bb.7036:                             ;   in Loop: Header=BB4_6458 Depth=2
	s_delay_alu instid0(VALU_DEP_2) | instskip(SKIP_1) | instid1(VALU_DEP_1)
	v_cmp_lt_u64_e32 vcc_lo, 0xffffff, v[52:53]
	v_add_nc_u32_e32 v10, 15, v15
	v_cndmask_b32_e32 v14, v25, v10, vcc_lo
	v_cndmask_b32_e64 v10, 0, 1, vcc_lo
	s_delay_alu instid0(VALU_DEP_1)
	v_lshrrev_b64 v[10:11], v10, v[52:53]
; %bb.7037:                             ;   in Loop: Header=BB4_6458 Depth=2
	s_and_not1_saveexec_b32 s10, s10
; %bb.7038:                             ;   in Loop: Header=BB4_6458 Depth=2
	v_mov_b64_e32 v[10:11], v[52:53]
	v_bfe_u32 v14, v52, 23, 1
; %bb.7039:                             ;   in Loop: Header=BB4_6458 Depth=2
	s_or_b32 exec_lo, exec_lo, s10
	s_delay_alu instid0(VALU_DEP_2) | instskip(NEXT) | instid1(VALU_DEP_2)
	v_lshrrev_b64 v[10:11], 21, v[10:11]
	v_cmp_gt_i32_e32 vcc_lo, 32, v14
	v_min_i32_e32 v15, 31, v14
	v_cmp_eq_u32_e64 s10, 0, v14
	s_delay_alu instid0(VALU_DEP_4) | instskip(NEXT) | instid1(VALU_DEP_3)
	v_cndmask_b32_e32 v11, 0, v11, vcc_lo
	v_dual_cndmask_b32 v10, 3, v10 :: v_dual_lshlrev_b32 v15, 2, v15
	s_delay_alu instid0(VALU_DEP_1) | instskip(NEXT) | instid1(VALU_DEP_2)
	v_and_b32_e32 v15, 0xfc, v15
	v_cmp_eq_u64_e32 vcc_lo, 0, v[10:11]
	s_delay_alu instid0(VALU_DEP_2)
	v_and_or_b32 v10, v10, 3, v15
	s_and_b32 s10, s10, vcc_lo
	s_delay_alu instid0(VALU_DEP_1) | instid1(SALU_CYCLE_1)
	v_cndmask_b32_e64 v10, v10, 0, s10
	s_delay_alu instid0(VALU_DEP_1)
	v_or_b32_e32 v115, v10, v24
.LBB4_7040:                             ;   in Loop: Header=BB4_6458 Depth=2
	s_or_b32 exec_lo, exec_lo, s13
                                        ; implicit-def: $vgpr24
.LBB4_7041:                             ;   in Loop: Header=BB4_6458 Depth=2
	s_and_not1_saveexec_b32 s10, s12
; %bb.7042:                             ;   in Loop: Header=BB4_6458 Depth=2
	v_or_b32_e32 v115, 0x7b, v24
; %bb.7043:                             ;   in Loop: Header=BB4_6458 Depth=2
	s_or_b32 exec_lo, exec_lo, s10
                                        ; implicit-def: $vgpr117
                                        ; implicit-def: $vgpr10
.LBB4_7044:                             ;   in Loop: Header=BB4_6458 Depth=2
	s_and_not1_saveexec_b32 s10, s11
	s_cbranch_execz .LBB4_7050
; %bb.7045:                             ;   in Loop: Header=BB4_6458 Depth=2
	s_mov_b32 s11, exec_lo
                                        ; implicit-def: $vgpr115
	v_cmpx_ne_u64_e32 0, v[52:53]
	s_xor_b32 s11, exec_lo, s11
; %bb.7046:                             ;   in Loop: Header=BB4_6458 Depth=2
	v_or_b32_e32 v115, 0x7f, v10
                                        ; implicit-def: $vgpr117
; %bb.7047:                             ;   in Loop: Header=BB4_6458 Depth=2
	s_and_not1_saveexec_b32 s11, s11
; %bb.7048:                             ;   in Loop: Header=BB4_6458 Depth=2
	v_cmp_lt_i32_e32 vcc_lo, -1, v117
	v_cndmask_b32_e32 v115, 0xfc, v110, vcc_lo
; %bb.7049:                             ;   in Loop: Header=BB4_6458 Depth=2
	s_or_b32 exec_lo, exec_lo, s11
.LBB4_7050:                             ;   in Loop: Header=BB4_6458 Depth=2
	s_delay_alu instid0(SALU_CYCLE_1)
	s_or_b32 exec_lo, exec_lo, s10
	v_bfe_u32 v11, v16, 24, 2
	v_lshrrev_b32_e32 v24, 24, v16
	v_cmp_lt_i32_e32 vcc_lo, -1, v16
	v_and_b32_e32 v52, 0x7c000000, v16
	v_cmp_gt_u32_e64 s10, 0x1000000, v16
	v_clz_i32_u32_e32 v14, v11
	v_and_or_b32 v15, 0x80000000, v16, s27
	v_cndmask_b32_e32 v118, 0xff800000, v109, vcc_lo
	v_cmp_eq_u32_e32 vcc_lo, 0, v11
	v_cmp_lt_u32_e64 s14, 0xffffff, v12
	v_min_u32_e32 v25, 32, v14
	v_bfe_u32 v14, v16, 26, 5
	v_lshrrev_b32_e32 v10, 24, v12
	v_cmp_eq_u32_e64 s11, 0x80, v24
	v_cmp_eq_u32_e64 s12, 0x7c000000, v52
	v_subrev_nc_u32_e32 v116, 29, v25
	v_cmp_eq_u32_e64 s13, 0, v14
	s_mov_b32 s45, -1
	v_lshlrev_b64_e32 v[116:117], v116, v[24:25]
	v_dual_cndmask_b32 v24, 0x7f800001, v118 :: v_dual_sub_nc_u32 v25, 30, v25
	s_and_b32 vcc_lo, exec_lo, s44
                                        ; implicit-def: $vgpr117
	s_delay_alu instid0(VALU_DEP_2)
	v_and_b32_e32 v52, 3, v116
	s_cbranch_vccz .LBB4_7062
; %bb.7051:                             ;   in Loop: Header=BB4_6458 Depth=2
	v_mov_b32_e32 v116, 0
	s_and_saveexec_b32 s45, s14
	s_cbranch_execz .LBB4_7061
; %bb.7052:                             ;   in Loop: Header=BB4_6458 Depth=2
	v_bfrev_b32_e32 v116, 1
	s_mov_b32 s46, exec_lo
	v_cmpx_ne_u32_e32 0x80, v10
	s_cbranch_execz .LBB4_7060
; %bb.7053:                             ;   in Loop: Header=BB4_6458 Depth=2
	v_and_b32_e32 v116, 0x7c000000, v12
	v_bfe_u32 v117, v12, 24, 2
	s_delay_alu instid0(VALU_DEP_2) | instskip(SKIP_1) | instid1(SALU_CYCLE_1)
	v_cmp_ne_u32_e32 vcc_lo, 0x7c000000, v116
                                        ; implicit-def: $vgpr116
	s_and_saveexec_b32 s47, vcc_lo
	s_xor_b32 s47, exec_lo, s47
	s_cbranch_execz .LBB4_7057
; %bb.7054:                             ;   in Loop: Header=BB4_6458 Depth=2
	v_bfe_u32 v116, v12, 26, 5
	s_mov_b32 s56, exec_lo
	s_delay_alu instid0(VALU_DEP_1)
	v_cmpx_eq_u32_e32 0, v116
; %bb.7055:                             ;   in Loop: Header=BB4_6458 Depth=2
	v_clz_i32_u32_e32 v116, v117
	s_delay_alu instid0(VALU_DEP_1) | instskip(NEXT) | instid1(VALU_DEP_1)
	v_min_u32_e32 v116, 32, v116
	v_subrev_nc_u32_e32 v117, 29, v116
	s_delay_alu instid0(VALU_DEP_1) | instskip(NEXT) | instid1(VALU_DEP_1)
	v_lshlrev_b64_e32 v[118:119], v117, v[10:11]
	v_dual_sub_nc_u32 v116, 30, v116 :: v_dual_bitop2_b32 v117, 3, v118 bitop3:0x40
; %bb.7056:                             ;   in Loop: Header=BB4_6458 Depth=2
	s_or_b32 exec_lo, exec_lo, s56
	v_and_b32_e32 v118, 0x80000000, v12
	s_delay_alu instid0(VALU_DEP_1) | instskip(NEXT) | instid1(VALU_DEP_1)
	v_lshl_add_u32 v116, v116, 23, v118
	v_lshl_or_b32 v116, v117, 21, v116
                                        ; implicit-def: $vgpr117
	s_delay_alu instid0(VALU_DEP_1)
	v_add_nc_u32_e32 v116, 0x38000000, v116
.LBB4_7057:                             ;   in Loop: Header=BB4_6458 Depth=2
	s_and_not1_saveexec_b32 s47, s47
; %bb.7058:                             ;   in Loop: Header=BB4_6458 Depth=2
	v_cmp_lt_i32_e32 vcc_lo, -1, v12
	v_cndmask_b32_e32 v116, 0xff800000, v109, vcc_lo
	v_cmp_eq_u32_e32 vcc_lo, 0, v117
	s_delay_alu instid0(VALU_DEP_2)
	v_cndmask_b32_e32 v116, 0x7f800001, v116, vcc_lo
; %bb.7059:                             ;   in Loop: Header=BB4_6458 Depth=2
	s_or_b32 exec_lo, exec_lo, s47
.LBB4_7060:                             ;   in Loop: Header=BB4_6458 Depth=2
	s_delay_alu instid0(SALU_CYCLE_1)
	s_or_b32 exec_lo, exec_lo, s46
.LBB4_7061:                             ;   in Loop: Header=BB4_6458 Depth=2
	s_delay_alu instid0(SALU_CYCLE_1) | instskip(SKIP_3) | instid1(VALU_DEP_2)
	s_or_b32 exec_lo, exec_lo, s45
	v_dual_cndmask_b32 v117, v14, v25, s13 :: v_dual_cndmask_b32 v118, v11, v52, s13
	s_mov_b32 s45, 0
	v_max_num_f32_e32 v116, v116, v116
	v_lshl_add_u32 v117, v117, 23, v15
	s_delay_alu instid0(VALU_DEP_1) | instskip(NEXT) | instid1(VALU_DEP_1)
	v_lshl_or_b32 v117, v118, 21, v117
	v_cndmask_b32_e64 v117, v117, v24, s12
	s_delay_alu instid0(VALU_DEP_1) | instskip(NEXT) | instid1(VALU_DEP_1)
	v_cndmask_b32_e64 v117, v117, 0x80000000, s11
	v_cndmask_b32_e64 v117, v117, 0, s10
	s_delay_alu instid0(VALU_DEP_1) | instskip(NEXT) | instid1(VALU_DEP_1)
	v_max_num_f32_e32 v117, v117, v117
	v_max_num_f32_e32 v117, v116, v117
.LBB4_7062:                             ;   in Loop: Header=BB4_6458 Depth=2
	s_and_b32 vcc_lo, exec_lo, s45
	s_cbranch_vccz .LBB4_7074
; %bb.7063:                             ;   in Loop: Header=BB4_6458 Depth=2
	v_mov_b32_e32 v116, 0
	s_and_saveexec_b32 s45, s14
	s_cbranch_execz .LBB4_7073
; %bb.7064:                             ;   in Loop: Header=BB4_6458 Depth=2
	v_bfrev_b32_e32 v116, 1
	s_mov_b32 s14, exec_lo
	v_cmpx_ne_u32_e32 0x80, v10
	s_cbranch_execz .LBB4_7072
; %bb.7065:                             ;   in Loop: Header=BB4_6458 Depth=2
	v_and_b32_e32 v116, 0x7c000000, v12
	v_bfe_u32 v117, v12, 24, 2
	s_delay_alu instid0(VALU_DEP_2) | instskip(SKIP_1) | instid1(SALU_CYCLE_1)
	v_cmp_ne_u32_e32 vcc_lo, 0x7c000000, v116
                                        ; implicit-def: $vgpr116
	s_and_saveexec_b32 s46, vcc_lo
	s_xor_b32 s46, exec_lo, s46
	s_cbranch_execz .LBB4_7069
; %bb.7066:                             ;   in Loop: Header=BB4_6458 Depth=2
	v_bfe_u32 v116, v12, 26, 5
	s_mov_b32 s47, exec_lo
	s_delay_alu instid0(VALU_DEP_1)
	v_cmpx_eq_u32_e32 0, v116
; %bb.7067:                             ;   in Loop: Header=BB4_6458 Depth=2
	v_clz_i32_u32_e32 v116, v117
	s_delay_alu instid0(VALU_DEP_1) | instskip(NEXT) | instid1(VALU_DEP_1)
	v_min_u32_e32 v116, 32, v116
	v_subrev_nc_u32_e32 v117, 29, v116
	s_delay_alu instid0(VALU_DEP_1) | instskip(NEXT) | instid1(VALU_DEP_1)
	v_lshlrev_b64_e32 v[118:119], v117, v[10:11]
	v_dual_sub_nc_u32 v116, 30, v116 :: v_dual_bitop2_b32 v117, 3, v118 bitop3:0x40
; %bb.7068:                             ;   in Loop: Header=BB4_6458 Depth=2
	s_or_b32 exec_lo, exec_lo, s47
	v_and_b32_e32 v10, 0x80000000, v12
	s_delay_alu instid0(VALU_DEP_1) | instskip(NEXT) | instid1(VALU_DEP_1)
	v_lshl_add_u32 v10, v116, 23, v10
	v_lshl_or_b32 v10, v117, 21, v10
                                        ; implicit-def: $vgpr117
	s_delay_alu instid0(VALU_DEP_1)
	v_add_nc_u32_e32 v116, 0x38000000, v10
.LBB4_7069:                             ;   in Loop: Header=BB4_6458 Depth=2
	s_and_not1_saveexec_b32 s46, s46
; %bb.7070:                             ;   in Loop: Header=BB4_6458 Depth=2
	v_cmp_lt_i32_e32 vcc_lo, -1, v12
	v_cndmask_b32_e32 v10, 0xff800000, v109, vcc_lo
	v_cmp_eq_u32_e32 vcc_lo, 0, v117
	s_delay_alu instid0(VALU_DEP_2)
	v_cndmask_b32_e32 v116, 0x7f800001, v10, vcc_lo
; %bb.7071:                             ;   in Loop: Header=BB4_6458 Depth=2
	s_or_b32 exec_lo, exec_lo, s46
.LBB4_7072:                             ;   in Loop: Header=BB4_6458 Depth=2
	s_delay_alu instid0(SALU_CYCLE_1)
	s_or_b32 exec_lo, exec_lo, s14
.LBB4_7073:                             ;   in Loop: Header=BB4_6458 Depth=2
	s_delay_alu instid0(SALU_CYCLE_1) | instskip(SKIP_1) | instid1(VALU_DEP_1)
	s_or_b32 exec_lo, exec_lo, s45
	v_dual_cndmask_b32 v10, v14, v25, s13 :: v_dual_cndmask_b32 v11, v11, v52, s13
	v_lshl_add_u32 v10, v10, 23, v15
	s_delay_alu instid0(VALU_DEP_1) | instskip(SKIP_1) | instid1(VALU_DEP_2)
	v_lshl_or_b32 v10, v11, 21, v10
	v_max_num_f32_e32 v11, v116, v116
	v_cndmask_b32_e64 v10, v10, v24, s12
	s_delay_alu instid0(VALU_DEP_1) | instskip(NEXT) | instid1(VALU_DEP_1)
	v_cndmask_b32_e64 v10, v10, 0x80000000, s11
	v_cndmask_b32_e64 v10, v10, 0, s10
	s_delay_alu instid0(VALU_DEP_1) | instskip(NEXT) | instid1(VALU_DEP_1)
	v_max_num_f32_e32 v10, v10, v10
	v_min_num_f32_e32 v117, v11, v10
.LBB4_7074:                             ;   in Loop: Header=BB4_6458 Depth=2
	s_delay_alu instid0(VALU_DEP_1) | instskip(SKIP_2) | instid1(VALU_DEP_2)
	v_and_b32_e32 v10, 0x7f800000, v117
	v_mov_b32_e32 v11, v53
	v_and_b32_e32 v52, 0x7fffff, v117
                                        ; implicit-def: $vgpr116
	v_cmp_ne_u64_e32 vcc_lo, 0x7f800000, v[10:11]
	v_lshrrev_b32_e32 v10, 24, v117
	s_and_saveexec_b32 s10, vcc_lo
	s_delay_alu instid0(SALU_CYCLE_1)
	s_xor_b32 s11, exec_lo, s10
	s_cbranch_execz .LBB4_7088
; %bb.7075:                             ;   in Loop: Header=BB4_6458 Depth=2
	v_and_b32_e32 v14, 0x7fffffff, v117
	v_mov_b32_e32 v15, v53
	v_and_b32_e32 v24, 0x80, v10
                                        ; implicit-def: $vgpr116
	s_mov_b32 s10, exec_lo
	s_delay_alu instid0(VALU_DEP_2)
	v_cmpx_gt_u64_e32 0x47600001, v[14:15]
	s_xor_b32 s12, exec_lo, s10
	s_cbranch_execz .LBB4_7085
; %bb.7076:                             ;   in Loop: Header=BB4_6458 Depth=2
	v_mov_b32_e32 v116, 0
	s_mov_b32 s13, exec_lo
	v_cmpx_ne_u32_e32 0, v117
	s_cbranch_execz .LBB4_7084
; %bb.7077:                             ;   in Loop: Header=BB4_6458 Depth=2
	v_bfe_u32 v25, v117, 23, 8
	v_or_b32_e32 v14, 0x800000, v52
	s_delay_alu instid0(VALU_DEP_2) | instskip(SKIP_1) | instid1(VALU_DEP_2)
	v_sub_nc_u32_e32 v10, 0x71, v25
	v_cmp_gt_u32_e32 vcc_lo, 0x72, v25
	v_cndmask_b32_e32 v10, 0, v10, vcc_lo
	v_cmp_eq_u32_e32 vcc_lo, 0, v25
	s_delay_alu instid0(VALU_DEP_2) | instskip(SKIP_1) | instid1(VALU_DEP_2)
	v_cndmask_b32_e64 v116, v10, 0x70, vcc_lo
	v_cndmask_b32_e32 v52, v14, v52, vcc_lo
	v_dual_add_nc_u32 v10, 21, v116 :: v_dual_add_nc_u32 v15, 20, v116
	s_delay_alu instid0(VALU_DEP_1) | instskip(NEXT) | instid1(VALU_DEP_2)
	v_lshlrev_b64_e64 v[10:11], v10, -1
	v_lshlrev_b64_e64 v[14:15], v15, 1
	s_delay_alu instid0(VALU_DEP_2) | instskip(NEXT) | instid1(VALU_DEP_3)
	v_bfi_b32 v119, v11, 0, 0
	v_bfi_b32 v118, v10, 0, v52
	v_lshrrev_b64 v[10:11], v116, v[52:53]
	s_delay_alu instid0(VALU_DEP_2) | instskip(NEXT) | instid1(VALU_DEP_2)
	v_cmp_eq_u64_e64 s10, v[118:119], v[14:15]
	v_mov_b64_e32 v[14:15], v[10:11]
	s_and_saveexec_b32 s14, s10
; %bb.7078:                             ;   in Loop: Header=BB4_6458 Depth=2
	v_bfe_u32 v52, v10, 21, 1
	s_delay_alu instid0(VALU_DEP_1) | instskip(NEXT) | instid1(VALU_DEP_1)
	v_add_nc_u64_e32 v[14:15], v[10:11], v[52:53]
	v_add_nc_u64_e32 v[14:15], -1, v[14:15]
; %bb.7079:                             ;   in Loop: Header=BB4_6458 Depth=2
	s_or_b32 exec_lo, exec_lo, s14
	v_add_nc_u32_e32 v11, 0xffffff81, v25
	v_lshrrev_b32_e32 v15, 23, v10
	s_mov_b32 s10, exec_lo
	s_delay_alu instid0(VALU_DEP_2) | instskip(NEXT) | instid1(VALU_DEP_1)
	v_cndmask_b32_e64 v11, v11, 0xffffff82, vcc_lo
	v_add3_u32 v15, v116, v11, v15
	v_and_b32_e32 v11, 0x1fffff, v14
                                        ; implicit-def: $vgpr14
	s_delay_alu instid0(VALU_DEP_1) | instskip(NEXT) | instid1(VALU_DEP_1)
	v_dual_add_nc_u32 v25, 14, v15 :: v_dual_add_nc_u32 v52, v11, v10
                                        ; implicit-def: $vgpr10_vgpr11
	v_cmpx_ne_u32_e32 0, v25
	s_xor_b32 s10, exec_lo, s10
; %bb.7080:                             ;   in Loop: Header=BB4_6458 Depth=2
	s_delay_alu instid0(VALU_DEP_2) | instskip(SKIP_1) | instid1(VALU_DEP_1)
	v_cmp_lt_u64_e32 vcc_lo, 0xffffff, v[52:53]
	v_add_nc_u32_e32 v10, 15, v15
	v_cndmask_b32_e32 v14, v25, v10, vcc_lo
	v_cndmask_b32_e64 v10, 0, 1, vcc_lo
	s_delay_alu instid0(VALU_DEP_1)
	v_lshrrev_b64 v[10:11], v10, v[52:53]
; %bb.7081:                             ;   in Loop: Header=BB4_6458 Depth=2
	s_and_not1_saveexec_b32 s10, s10
; %bb.7082:                             ;   in Loop: Header=BB4_6458 Depth=2
	v_mov_b64_e32 v[10:11], v[52:53]
	v_bfe_u32 v14, v52, 23, 1
; %bb.7083:                             ;   in Loop: Header=BB4_6458 Depth=2
	s_or_b32 exec_lo, exec_lo, s10
	s_delay_alu instid0(VALU_DEP_2) | instskip(NEXT) | instid1(VALU_DEP_2)
	v_lshrrev_b64 v[10:11], 21, v[10:11]
	v_cmp_gt_i32_e32 vcc_lo, 32, v14
	v_min_i32_e32 v15, 31, v14
	v_cmp_eq_u32_e64 s10, 0, v14
	s_delay_alu instid0(VALU_DEP_4) | instskip(NEXT) | instid1(VALU_DEP_3)
	v_cndmask_b32_e32 v11, 0, v11, vcc_lo
	v_dual_cndmask_b32 v10, 3, v10 :: v_dual_lshlrev_b32 v15, 2, v15
	s_delay_alu instid0(VALU_DEP_1) | instskip(NEXT) | instid1(VALU_DEP_2)
	v_and_b32_e32 v15, 0xfc, v15
	v_cmp_eq_u64_e32 vcc_lo, 0, v[10:11]
	s_delay_alu instid0(VALU_DEP_2)
	v_and_or_b32 v10, v10, 3, v15
	s_and_b32 s10, s10, vcc_lo
	s_delay_alu instid0(VALU_DEP_1) | instid1(SALU_CYCLE_1)
	v_cndmask_b32_e64 v10, v10, 0, s10
	s_delay_alu instid0(VALU_DEP_1)
	v_or_b32_e32 v116, v10, v24
.LBB4_7084:                             ;   in Loop: Header=BB4_6458 Depth=2
	s_or_b32 exec_lo, exec_lo, s13
                                        ; implicit-def: $vgpr24
.LBB4_7085:                             ;   in Loop: Header=BB4_6458 Depth=2
	s_and_not1_saveexec_b32 s10, s12
; %bb.7086:                             ;   in Loop: Header=BB4_6458 Depth=2
	v_or_b32_e32 v116, 0x7b, v24
; %bb.7087:                             ;   in Loop: Header=BB4_6458 Depth=2
	s_or_b32 exec_lo, exec_lo, s10
                                        ; implicit-def: $vgpr117
                                        ; implicit-def: $vgpr10
.LBB4_7088:                             ;   in Loop: Header=BB4_6458 Depth=2
	s_and_not1_saveexec_b32 s10, s11
	s_cbranch_execz .LBB4_7094
; %bb.7089:                             ;   in Loop: Header=BB4_6458 Depth=2
	s_mov_b32 s11, exec_lo
                                        ; implicit-def: $vgpr116
	v_cmpx_ne_u64_e32 0, v[52:53]
	s_xor_b32 s11, exec_lo, s11
; %bb.7090:                             ;   in Loop: Header=BB4_6458 Depth=2
	v_or_b32_e32 v116, 0x7f, v10
                                        ; implicit-def: $vgpr117
; %bb.7091:                             ;   in Loop: Header=BB4_6458 Depth=2
	s_and_not1_saveexec_b32 s11, s11
; %bb.7092:                             ;   in Loop: Header=BB4_6458 Depth=2
	v_cmp_lt_i32_e32 vcc_lo, -1, v117
	v_cndmask_b32_e32 v116, 0xfc, v110, vcc_lo
; %bb.7093:                             ;   in Loop: Header=BB4_6458 Depth=2
	s_or_b32 exec_lo, exec_lo, s11
.LBB4_7094:                             ;   in Loop: Header=BB4_6458 Depth=2
	s_delay_alu instid0(SALU_CYCLE_1) | instskip(SKIP_3) | instid1(VALU_DEP_3)
	s_or_b32 exec_lo, exec_lo, s10
	v_dual_mov_b32 v52, v13 :: v_dual_bitop2_b32 v14, 3, v17 bitop3:0x40
	v_bfe_i32 v118, v17, 0, 8
	v_dual_mov_b32 v10, v17 :: v_dual_mov_b32 v11, v53
	v_clz_i32_u32_e32 v15, v14
	v_and_b32_e32 v24, 0x7c, v17
	s_delay_alu instid0(VALU_DEP_4)
	v_cmp_lt_i16_e32 vcc_lo, -1, v118
	v_and_b32_e32 v119, 0xff, v13
	s_mov_b32 s13, -1
	v_min_u32_e32 v25, 32, v15
	v_bfe_u32 v15, v17, 2, 5
	v_cmp_eq_u32_e64 s10, 0x7c, v24
	v_cndmask_b32_e32 v24, 0xff800000, v109, vcc_lo
	v_cmp_eq_u32_e32 vcc_lo, 0, v14
	v_subrev_nc_u32_e32 v40, 29, v25
	v_lshlrev_b32_e32 v117, 24, v17
	v_cmp_eq_u32_e64 s11, 0, v15
	v_cmp_ne_u16_e64 s12, 0, v119
	v_cndmask_b32_e32 v24, 0x7f800001, v24, vcc_lo
	v_lshlrev_b64_e32 v[40:41], v40, v[10:11]
	v_and_or_b32 v11, 0x80000000, v117, s27
	v_sub_nc_u32_e32 v25, 30, v25
	s_and_b32 vcc_lo, exec_lo, s44
	s_delay_alu instid0(VALU_DEP_3)
	v_and_b32_e32 v117, 3, v40
                                        ; implicit-def: $vgpr40
	s_cbranch_vccz .LBB4_7112
; %bb.7095:                             ;   in Loop: Header=BB4_6458 Depth=2
	v_mov_b32_e32 v40, 0
	s_and_saveexec_b32 s13, s12
	s_cbranch_execz .LBB4_7105
; %bb.7096:                             ;   in Loop: Header=BB4_6458 Depth=2
	v_bfrev_b32_e32 v40, 1
	s_mov_b32 s14, exec_lo
	v_cmpx_ne_u16_e32 0x80, v119
	s_cbranch_execz .LBB4_7104
; %bb.7097:                             ;   in Loop: Header=BB4_6458 Depth=2
	v_and_b32_e32 v40, 0x7c, v13
	v_and_b32_e32 v41, 3, v13
	s_delay_alu instid0(VALU_DEP_2) | instskip(SKIP_1) | instid1(SALU_CYCLE_1)
	v_cmp_ne_u32_e32 vcc_lo, 0x7c, v40
                                        ; implicit-def: $vgpr40
	s_and_saveexec_b32 s45, vcc_lo
	s_xor_b32 s45, exec_lo, s45
	s_cbranch_execz .LBB4_7101
; %bb.7098:                             ;   in Loop: Header=BB4_6458 Depth=2
	v_bfe_u32 v40, v13, 2, 5
	s_mov_b32 s46, exec_lo
	s_delay_alu instid0(VALU_DEP_1)
	v_cmpx_eq_u32_e32 0, v40
; %bb.7099:                             ;   in Loop: Header=BB4_6458 Depth=2
	v_clz_i32_u32_e32 v40, v41
	s_delay_alu instid0(VALU_DEP_1) | instskip(NEXT) | instid1(VALU_DEP_1)
	v_min_u32_e32 v40, 32, v40
	v_subrev_nc_u32_e32 v41, 29, v40
	s_delay_alu instid0(VALU_DEP_1) | instskip(NEXT) | instid1(VALU_DEP_1)
	v_lshlrev_b64_e32 v[42:43], v41, v[52:53]
	v_dual_sub_nc_u32 v40, 30, v40 :: v_dual_bitop2_b32 v41, 3, v42 bitop3:0x40
; %bb.7100:                             ;   in Loop: Header=BB4_6458 Depth=2
	s_or_b32 exec_lo, exec_lo, s46
	v_lshlrev_b32_e32 v42, 24, v13
	s_delay_alu instid0(VALU_DEP_1) | instskip(NEXT) | instid1(VALU_DEP_1)
	v_and_b32_e32 v42, 0x80000000, v42
	v_lshl_add_u32 v40, v40, 23, v42
	s_delay_alu instid0(VALU_DEP_1) | instskip(NEXT) | instid1(VALU_DEP_1)
	v_lshl_or_b32 v40, v41, 21, v40
                                        ; implicit-def: $vgpr41
	v_add_nc_u32_e32 v40, 0x38000000, v40
.LBB4_7101:                             ;   in Loop: Header=BB4_6458 Depth=2
	s_and_not1_saveexec_b32 s45, s45
; %bb.7102:                             ;   in Loop: Header=BB4_6458 Depth=2
	v_bfe_i32 v40, v13, 0, 8
	s_delay_alu instid0(VALU_DEP_1) | instskip(SKIP_2) | instid1(VALU_DEP_2)
	v_cmp_lt_i16_e32 vcc_lo, -1, v40
	v_cndmask_b32_e32 v40, 0xff800000, v109, vcc_lo
	v_cmp_eq_u32_e32 vcc_lo, 0, v41
	v_cndmask_b32_e32 v40, 0x7f800001, v40, vcc_lo
; %bb.7103:                             ;   in Loop: Header=BB4_6458 Depth=2
	s_or_b32 exec_lo, exec_lo, s45
.LBB4_7104:                             ;   in Loop: Header=BB4_6458 Depth=2
	s_delay_alu instid0(SALU_CYCLE_1)
	s_or_b32 exec_lo, exec_lo, s14
.LBB4_7105:                             ;   in Loop: Header=BB4_6458 Depth=2
	s_delay_alu instid0(SALU_CYCLE_1) | instskip(SKIP_3) | instid1(VALU_DEP_1)
	s_or_b32 exec_lo, exec_lo, s13
	v_and_b32_e32 v42, 0xff, v118
	s_mov_b32 s13, 0
	s_mov_b32 s14, exec_lo
	v_cmpx_lt_i16_e32 0x7f, v42
	s_xor_b32 s14, exec_lo, s14
	s_cbranch_execz .LBB4_7341
; %bb.7106:                             ;   in Loop: Header=BB4_6458 Depth=2
	s_mov_b32 s13, -1
	s_mov_b32 s45, exec_lo
	v_cmpx_eq_u16_e32 0x80, v42
; %bb.7107:                             ;   in Loop: Header=BB4_6458 Depth=2
	s_xor_b32 s13, exec_lo, -1
; %bb.7108:                             ;   in Loop: Header=BB4_6458 Depth=2
	s_or_b32 exec_lo, exec_lo, s45
	s_delay_alu instid0(SALU_CYCLE_1)
	s_and_b32 s13, s13, exec_lo
                                        ; implicit-def: $vgpr42
	s_or_saveexec_b32 s14, s14
	v_bfrev_b32_e32 v41, 1
	s_xor_b32 exec_lo, exec_lo, s14
	s_cbranch_execnz .LBB4_7342
.LBB4_7109:                             ;   in Loop: Header=BB4_6458 Depth=2
	s_or_b32 exec_lo, exec_lo, s14
	s_and_saveexec_b32 s14, s13
.LBB4_7110:                             ;   in Loop: Header=BB4_6458 Depth=2
	v_cndmask_b32_e64 v41, v15, v25, s11
	v_cndmask_b32_e64 v42, v14, v117, s11
	s_delay_alu instid0(VALU_DEP_2) | instskip(NEXT) | instid1(VALU_DEP_1)
	v_lshl_add_u32 v41, v41, 23, v11
	v_lshl_or_b32 v41, v42, 21, v41
	s_delay_alu instid0(VALU_DEP_1)
	v_cndmask_b32_e64 v41, v41, v24, s10
.LBB4_7111:                             ;   in Loop: Header=BB4_6458 Depth=2
	s_or_b32 exec_lo, exec_lo, s14
	s_delay_alu instid0(VALU_DEP_1) | instskip(SKIP_1) | instid1(VALU_DEP_1)
	v_dual_max_num_f32 v41, v41, v41 :: v_dual_max_num_f32 v40, v40, v40
	s_mov_b32 s13, 0
	v_max_num_f32_e32 v40, v40, v41
.LBB4_7112:                             ;   in Loop: Header=BB4_6458 Depth=2
	s_and_b32 vcc_lo, exec_lo, s13
	s_cbranch_vccz .LBB4_7130
; %bb.7113:                             ;   in Loop: Header=BB4_6458 Depth=2
	v_mov_b32_e32 v40, 0
	s_and_saveexec_b32 s13, s12
	s_cbranch_execz .LBB4_7123
; %bb.7114:                             ;   in Loop: Header=BB4_6458 Depth=2
	v_bfrev_b32_e32 v40, 1
	s_mov_b32 s12, exec_lo
	v_cmpx_ne_u16_e32 0x80, v119
	s_cbranch_execz .LBB4_7122
; %bb.7115:                             ;   in Loop: Header=BB4_6458 Depth=2
	v_and_b32_e32 v40, 0x7c, v13
	v_and_b32_e32 v119, 3, v13
	s_delay_alu instid0(VALU_DEP_2) | instskip(SKIP_1) | instid1(SALU_CYCLE_1)
	v_cmp_ne_u32_e32 vcc_lo, 0x7c, v40
                                        ; implicit-def: $vgpr40
	s_and_saveexec_b32 s14, vcc_lo
	s_xor_b32 s14, exec_lo, s14
	s_cbranch_execz .LBB4_7119
; %bb.7116:                             ;   in Loop: Header=BB4_6458 Depth=2
	v_bfe_u32 v40, v13, 2, 5
	s_mov_b32 s45, exec_lo
	s_delay_alu instid0(VALU_DEP_1)
	v_cmpx_eq_u32_e32 0, v40
; %bb.7117:                             ;   in Loop: Header=BB4_6458 Depth=2
	v_clz_i32_u32_e32 v119, v119
	s_delay_alu instid0(VALU_DEP_1) | instskip(NEXT) | instid1(VALU_DEP_1)
	v_min_u32_e32 v119, 32, v119
	v_subrev_nc_u32_e32 v40, 29, v119
	s_delay_alu instid0(VALU_DEP_1) | instskip(NEXT) | instid1(VALU_DEP_1)
	v_lshlrev_b64_e32 v[42:43], v40, v[52:53]
	v_dual_sub_nc_u32 v40, 30, v119 :: v_dual_bitop2_b32 v119, 3, v42 bitop3:0x40
; %bb.7118:                             ;   in Loop: Header=BB4_6458 Depth=2
	s_or_b32 exec_lo, exec_lo, s45
	v_lshlrev_b32_e32 v41, 24, v13
	s_delay_alu instid0(VALU_DEP_1) | instskip(NEXT) | instid1(VALU_DEP_1)
	v_and_b32_e32 v41, 0x80000000, v41
	v_lshl_add_u32 v40, v40, 23, v41
	s_delay_alu instid0(VALU_DEP_1) | instskip(NEXT) | instid1(VALU_DEP_1)
	v_lshl_or_b32 v119, v119, 21, v40
	v_add_nc_u32_e32 v40, 0x38000000, v119
                                        ; implicit-def: $vgpr119
.LBB4_7119:                             ;   in Loop: Header=BB4_6458 Depth=2
	s_and_not1_saveexec_b32 s14, s14
; %bb.7120:                             ;   in Loop: Header=BB4_6458 Depth=2
	v_bfe_i32 v40, v13, 0, 8
	s_delay_alu instid0(VALU_DEP_1) | instskip(SKIP_2) | instid1(VALU_DEP_2)
	v_cmp_lt_i16_e32 vcc_lo, -1, v40
	v_cndmask_b32_e32 v40, 0xff800000, v109, vcc_lo
	v_cmp_eq_u32_e32 vcc_lo, 0, v119
	v_cndmask_b32_e32 v40, 0x7f800001, v40, vcc_lo
; %bb.7121:                             ;   in Loop: Header=BB4_6458 Depth=2
	s_or_b32 exec_lo, exec_lo, s14
.LBB4_7122:                             ;   in Loop: Header=BB4_6458 Depth=2
	s_delay_alu instid0(SALU_CYCLE_1)
	s_or_b32 exec_lo, exec_lo, s12
.LBB4_7123:                             ;   in Loop: Header=BB4_6458 Depth=2
	s_delay_alu instid0(SALU_CYCLE_1) | instskip(SKIP_3) | instid1(VALU_DEP_1)
	s_or_b32 exec_lo, exec_lo, s13
	v_and_b32_e32 v119, 0xff, v118
	s_mov_b32 s12, 0
	s_mov_b32 s13, exec_lo
	v_cmpx_lt_i16_e32 0x7f, v119
	s_xor_b32 s13, exec_lo, s13
	s_cbranch_execz .LBB4_7343
; %bb.7124:                             ;   in Loop: Header=BB4_6458 Depth=2
	s_mov_b32 s12, -1
	s_mov_b32 s14, exec_lo
	v_cmpx_eq_u16_e32 0x80, v119
; %bb.7125:                             ;   in Loop: Header=BB4_6458 Depth=2
	s_xor_b32 s12, exec_lo, -1
; %bb.7126:                             ;   in Loop: Header=BB4_6458 Depth=2
	s_or_b32 exec_lo, exec_lo, s14
	s_delay_alu instid0(SALU_CYCLE_1)
	s_and_b32 s12, s12, exec_lo
                                        ; implicit-def: $vgpr119
	s_or_saveexec_b32 s13, s13
	v_bfrev_b32_e32 v118, 1
	s_xor_b32 exec_lo, exec_lo, s13
	s_cbranch_execnz .LBB4_7344
.LBB4_7127:                             ;   in Loop: Header=BB4_6458 Depth=2
	s_or_b32 exec_lo, exec_lo, s13
	s_and_saveexec_b32 s13, s12
.LBB4_7128:                             ;   in Loop: Header=BB4_6458 Depth=2
	v_cndmask_b32_e64 v15, v15, v25, s11
	v_cndmask_b32_e64 v14, v14, v117, s11
	s_delay_alu instid0(VALU_DEP_2) | instskip(NEXT) | instid1(VALU_DEP_1)
	v_lshl_add_u32 v11, v15, 23, v11
	v_lshl_or_b32 v11, v14, 21, v11
	s_delay_alu instid0(VALU_DEP_1)
	v_cndmask_b32_e64 v118, v11, v24, s10
.LBB4_7129:                             ;   in Loop: Header=BB4_6458 Depth=2
	s_or_b32 exec_lo, exec_lo, s13
	s_delay_alu instid0(VALU_DEP_1) | instskip(NEXT) | instid1(VALU_DEP_1)
	v_dual_max_num_f32 v11, v118, v118 :: v_dual_max_num_f32 v14, v40, v40
	v_min_num_f32_e32 v40, v14, v11
.LBB4_7130:                             ;   in Loop: Header=BB4_6458 Depth=2
	s_delay_alu instid0(VALU_DEP_1) | instskip(SKIP_4) | instid1(VALU_DEP_3)
	v_and_b32_e32 v24, 0x7f800000, v40
	v_dual_mov_b32 v25, v53 :: v_dual_mov_b32 v15, v53
	v_and_b32_e32 v14, 0x7fffff, v40
	v_lshrrev_b32_e32 v11, 24, v40
                                        ; implicit-def: $vgpr117
	s_mov_b32 s10, exec_lo
	v_cmpx_ne_u64_e32 0x7f800000, v[24:25]
	s_xor_b32 s11, exec_lo, s10
	s_cbranch_execz .LBB4_7144
; %bb.7131:                             ;   in Loop: Header=BB4_6458 Depth=2
	v_and_b32_e32 v24, 0x7fffffff, v40
	v_mov_b32_e32 v25, v53
	v_and_b32_e32 v11, 0x80, v11
                                        ; implicit-def: $vgpr117
	s_mov_b32 s10, exec_lo
	s_delay_alu instid0(VALU_DEP_2)
	v_cmpx_gt_u64_e32 0x47600001, v[24:25]
	s_xor_b32 s12, exec_lo, s10
	s_cbranch_execz .LBB4_7141
; %bb.7132:                             ;   in Loop: Header=BB4_6458 Depth=2
	v_mov_b32_e32 v117, 0
	s_mov_b32 s13, exec_lo
	v_cmpx_ne_u32_e32 0, v40
	s_cbranch_execz .LBB4_7140
; %bb.7133:                             ;   in Loop: Header=BB4_6458 Depth=2
	v_bfe_u32 v117, v40, 23, 8
	v_or_b32_e32 v119, 0x800000, v14
	s_delay_alu instid0(VALU_DEP_2) | instskip(SKIP_1) | instid1(VALU_DEP_2)
	v_sub_nc_u32_e32 v24, 0x71, v117
	v_cmp_gt_u32_e32 vcc_lo, 0x72, v117
	v_cndmask_b32_e32 v24, 0, v24, vcc_lo
	v_cmp_eq_u32_e32 vcc_lo, 0, v117
	s_delay_alu instid0(VALU_DEP_2) | instskip(SKIP_1) | instid1(VALU_DEP_2)
	v_cndmask_b32_e64 v118, v24, 0x70, vcc_lo
	v_cndmask_b32_e32 v14, v119, v14, vcc_lo
	v_dual_add_nc_u32 v24, 21, v118 :: v_dual_add_nc_u32 v40, 20, v118
	s_delay_alu instid0(VALU_DEP_1) | instskip(NEXT) | instid1(VALU_DEP_2)
	v_lshlrev_b64_e64 v[24:25], v24, -1
	v_lshlrev_b64_e64 v[40:41], v40, 1
	s_delay_alu instid0(VALU_DEP_2) | instskip(SKIP_1) | instid1(VALU_DEP_4)
	v_bfi_b32 v24, v24, 0, v14
	v_lshrrev_b64 v[14:15], v118, v[14:15]
	v_bfi_b32 v25, v25, 0, 0
	s_delay_alu instid0(VALU_DEP_1) | instskip(NEXT) | instid1(VALU_DEP_3)
	v_cmp_eq_u64_e64 s10, v[24:25], v[40:41]
	v_mov_b64_e32 v[24:25], v[14:15]
	s_and_saveexec_b32 s14, s10
; %bb.7134:                             ;   in Loop: Header=BB4_6458 Depth=2
	v_bfe_u32 v24, v14, 21, 1
	v_mov_b32_e32 v25, v53
	s_delay_alu instid0(VALU_DEP_1) | instskip(NEXT) | instid1(VALU_DEP_1)
	v_add_nc_u64_e32 v[24:25], v[14:15], v[24:25]
	v_add_nc_u64_e32 v[24:25], -1, v[24:25]
; %bb.7135:                             ;   in Loop: Header=BB4_6458 Depth=2
	s_or_b32 exec_lo, exec_lo, s14
	v_add_nc_u32_e32 v15, 0xffffff81, v117
	v_lshrrev_b32_e32 v25, 23, v14
	s_mov_b32 s10, exec_lo
	s_delay_alu instid0(VALU_DEP_2) | instskip(NEXT) | instid1(VALU_DEP_1)
	v_cndmask_b32_e64 v15, v15, 0xffffff82, vcc_lo
	v_add3_u32 v25, v118, v15, v25
	v_and_b32_e32 v15, 0x1fffff, v24
                                        ; implicit-def: $vgpr24
	s_delay_alu instid0(VALU_DEP_1) | instskip(SKIP_1) | instid1(VALU_DEP_2)
	v_dual_add_nc_u32 v117, 14, v25 :: v_dual_add_nc_u32 v14, v15, v14
	v_mov_b32_e32 v15, v53
	v_cmpx_ne_u32_e32 0, v117
	s_xor_b32 s10, exec_lo, s10
; %bb.7136:                             ;   in Loop: Header=BB4_6458 Depth=2
	s_delay_alu instid0(VALU_DEP_2) | instskip(SKIP_2) | instid1(VALU_DEP_2)
	v_cmp_lt_u64_e32 vcc_lo, 0xffffff, v[14:15]
	v_add_nc_u32_e32 v24, 15, v25
	v_cndmask_b32_e64 v25, 0, 1, vcc_lo
	v_cndmask_b32_e32 v24, v117, v24, vcc_lo
	s_delay_alu instid0(VALU_DEP_2)
	v_lshrrev_b64 v[14:15], v25, v[14:15]
; %bb.7137:                             ;   in Loop: Header=BB4_6458 Depth=2
	s_and_not1_saveexec_b32 s10, s10
; %bb.7138:                             ;   in Loop: Header=BB4_6458 Depth=2
	s_delay_alu instid0(VALU_DEP_1)
	v_bfe_u32 v24, v14, 23, 1
; %bb.7139:                             ;   in Loop: Header=BB4_6458 Depth=2
	s_or_b32 exec_lo, exec_lo, s10
	s_delay_alu instid0(VALU_DEP_2) | instskip(NEXT) | instid1(VALU_DEP_2)
	v_lshrrev_b64 v[14:15], 21, v[14:15]
	v_cmp_gt_i32_e32 vcc_lo, 32, v24
	v_min_i32_e32 v25, 31, v24
	v_cmp_eq_u32_e64 s10, 0, v24
	s_delay_alu instid0(VALU_DEP_2) | instskip(SKIP_1) | instid1(VALU_DEP_2)
	v_dual_cndmask_b32 v15, 0, v15, vcc_lo :: v_dual_lshlrev_b32 v25, 2, v25
	v_cndmask_b32_e32 v14, 3, v14, vcc_lo
	v_and_b32_e32 v25, 0xfc, v25
	s_delay_alu instid0(VALU_DEP_2) | instskip(NEXT) | instid1(VALU_DEP_2)
	v_cmp_eq_u64_e32 vcc_lo, 0, v[14:15]
	v_and_or_b32 v14, v14, 3, v25
	s_and_b32 s10, s10, vcc_lo
	s_delay_alu instid0(VALU_DEP_1) | instid1(SALU_CYCLE_1)
	v_cndmask_b32_e64 v14, v14, 0, s10
	s_delay_alu instid0(VALU_DEP_1)
	v_or_b32_e32 v117, v14, v11
.LBB4_7140:                             ;   in Loop: Header=BB4_6458 Depth=2
	s_or_b32 exec_lo, exec_lo, s13
                                        ; implicit-def: $vgpr11
.LBB4_7141:                             ;   in Loop: Header=BB4_6458 Depth=2
	s_and_not1_saveexec_b32 s10, s12
; %bb.7142:                             ;   in Loop: Header=BB4_6458 Depth=2
	v_or_b32_e32 v117, 0x7b, v11
; %bb.7143:                             ;   in Loop: Header=BB4_6458 Depth=2
	s_or_b32 exec_lo, exec_lo, s10
                                        ; implicit-def: $vgpr40
                                        ; implicit-def: $vgpr14_vgpr15
                                        ; implicit-def: $vgpr11
.LBB4_7144:                             ;   in Loop: Header=BB4_6458 Depth=2
	s_and_not1_saveexec_b32 s10, s11
	s_cbranch_execz .LBB4_7150
; %bb.7145:                             ;   in Loop: Header=BB4_6458 Depth=2
	s_mov_b32 s11, exec_lo
                                        ; implicit-def: $vgpr117
	v_cmpx_ne_u64_e32 0, v[14:15]
	s_xor_b32 s11, exec_lo, s11
; %bb.7146:                             ;   in Loop: Header=BB4_6458 Depth=2
	v_or_b32_e32 v117, 0x7f, v11
                                        ; implicit-def: $vgpr40
; %bb.7147:                             ;   in Loop: Header=BB4_6458 Depth=2
	s_and_not1_saveexec_b32 s11, s11
; %bb.7148:                             ;   in Loop: Header=BB4_6458 Depth=2
	v_cmp_lt_i32_e32 vcc_lo, -1, v40
	v_cndmask_b32_e32 v117, 0xfc, v110, vcc_lo
; %bb.7149:                             ;   in Loop: Header=BB4_6458 Depth=2
	s_or_b32 exec_lo, exec_lo, s11
.LBB4_7150:                             ;   in Loop: Header=BB4_6458 Depth=2
	s_delay_alu instid0(SALU_CYCLE_1) | instskip(SKIP_4) | instid1(VALU_DEP_3)
	s_or_b32 exec_lo, exec_lo, s10
	v_lshrrev_b16 v14, 8, v10
	v_cmp_lt_i16_e32 vcc_lo, -1, v10
	v_lshrrev_b16 v24, 8, v52
	s_mov_b32 s13, -1
	v_and_b32_e32 v25, 0xffff, v14
	v_lshlrev_b32_e32 v40, 24, v14
	s_delay_alu instid0(VALU_DEP_3) | instskip(SKIP_1) | instid1(VALU_DEP_4)
	v_and_b32_e32 v41, 0xffff, v24
	v_cmp_ne_u16_e64 s12, 0, v24
	v_and_b32_e32 v11, 3, v25
	v_and_b32_e32 v44, 0x7c, v25
	v_bfe_u32 v10, v25, 2, 5
	s_delay_alu instid0(VALU_DEP_3) | instskip(NEXT) | instid1(VALU_DEP_3)
	v_clz_i32_u32_e32 v15, v11
	v_cmp_eq_u32_e64 s10, 0x7c, v44
	s_delay_alu instid0(VALU_DEP_3) | instskip(NEXT) | instid1(VALU_DEP_3)
	v_cmp_eq_u32_e64 s11, 0, v10
	v_min_u32_e32 v119, 32, v15
	v_dual_mov_b32 v15, v53 :: v_dual_cndmask_b32 v118, 0xff800000, v109
	v_cmp_eq_u32_e32 vcc_lo, 0, v11
	s_delay_alu instid0(VALU_DEP_3) | instskip(NEXT) | instid1(VALU_DEP_3)
	v_subrev_nc_u32_e32 v42, 29, v119
	v_dual_cndmask_b32 v118, 0x7f800001, v118 :: v_dual_sub_nc_u32 v119, 30, v119
	s_and_b32 vcc_lo, exec_lo, s44
	s_delay_alu instid0(VALU_DEP_2) | instskip(SKIP_1) | instid1(VALU_DEP_2)
	v_lshlrev_b64_e32 v[42:43], v42, v[14:15]
	v_and_or_b32 v15, 0x80000000, v40, s27
	v_and_b32_e32 v40, 3, v42
                                        ; implicit-def: $vgpr42
	s_cbranch_vccz .LBB4_7168
; %bb.7151:                             ;   in Loop: Header=BB4_6458 Depth=2
	v_mov_b32_e32 v25, 0
	s_and_saveexec_b32 s13, s12
	s_cbranch_execz .LBB4_7161
; %bb.7152:                             ;   in Loop: Header=BB4_6458 Depth=2
	v_bfrev_b32_e32 v25, 1
	s_mov_b32 s14, exec_lo
	v_cmpx_ne_u16_e32 0x80, v24
	s_cbranch_execz .LBB4_7160
; %bb.7153:                             ;   in Loop: Header=BB4_6458 Depth=2
	v_and_b32_e32 v25, 0x7c, v41
	v_and_b32_e32 v42, 3, v41
	s_delay_alu instid0(VALU_DEP_2) | instskip(SKIP_1) | instid1(SALU_CYCLE_1)
	v_cmp_ne_u32_e32 vcc_lo, 0x7c, v25
                                        ; implicit-def: $vgpr25
	s_and_saveexec_b32 s45, vcc_lo
	s_xor_b32 s45, exec_lo, s45
	s_cbranch_execz .LBB4_7157
; %bb.7154:                             ;   in Loop: Header=BB4_6458 Depth=2
	v_bfe_u32 v25, v41, 2, 5
	s_mov_b32 s46, exec_lo
	s_delay_alu instid0(VALU_DEP_1)
	v_cmpx_eq_u32_e32 0, v25
; %bb.7155:                             ;   in Loop: Header=BB4_6458 Depth=2
	v_clz_i32_u32_e32 v25, v42
	s_delay_alu instid0(VALU_DEP_1) | instskip(SKIP_1) | instid1(VALU_DEP_2)
	v_min_u32_e32 v44, 32, v25
	v_mov_b32_e32 v25, v53
	v_subrev_nc_u32_e32 v42, 29, v44
	s_delay_alu instid0(VALU_DEP_1) | instskip(NEXT) | instid1(VALU_DEP_1)
	v_lshlrev_b64_e32 v[42:43], v42, v[24:25]
	v_dual_sub_nc_u32 v25, 30, v44 :: v_dual_bitop2_b32 v42, 3, v42 bitop3:0x40
; %bb.7156:                             ;   in Loop: Header=BB4_6458 Depth=2
	s_or_b32 exec_lo, exec_lo, s46
	v_lshlrev_b32_e32 v43, 16, v52
	s_delay_alu instid0(VALU_DEP_1) | instskip(NEXT) | instid1(VALU_DEP_1)
	v_and_b32_e32 v43, 0x80000000, v43
	v_lshl_add_u32 v25, v25, 23, v43
	s_delay_alu instid0(VALU_DEP_1) | instskip(NEXT) | instid1(VALU_DEP_1)
	v_lshl_or_b32 v25, v42, 21, v25
                                        ; implicit-def: $vgpr42
	v_add_nc_u32_e32 v25, 0x38000000, v25
.LBB4_7157:                             ;   in Loop: Header=BB4_6458 Depth=2
	s_and_not1_saveexec_b32 s45, s45
; %bb.7158:                             ;   in Loop: Header=BB4_6458 Depth=2
	v_cmp_lt_i16_e32 vcc_lo, -1, v52
	v_cndmask_b32_e32 v25, 0xff800000, v109, vcc_lo
	v_cmp_eq_u32_e32 vcc_lo, 0, v42
	s_delay_alu instid0(VALU_DEP_2)
	v_cndmask_b32_e32 v25, 0x7f800001, v25, vcc_lo
; %bb.7159:                             ;   in Loop: Header=BB4_6458 Depth=2
	s_or_b32 exec_lo, exec_lo, s45
.LBB4_7160:                             ;   in Loop: Header=BB4_6458 Depth=2
	s_delay_alu instid0(SALU_CYCLE_1)
	s_or_b32 exec_lo, exec_lo, s14
.LBB4_7161:                             ;   in Loop: Header=BB4_6458 Depth=2
	s_delay_alu instid0(SALU_CYCLE_1)
	s_or_b32 exec_lo, exec_lo, s13
	s_mov_b32 s13, 0
	s_mov_b32 s14, exec_lo
	v_cmpx_lt_i16_e32 0x7f, v14
	s_xor_b32 s14, exec_lo, s14
	s_cbranch_execz .LBB4_7345
; %bb.7162:                             ;   in Loop: Header=BB4_6458 Depth=2
	s_mov_b32 s13, -1
	s_mov_b32 s45, exec_lo
	v_cmpx_eq_u16_e32 0x80, v14
; %bb.7163:                             ;   in Loop: Header=BB4_6458 Depth=2
	s_xor_b32 s13, exec_lo, -1
; %bb.7164:                             ;   in Loop: Header=BB4_6458 Depth=2
	s_or_b32 exec_lo, exec_lo, s45
	s_delay_alu instid0(SALU_CYCLE_1)
	s_and_b32 s13, s13, exec_lo
	s_or_saveexec_b32 s14, s14
	v_bfrev_b32_e32 v42, 1
	s_xor_b32 exec_lo, exec_lo, s14
	s_cbranch_execnz .LBB4_7346
.LBB4_7165:                             ;   in Loop: Header=BB4_6458 Depth=2
	s_or_b32 exec_lo, exec_lo, s14
	s_and_saveexec_b32 s14, s13
.LBB4_7166:                             ;   in Loop: Header=BB4_6458 Depth=2
	v_dual_cndmask_b32 v42, v10, v119, s11 :: v_dual_cndmask_b32 v43, v11, v40, s11
	s_delay_alu instid0(VALU_DEP_1) | instskip(NEXT) | instid1(VALU_DEP_1)
	v_lshl_add_u32 v42, v42, 23, v15
	v_lshl_or_b32 v42, v43, 21, v42
	s_delay_alu instid0(VALU_DEP_1)
	v_cndmask_b32_e64 v42, v42, v118, s10
.LBB4_7167:                             ;   in Loop: Header=BB4_6458 Depth=2
	s_or_b32 exec_lo, exec_lo, s14
	s_delay_alu instid0(VALU_DEP_1) | instskip(SKIP_1) | instid1(VALU_DEP_1)
	v_dual_max_num_f32 v42, v42, v42 :: v_dual_max_num_f32 v25, v25, v25
	s_mov_b32 s13, 0
	v_max_num_f32_e32 v42, v25, v42
.LBB4_7168:                             ;   in Loop: Header=BB4_6458 Depth=2
	s_and_b32 vcc_lo, exec_lo, s13
	s_cbranch_vccz .LBB4_7186
; %bb.7169:                             ;   in Loop: Header=BB4_6458 Depth=2
	v_mov_b32_e32 v25, 0
	s_and_saveexec_b32 s13, s12
	s_cbranch_execz .LBB4_7179
; %bb.7170:                             ;   in Loop: Header=BB4_6458 Depth=2
	v_bfrev_b32_e32 v25, 1
	s_mov_b32 s12, exec_lo
	v_cmpx_ne_u16_e32 0x80, v24
	s_cbranch_execz .LBB4_7178
; %bb.7171:                             ;   in Loop: Header=BB4_6458 Depth=2
	v_and_b32_e32 v25, 0x7c, v41
	v_and_b32_e32 v42, 3, v41
	s_delay_alu instid0(VALU_DEP_2) | instskip(SKIP_1) | instid1(SALU_CYCLE_1)
	v_cmp_ne_u32_e32 vcc_lo, 0x7c, v25
                                        ; implicit-def: $vgpr25
	s_and_saveexec_b32 s14, vcc_lo
	s_xor_b32 s14, exec_lo, s14
	s_cbranch_execz .LBB4_7175
; %bb.7172:                             ;   in Loop: Header=BB4_6458 Depth=2
	v_bfe_u32 v25, v41, 2, 5
	s_mov_b32 s45, exec_lo
	s_delay_alu instid0(VALU_DEP_1)
	v_cmpx_eq_u32_e32 0, v25
; %bb.7173:                             ;   in Loop: Header=BB4_6458 Depth=2
	v_clz_i32_u32_e32 v25, v42
	s_delay_alu instid0(VALU_DEP_1) | instskip(SKIP_1) | instid1(VALU_DEP_2)
	v_min_u32_e32 v41, 32, v25
	v_mov_b32_e32 v25, v53
	v_subrev_nc_u32_e32 v42, 29, v41
	s_delay_alu instid0(VALU_DEP_1) | instskip(NEXT) | instid1(VALU_DEP_1)
	v_lshlrev_b64_e32 v[24:25], v42, v[24:25]
	v_dual_sub_nc_u32 v25, 30, v41 :: v_dual_bitop2_b32 v42, 3, v24 bitop3:0x40
; %bb.7174:                             ;   in Loop: Header=BB4_6458 Depth=2
	s_or_b32 exec_lo, exec_lo, s45
	v_lshlrev_b32_e32 v24, 16, v52
	s_delay_alu instid0(VALU_DEP_1) | instskip(NEXT) | instid1(VALU_DEP_1)
	v_and_b32_e32 v24, 0x80000000, v24
	v_lshl_add_u32 v24, v25, 23, v24
	s_delay_alu instid0(VALU_DEP_1) | instskip(NEXT) | instid1(VALU_DEP_1)
	v_lshl_or_b32 v24, v42, 21, v24
                                        ; implicit-def: $vgpr42
	v_add_nc_u32_e32 v25, 0x38000000, v24
.LBB4_7175:                             ;   in Loop: Header=BB4_6458 Depth=2
	s_and_not1_saveexec_b32 s14, s14
; %bb.7176:                             ;   in Loop: Header=BB4_6458 Depth=2
	v_cmp_lt_i16_e32 vcc_lo, -1, v52
	v_cndmask_b32_e32 v24, 0xff800000, v109, vcc_lo
	v_cmp_eq_u32_e32 vcc_lo, 0, v42
	s_delay_alu instid0(VALU_DEP_2)
	v_cndmask_b32_e32 v25, 0x7f800001, v24, vcc_lo
; %bb.7177:                             ;   in Loop: Header=BB4_6458 Depth=2
	s_or_b32 exec_lo, exec_lo, s14
.LBB4_7178:                             ;   in Loop: Header=BB4_6458 Depth=2
	s_delay_alu instid0(SALU_CYCLE_1)
	s_or_b32 exec_lo, exec_lo, s12
.LBB4_7179:                             ;   in Loop: Header=BB4_6458 Depth=2
	s_delay_alu instid0(SALU_CYCLE_1)
	s_or_b32 exec_lo, exec_lo, s13
	s_mov_b32 s12, 0
	s_mov_b32 s13, exec_lo
	v_cmpx_lt_i16_e32 0x7f, v14
	s_xor_b32 s13, exec_lo, s13
	s_cbranch_execz .LBB4_7347
; %bb.7180:                             ;   in Loop: Header=BB4_6458 Depth=2
	s_mov_b32 s12, -1
	s_mov_b32 s14, exec_lo
	v_cmpx_eq_u16_e32 0x80, v14
; %bb.7181:                             ;   in Loop: Header=BB4_6458 Depth=2
	s_xor_b32 s12, exec_lo, -1
; %bb.7182:                             ;   in Loop: Header=BB4_6458 Depth=2
	s_or_b32 exec_lo, exec_lo, s14
	s_delay_alu instid0(SALU_CYCLE_1)
	s_and_b32 s12, s12, exec_lo
                                        ; implicit-def: $vgpr14
	s_or_saveexec_b32 s13, s13
	v_bfrev_b32_e32 v24, 1
	s_xor_b32 exec_lo, exec_lo, s13
	s_cbranch_execnz .LBB4_7348
.LBB4_7183:                             ;   in Loop: Header=BB4_6458 Depth=2
	s_or_b32 exec_lo, exec_lo, s13
	s_and_saveexec_b32 s13, s12
.LBB4_7184:                             ;   in Loop: Header=BB4_6458 Depth=2
	v_dual_cndmask_b32 v10, v10, v119, s11 :: v_dual_cndmask_b32 v11, v11, v40, s11
	s_delay_alu instid0(VALU_DEP_1) | instskip(NEXT) | instid1(VALU_DEP_1)
	v_lshl_add_u32 v10, v10, 23, v15
	v_lshl_or_b32 v10, v11, 21, v10
	s_delay_alu instid0(VALU_DEP_1)
	v_cndmask_b32_e64 v24, v10, v118, s10
.LBB4_7185:                             ;   in Loop: Header=BB4_6458 Depth=2
	s_or_b32 exec_lo, exec_lo, s13
	s_delay_alu instid0(VALU_DEP_1) | instskip(NEXT) | instid1(VALU_DEP_1)
	v_dual_max_num_f32 v10, v24, v24 :: v_dual_max_num_f32 v11, v25, v25
	v_min_num_f32_e32 v42, v11, v10
.LBB4_7186:                             ;   in Loop: Header=BB4_6458 Depth=2
	s_delay_alu instid0(VALU_DEP_1) | instskip(SKIP_2) | instid1(VALU_DEP_2)
	v_and_b32_e32 v10, 0x7f800000, v42
	v_mov_b32_e32 v11, v53
	v_and_b32_e32 v52, 0x7fffff, v42
                                        ; implicit-def: $vgpr24
	v_cmp_ne_u64_e32 vcc_lo, 0x7f800000, v[10:11]
	v_lshrrev_b32_e32 v10, 24, v42
	s_and_saveexec_b32 s10, vcc_lo
	s_delay_alu instid0(SALU_CYCLE_1)
	s_xor_b32 s11, exec_lo, s10
	s_cbranch_execz .LBB4_7200
; %bb.7187:                             ;   in Loop: Header=BB4_6458 Depth=2
	v_and_b32_e32 v14, 0x7fffffff, v42
	v_mov_b32_e32 v15, v53
	v_and_b32_e32 v25, 0x80, v10
                                        ; implicit-def: $vgpr24
	s_mov_b32 s10, exec_lo
	s_delay_alu instid0(VALU_DEP_2)
	v_cmpx_gt_u64_e32 0x47600001, v[14:15]
	s_xor_b32 s12, exec_lo, s10
	s_cbranch_execz .LBB4_7197
; %bb.7188:                             ;   in Loop: Header=BB4_6458 Depth=2
	v_mov_b32_e32 v24, 0
	s_mov_b32 s13, exec_lo
	v_cmpx_ne_u32_e32 0, v42
	s_cbranch_execz .LBB4_7196
; %bb.7189:                             ;   in Loop: Header=BB4_6458 Depth=2
	v_bfe_u32 v24, v42, 23, 8
	v_or_b32_e32 v14, 0x800000, v52
	s_delay_alu instid0(VALU_DEP_2) | instskip(SKIP_1) | instid1(VALU_DEP_2)
	v_sub_nc_u32_e32 v10, 0x71, v24
	v_cmp_gt_u32_e32 vcc_lo, 0x72, v24
	v_cndmask_b32_e32 v10, 0, v10, vcc_lo
	v_cmp_eq_u32_e32 vcc_lo, 0, v24
	v_cndmask_b32_e32 v52, v14, v52, vcc_lo
	s_delay_alu instid0(VALU_DEP_3) | instskip(NEXT) | instid1(VALU_DEP_1)
	v_cndmask_b32_e64 v118, v10, 0x70, vcc_lo
	v_dual_add_nc_u32 v10, 21, v118 :: v_dual_add_nc_u32 v15, 20, v118
	s_delay_alu instid0(VALU_DEP_1) | instskip(NEXT) | instid1(VALU_DEP_2)
	v_lshlrev_b64_e64 v[10:11], v10, -1
	v_lshlrev_b64_e64 v[14:15], v15, 1
	s_delay_alu instid0(VALU_DEP_2) | instskip(NEXT) | instid1(VALU_DEP_3)
	v_bfi_b32 v41, v11, 0, 0
	v_bfi_b32 v40, v10, 0, v52
	v_lshrrev_b64 v[10:11], v118, v[52:53]
	s_delay_alu instid0(VALU_DEP_2) | instskip(NEXT) | instid1(VALU_DEP_2)
	v_cmp_eq_u64_e64 s10, v[40:41], v[14:15]
	v_mov_b64_e32 v[14:15], v[10:11]
	s_and_saveexec_b32 s14, s10
; %bb.7190:                             ;   in Loop: Header=BB4_6458 Depth=2
	v_bfe_u32 v52, v10, 21, 1
	s_delay_alu instid0(VALU_DEP_1) | instskip(NEXT) | instid1(VALU_DEP_1)
	v_add_nc_u64_e32 v[14:15], v[10:11], v[52:53]
	v_add_nc_u64_e32 v[14:15], -1, v[14:15]
; %bb.7191:                             ;   in Loop: Header=BB4_6458 Depth=2
	s_or_b32 exec_lo, exec_lo, s14
	v_add_nc_u32_e32 v11, 0xffffff81, v24
	v_lshrrev_b32_e32 v15, 23, v10
	s_mov_b32 s10, exec_lo
	s_delay_alu instid0(VALU_DEP_2) | instskip(NEXT) | instid1(VALU_DEP_1)
	v_cndmask_b32_e64 v11, v11, 0xffffff82, vcc_lo
	v_add3_u32 v15, v118, v11, v15
	v_and_b32_e32 v11, 0x1fffff, v14
                                        ; implicit-def: $vgpr14
	s_delay_alu instid0(VALU_DEP_1) | instskip(NEXT) | instid1(VALU_DEP_1)
	v_dual_add_nc_u32 v24, 14, v15 :: v_dual_add_nc_u32 v52, v11, v10
                                        ; implicit-def: $vgpr10_vgpr11
	v_cmpx_ne_u32_e32 0, v24
	s_xor_b32 s10, exec_lo, s10
; %bb.7192:                             ;   in Loop: Header=BB4_6458 Depth=2
	s_delay_alu instid0(VALU_DEP_2) | instskip(SKIP_1) | instid1(VALU_DEP_1)
	v_cmp_lt_u64_e32 vcc_lo, 0xffffff, v[52:53]
	v_add_nc_u32_e32 v10, 15, v15
	v_cndmask_b32_e32 v14, v24, v10, vcc_lo
	v_cndmask_b32_e64 v10, 0, 1, vcc_lo
	s_delay_alu instid0(VALU_DEP_1)
	v_lshrrev_b64 v[10:11], v10, v[52:53]
; %bb.7193:                             ;   in Loop: Header=BB4_6458 Depth=2
	s_and_not1_saveexec_b32 s10, s10
; %bb.7194:                             ;   in Loop: Header=BB4_6458 Depth=2
	v_mov_b64_e32 v[10:11], v[52:53]
	v_bfe_u32 v14, v52, 23, 1
; %bb.7195:                             ;   in Loop: Header=BB4_6458 Depth=2
	s_or_b32 exec_lo, exec_lo, s10
	s_delay_alu instid0(VALU_DEP_2) | instskip(NEXT) | instid1(VALU_DEP_2)
	v_lshrrev_b64 v[10:11], 21, v[10:11]
	v_cmp_gt_i32_e32 vcc_lo, 32, v14
	v_min_i32_e32 v15, 31, v14
	v_cmp_eq_u32_e64 s10, 0, v14
	s_delay_alu instid0(VALU_DEP_4) | instskip(NEXT) | instid1(VALU_DEP_3)
	v_cndmask_b32_e32 v11, 0, v11, vcc_lo
	v_dual_cndmask_b32 v10, 3, v10 :: v_dual_lshlrev_b32 v15, 2, v15
	s_delay_alu instid0(VALU_DEP_1) | instskip(NEXT) | instid1(VALU_DEP_2)
	v_and_b32_e32 v15, 0xfc, v15
	v_cmp_eq_u64_e32 vcc_lo, 0, v[10:11]
	s_delay_alu instid0(VALU_DEP_2)
	v_and_or_b32 v10, v10, 3, v15
	s_and_b32 s10, s10, vcc_lo
	s_delay_alu instid0(VALU_DEP_1) | instid1(SALU_CYCLE_1)
	v_cndmask_b32_e64 v10, v10, 0, s10
	s_delay_alu instid0(VALU_DEP_1)
	v_or_b32_e32 v24, v10, v25
.LBB4_7196:                             ;   in Loop: Header=BB4_6458 Depth=2
	s_or_b32 exec_lo, exec_lo, s13
                                        ; implicit-def: $vgpr25
.LBB4_7197:                             ;   in Loop: Header=BB4_6458 Depth=2
	s_and_not1_saveexec_b32 s10, s12
; %bb.7198:                             ;   in Loop: Header=BB4_6458 Depth=2
	v_or_b32_e32 v24, 0x7b, v25
; %bb.7199:                             ;   in Loop: Header=BB4_6458 Depth=2
	s_or_b32 exec_lo, exec_lo, s10
                                        ; implicit-def: $vgpr42
                                        ; implicit-def: $vgpr10
.LBB4_7200:                             ;   in Loop: Header=BB4_6458 Depth=2
	s_and_not1_saveexec_b32 s10, s11
	s_cbranch_execz .LBB4_7206
; %bb.7201:                             ;   in Loop: Header=BB4_6458 Depth=2
	s_mov_b32 s11, exec_lo
                                        ; implicit-def: $vgpr24
	v_cmpx_ne_u64_e32 0, v[52:53]
	s_xor_b32 s11, exec_lo, s11
; %bb.7202:                             ;   in Loop: Header=BB4_6458 Depth=2
	v_or_b32_e32 v24, 0x7f, v10
                                        ; implicit-def: $vgpr42
; %bb.7203:                             ;   in Loop: Header=BB4_6458 Depth=2
	s_and_not1_saveexec_b32 s11, s11
; %bb.7204:                             ;   in Loop: Header=BB4_6458 Depth=2
	v_cmp_lt_i32_e32 vcc_lo, -1, v42
	v_cndmask_b32_e32 v24, 0xfc, v110, vcc_lo
; %bb.7205:                             ;   in Loop: Header=BB4_6458 Depth=2
	s_or_b32 exec_lo, exec_lo, s11
.LBB4_7206:                             ;   in Loop: Header=BB4_6458 Depth=2
	s_delay_alu instid0(SALU_CYCLE_1) | instskip(SKIP_4) | instid1(VALU_DEP_3)
	s_or_b32 exec_lo, exec_lo, s10
	v_bfe_u32 v11, v17, 16, 2
	v_dual_lshrrev_b32 v52, 16, v17 :: v_dual_lshlrev_b32 v118, 8, v17
	v_and_b32_e32 v15, 0x7c0000, v17
	s_mov_b32 s13, -1
	v_clz_i32_u32_e32 v14, v11
	s_delay_alu instid0(VALU_DEP_3) | instskip(NEXT) | instid1(VALU_DEP_3)
	v_bfe_i32 v119, v52, 0, 8
	v_cmp_eq_u32_e64 s10, 0x7c0000, v15
	v_and_or_b32 v15, 0x80000000, v118, s27
	s_delay_alu instid0(VALU_DEP_4) | instskip(NEXT) | instid1(VALU_DEP_4)
	v_min_u32_e32 v25, 32, v14
	v_cmp_lt_i16_e32 vcc_lo, -1, v119
	v_bfe_u32 v14, v17, 18, 5
	s_delay_alu instid0(VALU_DEP_3) | instskip(NEXT) | instid1(VALU_DEP_2)
	v_subrev_nc_u32_e32 v41, 29, v25
	v_cmp_eq_u32_e64 s11, 0, v14
	s_delay_alu instid0(VALU_DEP_2) | instskip(SKIP_3) | instid1(VALU_DEP_4)
	v_lshlrev_b64_e32 v[42:43], v41, v[52:53]
	v_lshrrev_b32_e32 v10, 16, v13
	v_cndmask_b32_e32 v41, 0xff800000, v109, vcc_lo
	v_cmp_eq_u32_e32 vcc_lo, 0, v11
	v_dual_sub_nc_u32 v52, 30, v25 :: v_dual_bitop2_b32 v118, 3, v42 bitop3:0x40
	s_delay_alu instid0(VALU_DEP_4) | instskip(NEXT) | instid1(VALU_DEP_4)
	v_and_b32_e32 v40, 0xff, v10
	v_cndmask_b32_e32 v25, 0x7f800001, v41, vcc_lo
	s_and_b32 vcc_lo, exec_lo, s44
                                        ; implicit-def: $vgpr41
	s_delay_alu instid0(VALU_DEP_2)
	v_cmp_ne_u16_e64 s12, 0, v40
	s_cbranch_vccz .LBB4_7224
; %bb.7207:                             ;   in Loop: Header=BB4_6458 Depth=2
	v_mov_b32_e32 v41, 0
	s_and_saveexec_b32 s13, s12
	s_cbranch_execz .LBB4_7217
; %bb.7208:                             ;   in Loop: Header=BB4_6458 Depth=2
	v_bfrev_b32_e32 v41, 1
	s_mov_b32 s14, exec_lo
	v_cmpx_ne_u16_e32 0x80, v40
	s_cbranch_execz .LBB4_7216
; %bb.7209:                             ;   in Loop: Header=BB4_6458 Depth=2
	v_and_b32_e32 v41, 0x7c0000, v13
	v_bfe_u32 v42, v13, 16, 2
	s_delay_alu instid0(VALU_DEP_2) | instskip(SKIP_1) | instid1(SALU_CYCLE_1)
	v_cmp_ne_u32_e32 vcc_lo, 0x7c0000, v41
                                        ; implicit-def: $vgpr41
	s_and_saveexec_b32 s45, vcc_lo
	s_xor_b32 s45, exec_lo, s45
	s_cbranch_execz .LBB4_7213
; %bb.7210:                             ;   in Loop: Header=BB4_6458 Depth=2
	v_bfe_u32 v41, v13, 18, 5
	s_mov_b32 s46, exec_lo
	s_delay_alu instid0(VALU_DEP_1)
	v_cmpx_eq_u32_e32 0, v41
; %bb.7211:                             ;   in Loop: Header=BB4_6458 Depth=2
	v_clz_i32_u32_e32 v41, v42
	s_delay_alu instid0(VALU_DEP_1) | instskip(NEXT) | instid1(VALU_DEP_1)
	v_min_u32_e32 v41, 32, v41
	v_subrev_nc_u32_e32 v42, 29, v41
	s_delay_alu instid0(VALU_DEP_1) | instskip(NEXT) | instid1(VALU_DEP_1)
	v_lshlrev_b64_e32 v[42:43], v42, v[10:11]
	v_dual_sub_nc_u32 v41, 30, v41 :: v_dual_bitop2_b32 v42, 3, v42 bitop3:0x40
; %bb.7212:                             ;   in Loop: Header=BB4_6458 Depth=2
	s_or_b32 exec_lo, exec_lo, s46
	v_lshlrev_b32_e32 v43, 24, v10
	s_delay_alu instid0(VALU_DEP_1) | instskip(NEXT) | instid1(VALU_DEP_1)
	v_and_b32_e32 v43, 0x80000000, v43
	v_lshl_add_u32 v41, v41, 23, v43
	s_delay_alu instid0(VALU_DEP_1) | instskip(NEXT) | instid1(VALU_DEP_1)
	v_lshl_or_b32 v41, v42, 21, v41
                                        ; implicit-def: $vgpr42
	v_add_nc_u32_e32 v41, 0x38000000, v41
.LBB4_7213:                             ;   in Loop: Header=BB4_6458 Depth=2
	s_and_not1_saveexec_b32 s45, s45
; %bb.7214:                             ;   in Loop: Header=BB4_6458 Depth=2
	v_bfe_i32 v41, v10, 0, 8
	s_delay_alu instid0(VALU_DEP_1) | instskip(SKIP_2) | instid1(VALU_DEP_2)
	v_cmp_lt_i16_e32 vcc_lo, -1, v41
	v_cndmask_b32_e32 v41, 0xff800000, v109, vcc_lo
	v_cmp_eq_u32_e32 vcc_lo, 0, v42
	v_cndmask_b32_e32 v41, 0x7f800001, v41, vcc_lo
; %bb.7215:                             ;   in Loop: Header=BB4_6458 Depth=2
	s_or_b32 exec_lo, exec_lo, s45
.LBB4_7216:                             ;   in Loop: Header=BB4_6458 Depth=2
	s_delay_alu instid0(SALU_CYCLE_1)
	s_or_b32 exec_lo, exec_lo, s14
.LBB4_7217:                             ;   in Loop: Header=BB4_6458 Depth=2
	s_delay_alu instid0(SALU_CYCLE_1) | instskip(SKIP_3) | instid1(VALU_DEP_1)
	s_or_b32 exec_lo, exec_lo, s13
	v_and_b32_e32 v43, 0xff, v119
	s_mov_b32 s13, 0
	s_mov_b32 s14, exec_lo
	v_cmpx_lt_i16_e32 0x7f, v43
	s_xor_b32 s14, exec_lo, s14
	s_cbranch_execz .LBB4_7349
; %bb.7218:                             ;   in Loop: Header=BB4_6458 Depth=2
	s_mov_b32 s13, -1
	s_mov_b32 s45, exec_lo
	v_cmpx_eq_u16_e32 0x80, v43
; %bb.7219:                             ;   in Loop: Header=BB4_6458 Depth=2
	s_xor_b32 s13, exec_lo, -1
; %bb.7220:                             ;   in Loop: Header=BB4_6458 Depth=2
	s_or_b32 exec_lo, exec_lo, s45
	s_delay_alu instid0(SALU_CYCLE_1)
	s_and_b32 s13, s13, exec_lo
                                        ; implicit-def: $vgpr43
	s_or_saveexec_b32 s14, s14
	v_bfrev_b32_e32 v42, 1
	s_xor_b32 exec_lo, exec_lo, s14
	s_cbranch_execnz .LBB4_7350
.LBB4_7221:                             ;   in Loop: Header=BB4_6458 Depth=2
	s_or_b32 exec_lo, exec_lo, s14
	s_and_saveexec_b32 s14, s13
.LBB4_7222:                             ;   in Loop: Header=BB4_6458 Depth=2
	v_dual_cndmask_b32 v42, v14, v52, s11 :: v_dual_cndmask_b32 v43, v11, v118, s11
	s_delay_alu instid0(VALU_DEP_1) | instskip(NEXT) | instid1(VALU_DEP_1)
	v_lshl_add_u32 v42, v42, 23, v15
	v_lshl_or_b32 v42, v43, 21, v42
	s_delay_alu instid0(VALU_DEP_1)
	v_cndmask_b32_e64 v42, v42, v25, s10
.LBB4_7223:                             ;   in Loop: Header=BB4_6458 Depth=2
	s_or_b32 exec_lo, exec_lo, s14
	s_delay_alu instid0(VALU_DEP_1) | instskip(SKIP_1) | instid1(VALU_DEP_1)
	v_dual_max_num_f32 v42, v42, v42 :: v_dual_max_num_f32 v41, v41, v41
	s_mov_b32 s13, 0
	v_max_num_f32_e32 v41, v41, v42
.LBB4_7224:                             ;   in Loop: Header=BB4_6458 Depth=2
	s_and_b32 vcc_lo, exec_lo, s13
	s_cbranch_vccz .LBB4_7242
; %bb.7225:                             ;   in Loop: Header=BB4_6458 Depth=2
	v_mov_b32_e32 v41, 0
	s_and_saveexec_b32 s13, s12
	s_cbranch_execz .LBB4_7235
; %bb.7226:                             ;   in Loop: Header=BB4_6458 Depth=2
	v_bfrev_b32_e32 v41, 1
	s_mov_b32 s12, exec_lo
	v_cmpx_ne_u16_e32 0x80, v40
	s_cbranch_execz .LBB4_7234
; %bb.7227:                             ;   in Loop: Header=BB4_6458 Depth=2
	v_and_b32_e32 v41, 0x7c0000, v13
	v_bfe_u32 v40, v13, 16, 2
	s_delay_alu instid0(VALU_DEP_2) | instskip(SKIP_1) | instid1(SALU_CYCLE_1)
	v_cmp_ne_u32_e32 vcc_lo, 0x7c0000, v41
                                        ; implicit-def: $vgpr41
	s_and_saveexec_b32 s14, vcc_lo
	s_xor_b32 s14, exec_lo, s14
	s_cbranch_execz .LBB4_7231
; %bb.7228:                             ;   in Loop: Header=BB4_6458 Depth=2
	v_bfe_u32 v41, v13, 18, 5
	s_mov_b32 s45, exec_lo
	s_delay_alu instid0(VALU_DEP_1)
	v_cmpx_eq_u32_e32 0, v41
; %bb.7229:                             ;   in Loop: Header=BB4_6458 Depth=2
	v_clz_i32_u32_e32 v40, v40
	s_delay_alu instid0(VALU_DEP_1) | instskip(NEXT) | instid1(VALU_DEP_1)
	v_min_u32_e32 v42, 32, v40
	v_subrev_nc_u32_e32 v40, 29, v42
	s_delay_alu instid0(VALU_DEP_1) | instskip(NEXT) | instid1(VALU_DEP_1)
	v_lshlrev_b64_e32 v[40:41], v40, v[10:11]
	v_dual_sub_nc_u32 v41, 30, v42 :: v_dual_bitop2_b32 v40, 3, v40 bitop3:0x40
; %bb.7230:                             ;   in Loop: Header=BB4_6458 Depth=2
	s_or_b32 exec_lo, exec_lo, s45
	v_lshlrev_b32_e32 v10, 24, v10
	s_delay_alu instid0(VALU_DEP_1) | instskip(NEXT) | instid1(VALU_DEP_1)
	v_and_b32_e32 v10, 0x80000000, v10
	v_lshl_add_u32 v10, v41, 23, v10
	s_delay_alu instid0(VALU_DEP_1) | instskip(NEXT) | instid1(VALU_DEP_1)
	v_lshl_or_b32 v10, v40, 21, v10
                                        ; implicit-def: $vgpr40
	v_add_nc_u32_e32 v41, 0x38000000, v10
                                        ; implicit-def: $vgpr10
.LBB4_7231:                             ;   in Loop: Header=BB4_6458 Depth=2
	s_and_not1_saveexec_b32 s14, s14
; %bb.7232:                             ;   in Loop: Header=BB4_6458 Depth=2
	v_bfe_i32 v10, v10, 0, 8
	s_delay_alu instid0(VALU_DEP_1) | instskip(SKIP_2) | instid1(VALU_DEP_2)
	v_cmp_lt_i16_e32 vcc_lo, -1, v10
	v_cndmask_b32_e32 v10, 0xff800000, v109, vcc_lo
	v_cmp_eq_u32_e32 vcc_lo, 0, v40
	v_cndmask_b32_e32 v41, 0x7f800001, v10, vcc_lo
; %bb.7233:                             ;   in Loop: Header=BB4_6458 Depth=2
	s_or_b32 exec_lo, exec_lo, s14
.LBB4_7234:                             ;   in Loop: Header=BB4_6458 Depth=2
	s_delay_alu instid0(SALU_CYCLE_1)
	s_or_b32 exec_lo, exec_lo, s12
.LBB4_7235:                             ;   in Loop: Header=BB4_6458 Depth=2
	s_delay_alu instid0(SALU_CYCLE_1) | instskip(SKIP_3) | instid1(VALU_DEP_1)
	s_or_b32 exec_lo, exec_lo, s13
	v_and_b32_e32 v119, 0xff, v119
	s_mov_b32 s12, 0
	s_mov_b32 s13, exec_lo
	v_cmpx_lt_i16_e32 0x7f, v119
	s_xor_b32 s13, exec_lo, s13
	s_cbranch_execz .LBB4_7351
; %bb.7236:                             ;   in Loop: Header=BB4_6458 Depth=2
	s_mov_b32 s12, -1
	s_mov_b32 s14, exec_lo
	v_cmpx_eq_u16_e32 0x80, v119
; %bb.7237:                             ;   in Loop: Header=BB4_6458 Depth=2
	s_xor_b32 s12, exec_lo, -1
; %bb.7238:                             ;   in Loop: Header=BB4_6458 Depth=2
	s_or_b32 exec_lo, exec_lo, s14
	s_delay_alu instid0(SALU_CYCLE_1)
	s_and_b32 s12, s12, exec_lo
                                        ; implicit-def: $vgpr119
	s_or_saveexec_b32 s13, s13
	v_bfrev_b32_e32 v10, 1
	s_xor_b32 exec_lo, exec_lo, s13
	s_cbranch_execnz .LBB4_7352
.LBB4_7239:                             ;   in Loop: Header=BB4_6458 Depth=2
	s_or_b32 exec_lo, exec_lo, s13
	s_and_saveexec_b32 s13, s12
.LBB4_7240:                             ;   in Loop: Header=BB4_6458 Depth=2
	v_dual_cndmask_b32 v10, v14, v52, s11 :: v_dual_cndmask_b32 v11, v11, v118, s11
	s_delay_alu instid0(VALU_DEP_1) | instskip(NEXT) | instid1(VALU_DEP_1)
	v_lshl_add_u32 v10, v10, 23, v15
	v_lshl_or_b32 v10, v11, 21, v10
	s_delay_alu instid0(VALU_DEP_1)
	v_cndmask_b32_e64 v10, v10, v25, s10
.LBB4_7241:                             ;   in Loop: Header=BB4_6458 Depth=2
	s_or_b32 exec_lo, exec_lo, s13
	s_delay_alu instid0(VALU_DEP_1) | instskip(NEXT) | instid1(VALU_DEP_1)
	v_dual_max_num_f32 v10, v10, v10 :: v_dual_max_num_f32 v11, v41, v41
	v_min_num_f32_e32 v41, v11, v10
.LBB4_7242:                             ;   in Loop: Header=BB4_6458 Depth=2
	s_delay_alu instid0(VALU_DEP_1) | instskip(SKIP_2) | instid1(VALU_DEP_2)
	v_and_b32_e32 v10, 0x7f800000, v41
	v_mov_b32_e32 v11, v53
	v_and_b32_e32 v52, 0x7fffff, v41
                                        ; implicit-def: $vgpr14
	v_cmp_ne_u64_e32 vcc_lo, 0x7f800000, v[10:11]
	v_lshrrev_b32_e32 v10, 24, v41
	s_and_saveexec_b32 s10, vcc_lo
	s_delay_alu instid0(SALU_CYCLE_1)
	s_xor_b32 s11, exec_lo, s10
	s_cbranch_execz .LBB4_7256
; %bb.7243:                             ;   in Loop: Header=BB4_6458 Depth=2
	v_and_b32_e32 v14, 0x7fffffff, v41
	v_mov_b32_e32 v15, v53
	v_and_b32_e32 v25, 0x80, v10
	s_delay_alu instid0(VALU_DEP_2) | instskip(SKIP_1) | instid1(SALU_CYCLE_1)
	v_cmp_gt_u64_e32 vcc_lo, 0x47600001, v[14:15]
                                        ; implicit-def: $vgpr14
	s_and_saveexec_b32 s10, vcc_lo
	s_xor_b32 s12, exec_lo, s10
	s_cbranch_execz .LBB4_7253
; %bb.7244:                             ;   in Loop: Header=BB4_6458 Depth=2
	v_mov_b32_e32 v14, 0
	s_mov_b32 s13, exec_lo
	v_cmpx_ne_u32_e32 0, v41
	s_cbranch_execz .LBB4_7252
; %bb.7245:                             ;   in Loop: Header=BB4_6458 Depth=2
	v_bfe_u32 v118, v41, 23, 8
	v_or_b32_e32 v14, 0x800000, v52
	s_delay_alu instid0(VALU_DEP_2) | instskip(SKIP_1) | instid1(VALU_DEP_2)
	v_sub_nc_u32_e32 v10, 0x71, v118
	v_cmp_gt_u32_e32 vcc_lo, 0x72, v118
	v_cndmask_b32_e32 v10, 0, v10, vcc_lo
	v_cmp_eq_u32_e32 vcc_lo, 0, v118
	s_delay_alu instid0(VALU_DEP_2) | instskip(NEXT) | instid1(VALU_DEP_1)
	v_cndmask_b32_e64 v119, v10, 0x70, vcc_lo
	v_dual_cndmask_b32 v52, v14, v52, vcc_lo :: v_dual_add_nc_u32 v10, 21, v119
	v_add_nc_u32_e32 v15, 20, v119
	s_delay_alu instid0(VALU_DEP_2) | instskip(NEXT) | instid1(VALU_DEP_2)
	v_lshlrev_b64_e64 v[10:11], v10, -1
	v_lshlrev_b64_e64 v[14:15], v15, 1
	s_delay_alu instid0(VALU_DEP_2) | instskip(NEXT) | instid1(VALU_DEP_3)
	v_bfi_b32 v41, v11, 0, 0
	v_bfi_b32 v40, v10, 0, v52
	v_lshrrev_b64 v[10:11], v119, v[52:53]
	s_delay_alu instid0(VALU_DEP_2) | instskip(NEXT) | instid1(VALU_DEP_2)
	v_cmp_eq_u64_e64 s10, v[40:41], v[14:15]
	v_mov_b64_e32 v[14:15], v[10:11]
	s_and_saveexec_b32 s14, s10
; %bb.7246:                             ;   in Loop: Header=BB4_6458 Depth=2
	v_bfe_u32 v52, v10, 21, 1
	s_delay_alu instid0(VALU_DEP_1) | instskip(NEXT) | instid1(VALU_DEP_1)
	v_add_nc_u64_e32 v[14:15], v[10:11], v[52:53]
	v_add_nc_u64_e32 v[14:15], -1, v[14:15]
; %bb.7247:                             ;   in Loop: Header=BB4_6458 Depth=2
	s_or_b32 exec_lo, exec_lo, s14
	v_add_nc_u32_e32 v11, 0xffffff81, v118
	v_lshrrev_b32_e32 v15, 23, v10
	s_mov_b32 s10, exec_lo
	s_delay_alu instid0(VALU_DEP_2) | instskip(NEXT) | instid1(VALU_DEP_1)
	v_cndmask_b32_e64 v11, v11, 0xffffff82, vcc_lo
	v_add3_u32 v15, v119, v11, v15
	v_and_b32_e32 v11, 0x1fffff, v14
                                        ; implicit-def: $vgpr14
	s_delay_alu instid0(VALU_DEP_1) | instskip(NEXT) | instid1(VALU_DEP_1)
	v_dual_add_nc_u32 v118, 14, v15 :: v_dual_add_nc_u32 v52, v11, v10
                                        ; implicit-def: $vgpr10_vgpr11
	v_cmpx_ne_u32_e32 0, v118
	s_xor_b32 s10, exec_lo, s10
; %bb.7248:                             ;   in Loop: Header=BB4_6458 Depth=2
	s_delay_alu instid0(VALU_DEP_2) | instskip(SKIP_1) | instid1(VALU_DEP_1)
	v_cmp_lt_u64_e32 vcc_lo, 0xffffff, v[52:53]
	v_add_nc_u32_e32 v10, 15, v15
	v_cndmask_b32_e32 v14, v118, v10, vcc_lo
	v_cndmask_b32_e64 v10, 0, 1, vcc_lo
	s_delay_alu instid0(VALU_DEP_1)
	v_lshrrev_b64 v[10:11], v10, v[52:53]
; %bb.7249:                             ;   in Loop: Header=BB4_6458 Depth=2
	s_and_not1_saveexec_b32 s10, s10
; %bb.7250:                             ;   in Loop: Header=BB4_6458 Depth=2
	v_mov_b64_e32 v[10:11], v[52:53]
	v_bfe_u32 v14, v52, 23, 1
; %bb.7251:                             ;   in Loop: Header=BB4_6458 Depth=2
	s_or_b32 exec_lo, exec_lo, s10
	s_delay_alu instid0(VALU_DEP_2) | instskip(NEXT) | instid1(VALU_DEP_2)
	v_lshrrev_b64 v[10:11], 21, v[10:11]
	v_cmp_gt_i32_e32 vcc_lo, 32, v14
	v_min_i32_e32 v15, 31, v14
	v_cmp_eq_u32_e64 s10, 0, v14
	s_delay_alu instid0(VALU_DEP_4) | instskip(NEXT) | instid1(VALU_DEP_3)
	v_cndmask_b32_e32 v11, 0, v11, vcc_lo
	v_dual_cndmask_b32 v10, 3, v10 :: v_dual_lshlrev_b32 v15, 2, v15
	s_delay_alu instid0(VALU_DEP_1) | instskip(NEXT) | instid1(VALU_DEP_2)
	v_and_b32_e32 v15, 0xfc, v15
	v_cmp_eq_u64_e32 vcc_lo, 0, v[10:11]
	s_delay_alu instid0(VALU_DEP_2)
	v_and_or_b32 v10, v10, 3, v15
	s_and_b32 s10, s10, vcc_lo
	s_delay_alu instid0(VALU_DEP_1) | instid1(SALU_CYCLE_1)
	v_cndmask_b32_e64 v10, v10, 0, s10
	s_delay_alu instid0(VALU_DEP_1)
	v_or_b32_e32 v14, v10, v25
.LBB4_7252:                             ;   in Loop: Header=BB4_6458 Depth=2
	s_or_b32 exec_lo, exec_lo, s13
                                        ; implicit-def: $vgpr25
.LBB4_7253:                             ;   in Loop: Header=BB4_6458 Depth=2
	s_and_not1_saveexec_b32 s10, s12
; %bb.7254:                             ;   in Loop: Header=BB4_6458 Depth=2
	v_or_b32_e32 v14, 0x7b, v25
; %bb.7255:                             ;   in Loop: Header=BB4_6458 Depth=2
	s_or_b32 exec_lo, exec_lo, s10
                                        ; implicit-def: $vgpr41
                                        ; implicit-def: $vgpr10
.LBB4_7256:                             ;   in Loop: Header=BB4_6458 Depth=2
	s_and_not1_saveexec_b32 s10, s11
	s_cbranch_execz .LBB4_7262
; %bb.7257:                             ;   in Loop: Header=BB4_6458 Depth=2
	s_mov_b32 s11, exec_lo
                                        ; implicit-def: $vgpr14
	v_cmpx_ne_u64_e32 0, v[52:53]
	s_xor_b32 s11, exec_lo, s11
; %bb.7258:                             ;   in Loop: Header=BB4_6458 Depth=2
	v_or_b32_e32 v14, 0x7f, v10
                                        ; implicit-def: $vgpr41
; %bb.7259:                             ;   in Loop: Header=BB4_6458 Depth=2
	s_and_not1_saveexec_b32 s11, s11
; %bb.7260:                             ;   in Loop: Header=BB4_6458 Depth=2
	v_cmp_lt_i32_e32 vcc_lo, -1, v41
	v_cndmask_b32_e32 v14, 0xfc, v110, vcc_lo
; %bb.7261:                             ;   in Loop: Header=BB4_6458 Depth=2
	s_or_b32 exec_lo, exec_lo, s11
.LBB4_7262:                             ;   in Loop: Header=BB4_6458 Depth=2
	s_delay_alu instid0(SALU_CYCLE_1)
	s_or_b32 exec_lo, exec_lo, s10
	v_bfe_u32 v11, v17, 24, 2
	v_lshrrev_b32_e32 v52, 24, v17
	v_cmp_lt_i64_e32 vcc_lo, -1, v[16:17]
	v_cmp_gt_u64_e64 s10, s[18:19], v[16:17]
	v_and_b32_e32 v41, 0x7c000000, v17
	v_clz_i32_u32_e32 v15, v11
	v_cmp_lt_u64_e64 s14, s[16:17], v[12:13]
	v_and_or_b32 v25, 0x80000000, v17, s27
	v_cmp_eq_u32_e64 s11, 0x80, v52
	v_cndmask_b32_e32 v16, 0xff800000, v109, vcc_lo
	v_min_u32_e32 v40, 32, v15
	v_bfe_u32 v15, v17, 26, 5
	v_cmp_eq_u32_e32 vcc_lo, 0, v11
	v_lshrrev_b32_e32 v10, 24, v13
	v_cmp_eq_u32_e64 s12, 0x7c000000, v41
	v_subrev_nc_u32_e32 v118, 29, v40
	v_cmp_eq_u32_e64 s13, 0, v15
	v_cndmask_b32_e32 v16, 0x7f800001, v16, vcc_lo
	v_sub_nc_u32_e32 v17, 30, v40
	s_and_b32 vcc_lo, exec_lo, s44
	v_lshlrev_b64_e32 v[118:119], v118, v[52:53]
	s_mov_b32 s45, -1
	s_delay_alu instid0(VALU_DEP_1)
	v_and_b32_e32 v52, 3, v118
                                        ; implicit-def: $vgpr118
	s_cbranch_vccz .LBB4_7274
; %bb.7263:                             ;   in Loop: Header=BB4_6458 Depth=2
	v_mov_b32_e32 v118, 0
	s_and_saveexec_b32 s45, s14
	s_cbranch_execz .LBB4_7273
; %bb.7264:                             ;   in Loop: Header=BB4_6458 Depth=2
	v_bfrev_b32_e32 v118, 1
	s_mov_b32 s46, exec_lo
	v_cmpx_ne_u32_e32 0x80, v10
	s_cbranch_execz .LBB4_7272
; %bb.7265:                             ;   in Loop: Header=BB4_6458 Depth=2
	v_and_b32_e32 v118, 0x7c000000, v13
	v_bfe_u32 v119, v13, 24, 2
	s_delay_alu instid0(VALU_DEP_2) | instskip(SKIP_1) | instid1(SALU_CYCLE_1)
	v_cmp_ne_u32_e32 vcc_lo, 0x7c000000, v118
                                        ; implicit-def: $vgpr118
	s_and_saveexec_b32 s47, vcc_lo
	s_xor_b32 s47, exec_lo, s47
	s_cbranch_execz .LBB4_7269
; %bb.7266:                             ;   in Loop: Header=BB4_6458 Depth=2
	v_bfe_u32 v118, v13, 26, 5
	s_mov_b32 s56, exec_lo
	s_delay_alu instid0(VALU_DEP_1)
	v_cmpx_eq_u32_e32 0, v118
; %bb.7267:                             ;   in Loop: Header=BB4_6458 Depth=2
	v_clz_i32_u32_e32 v118, v119
	s_delay_alu instid0(VALU_DEP_1) | instskip(NEXT) | instid1(VALU_DEP_1)
	v_min_u32_e32 v118, 32, v118
	v_subrev_nc_u32_e32 v119, 29, v118
	s_delay_alu instid0(VALU_DEP_1) | instskip(NEXT) | instid1(VALU_DEP_1)
	v_lshlrev_b64_e32 v[40:41], v119, v[10:11]
	v_dual_sub_nc_u32 v118, 30, v118 :: v_dual_bitop2_b32 v119, 3, v40 bitop3:0x40
; %bb.7268:                             ;   in Loop: Header=BB4_6458 Depth=2
	s_or_b32 exec_lo, exec_lo, s56
	v_and_b32_e32 v40, 0x80000000, v13
	s_delay_alu instid0(VALU_DEP_1) | instskip(NEXT) | instid1(VALU_DEP_1)
	v_lshl_add_u32 v118, v118, 23, v40
	v_lshl_or_b32 v118, v119, 21, v118
                                        ; implicit-def: $vgpr119
	s_delay_alu instid0(VALU_DEP_1)
	v_add_nc_u32_e32 v118, 0x38000000, v118
.LBB4_7269:                             ;   in Loop: Header=BB4_6458 Depth=2
	s_and_not1_saveexec_b32 s47, s47
; %bb.7270:                             ;   in Loop: Header=BB4_6458 Depth=2
	v_cmp_lt_i64_e32 vcc_lo, -1, v[12:13]
	v_cndmask_b32_e32 v118, 0xff800000, v109, vcc_lo
	v_cmp_eq_u32_e32 vcc_lo, 0, v119
	s_delay_alu instid0(VALU_DEP_2)
	v_cndmask_b32_e32 v118, 0x7f800001, v118, vcc_lo
; %bb.7271:                             ;   in Loop: Header=BB4_6458 Depth=2
	s_or_b32 exec_lo, exec_lo, s47
.LBB4_7272:                             ;   in Loop: Header=BB4_6458 Depth=2
	s_delay_alu instid0(SALU_CYCLE_1)
	s_or_b32 exec_lo, exec_lo, s46
.LBB4_7273:                             ;   in Loop: Header=BB4_6458 Depth=2
	s_delay_alu instid0(SALU_CYCLE_1) | instskip(NEXT) | instid1(VALU_DEP_1)
	s_or_b32 exec_lo, exec_lo, s45
	v_dual_cndmask_b32 v119, v15, v17, s13 :: v_dual_max_num_f32 v118, v118, v118
	v_cndmask_b32_e64 v40, v11, v52, s13
	s_mov_b32 s45, 0
	s_delay_alu instid0(VALU_DEP_2) | instskip(NEXT) | instid1(VALU_DEP_1)
	v_lshl_add_u32 v119, v119, 23, v25
	v_lshl_or_b32 v119, v40, 21, v119
	s_delay_alu instid0(VALU_DEP_1) | instskip(NEXT) | instid1(VALU_DEP_1)
	v_cndmask_b32_e64 v119, v119, v16, s12
	v_cndmask_b32_e64 v119, v119, 0x80000000, s11
	s_delay_alu instid0(VALU_DEP_1) | instskip(NEXT) | instid1(VALU_DEP_1)
	v_cndmask_b32_e64 v119, v119, 0, s10
	v_max_num_f32_e32 v119, v119, v119
	s_delay_alu instid0(VALU_DEP_1)
	v_max_num_f32_e32 v118, v118, v119
.LBB4_7274:                             ;   in Loop: Header=BB4_6458 Depth=2
	s_and_b32 vcc_lo, exec_lo, s45
	s_cbranch_vccz .LBB4_7286
; %bb.7275:                             ;   in Loop: Header=BB4_6458 Depth=2
	v_mov_b32_e32 v118, 0
	s_and_saveexec_b32 s45, s14
	s_cbranch_execz .LBB4_7285
; %bb.7276:                             ;   in Loop: Header=BB4_6458 Depth=2
	v_bfrev_b32_e32 v118, 1
	s_mov_b32 s14, exec_lo
	v_cmpx_ne_u32_e32 0x80, v10
	s_cbranch_execz .LBB4_7284
; %bb.7277:                             ;   in Loop: Header=BB4_6458 Depth=2
	v_and_b32_e32 v118, 0x7c000000, v13
	v_bfe_u32 v119, v13, 24, 2
	s_delay_alu instid0(VALU_DEP_2) | instskip(SKIP_1) | instid1(SALU_CYCLE_1)
	v_cmp_ne_u32_e32 vcc_lo, 0x7c000000, v118
                                        ; implicit-def: $vgpr118
	s_and_saveexec_b32 s46, vcc_lo
	s_xor_b32 s46, exec_lo, s46
	s_cbranch_execz .LBB4_7281
; %bb.7278:                             ;   in Loop: Header=BB4_6458 Depth=2
	v_bfe_u32 v12, v13, 26, 5
	s_mov_b32 s47, exec_lo
	s_delay_alu instid0(VALU_DEP_1)
	v_cmpx_eq_u32_e32 0, v12
; %bb.7279:                             ;   in Loop: Header=BB4_6458 Depth=2
	v_clz_i32_u32_e32 v12, v119
	s_delay_alu instid0(VALU_DEP_1) | instskip(NEXT) | instid1(VALU_DEP_1)
	v_min_u32_e32 v12, 32, v12
	v_subrev_nc_u32_e32 v118, 29, v12
	s_delay_alu instid0(VALU_DEP_1) | instskip(NEXT) | instid1(VALU_DEP_1)
	v_lshlrev_b64_e32 v[118:119], v118, v[10:11]
	v_dual_sub_nc_u32 v12, 30, v12 :: v_dual_bitop2_b32 v119, 3, v118 bitop3:0x40
; %bb.7280:                             ;   in Loop: Header=BB4_6458 Depth=2
	s_or_b32 exec_lo, exec_lo, s47
	v_and_b32_e32 v10, 0x80000000, v13
	s_delay_alu instid0(VALU_DEP_1) | instskip(NEXT) | instid1(VALU_DEP_1)
	v_lshl_add_u32 v10, v12, 23, v10
                                        ; implicit-def: $vgpr12_vgpr13
	v_lshl_or_b32 v10, v119, 21, v10
                                        ; implicit-def: $vgpr119
	s_delay_alu instid0(VALU_DEP_1)
	v_add_nc_u32_e32 v118, 0x38000000, v10
.LBB4_7281:                             ;   in Loop: Header=BB4_6458 Depth=2
	s_and_not1_saveexec_b32 s46, s46
; %bb.7282:                             ;   in Loop: Header=BB4_6458 Depth=2
	v_cmp_lt_i64_e32 vcc_lo, -1, v[12:13]
	v_cndmask_b32_e32 v10, 0xff800000, v109, vcc_lo
	v_cmp_eq_u32_e32 vcc_lo, 0, v119
	s_delay_alu instid0(VALU_DEP_2)
	v_cndmask_b32_e32 v118, 0x7f800001, v10, vcc_lo
; %bb.7283:                             ;   in Loop: Header=BB4_6458 Depth=2
	s_or_b32 exec_lo, exec_lo, s46
.LBB4_7284:                             ;   in Loop: Header=BB4_6458 Depth=2
	s_delay_alu instid0(SALU_CYCLE_1)
	s_or_b32 exec_lo, exec_lo, s14
.LBB4_7285:                             ;   in Loop: Header=BB4_6458 Depth=2
	s_delay_alu instid0(SALU_CYCLE_1) | instskip(SKIP_2) | instid1(VALU_DEP_2)
	s_or_b32 exec_lo, exec_lo, s45
	v_cndmask_b32_e64 v10, v15, v17, s13
	v_cndmask_b32_e64 v11, v11, v52, s13
	v_lshl_add_u32 v10, v10, 23, v25
	s_delay_alu instid0(VALU_DEP_1) | instskip(SKIP_1) | instid1(VALU_DEP_2)
	v_lshl_or_b32 v10, v11, 21, v10
	v_max_num_f32_e32 v11, v118, v118
	v_cndmask_b32_e64 v10, v10, v16, s12
	s_delay_alu instid0(VALU_DEP_1) | instskip(NEXT) | instid1(VALU_DEP_1)
	v_cndmask_b32_e64 v10, v10, 0x80000000, s11
	v_cndmask_b32_e64 v10, v10, 0, s10
	s_delay_alu instid0(VALU_DEP_1) | instskip(NEXT) | instid1(VALU_DEP_1)
	v_max_num_f32_e32 v10, v10, v10
	v_min_num_f32_e32 v118, v11, v10
.LBB4_7286:                             ;   in Loop: Header=BB4_6458 Depth=2
	s_delay_alu instid0(VALU_DEP_1) | instskip(SKIP_2) | instid1(VALU_DEP_2)
	v_and_b32_e32 v10, 0x7f800000, v118
	v_mov_b32_e32 v11, v53
	v_and_b32_e32 v52, 0x7fffff, v118
	v_cmp_ne_u64_e32 vcc_lo, 0x7f800000, v[10:11]
	v_lshrrev_b32_e32 v11, 24, v118
                                        ; implicit-def: $vgpr10
	s_and_saveexec_b32 s10, vcc_lo
	s_delay_alu instid0(SALU_CYCLE_1)
	s_xor_b32 s11, exec_lo, s10
	s_cbranch_execz .LBB4_7300
; %bb.7287:                             ;   in Loop: Header=BB4_6458 Depth=2
	v_and_b32_e32 v12, 0x7fffffff, v118
	v_mov_b32_e32 v13, v53
	v_and_b32_e32 v15, 0x80, v11
                                        ; implicit-def: $vgpr10
	s_mov_b32 s10, exec_lo
	s_delay_alu instid0(VALU_DEP_2)
	v_cmpx_gt_u64_e32 0x47600001, v[12:13]
	s_xor_b32 s12, exec_lo, s10
	s_cbranch_execz .LBB4_7297
; %bb.7288:                             ;   in Loop: Header=BB4_6458 Depth=2
	v_mov_b32_e32 v10, 0
	s_mov_b32 s13, exec_lo
	v_cmpx_ne_u32_e32 0, v118
	s_cbranch_execz .LBB4_7296
; %bb.7289:                             ;   in Loop: Header=BB4_6458 Depth=2
	v_bfe_u32 v16, v118, 23, 8
	v_or_b32_e32 v12, 0x800000, v52
	s_delay_alu instid0(VALU_DEP_2) | instskip(SKIP_1) | instid1(VALU_DEP_2)
	v_sub_nc_u32_e32 v10, 0x71, v16
	v_cmp_gt_u32_e32 vcc_lo, 0x72, v16
	v_cndmask_b32_e32 v10, 0, v10, vcc_lo
	v_cmp_eq_u32_e32 vcc_lo, 0, v16
	s_delay_alu instid0(VALU_DEP_2) | instskip(NEXT) | instid1(VALU_DEP_1)
	v_cndmask_b32_e64 v17, v10, 0x70, vcc_lo
	v_dual_cndmask_b32 v52, v12, v52, vcc_lo :: v_dual_add_nc_u32 v10, 21, v17
	v_add_nc_u32_e32 v13, 20, v17
	s_delay_alu instid0(VALU_DEP_2) | instskip(NEXT) | instid1(VALU_DEP_2)
	v_lshlrev_b64_e64 v[10:11], v10, -1
	v_lshlrev_b64_e64 v[12:13], v13, 1
	s_delay_alu instid0(VALU_DEP_2) | instskip(NEXT) | instid1(VALU_DEP_3)
	v_bfi_b32 v119, v11, 0, 0
	v_bfi_b32 v118, v10, 0, v52
	v_lshrrev_b64 v[10:11], v17, v[52:53]
	s_delay_alu instid0(VALU_DEP_2) | instskip(NEXT) | instid1(VALU_DEP_2)
	v_cmp_eq_u64_e64 s10, v[118:119], v[12:13]
	v_mov_b64_e32 v[12:13], v[10:11]
	s_and_saveexec_b32 s14, s10
; %bb.7290:                             ;   in Loop: Header=BB4_6458 Depth=2
	v_bfe_u32 v52, v10, 21, 1
	s_delay_alu instid0(VALU_DEP_1) | instskip(NEXT) | instid1(VALU_DEP_1)
	v_add_nc_u64_e32 v[12:13], v[10:11], v[52:53]
	v_add_nc_u64_e32 v[12:13], -1, v[12:13]
; %bb.7291:                             ;   in Loop: Header=BB4_6458 Depth=2
	s_or_b32 exec_lo, exec_lo, s14
	v_add_nc_u32_e32 v11, 0xffffff81, v16
	v_lshrrev_b32_e32 v13, 23, v10
	s_mov_b32 s10, exec_lo
	s_delay_alu instid0(VALU_DEP_2) | instskip(NEXT) | instid1(VALU_DEP_1)
	v_cndmask_b32_e64 v11, v11, 0xffffff82, vcc_lo
	v_add3_u32 v13, v17, v11, v13
	v_and_b32_e32 v11, 0x1fffff, v12
                                        ; implicit-def: $vgpr12
	s_delay_alu instid0(VALU_DEP_1) | instskip(NEXT) | instid1(VALU_DEP_1)
	v_dual_add_nc_u32 v16, 14, v13 :: v_dual_add_nc_u32 v52, v11, v10
                                        ; implicit-def: $vgpr10_vgpr11
	v_cmpx_ne_u32_e32 0, v16
	s_xor_b32 s10, exec_lo, s10
; %bb.7292:                             ;   in Loop: Header=BB4_6458 Depth=2
	s_delay_alu instid0(VALU_DEP_2) | instskip(SKIP_1) | instid1(VALU_DEP_1)
	v_cmp_lt_u64_e32 vcc_lo, 0xffffff, v[52:53]
	v_add_nc_u32_e32 v10, 15, v13
	v_cndmask_b32_e32 v12, v16, v10, vcc_lo
	v_cndmask_b32_e64 v10, 0, 1, vcc_lo
	s_delay_alu instid0(VALU_DEP_1)
	v_lshrrev_b64 v[10:11], v10, v[52:53]
; %bb.7293:                             ;   in Loop: Header=BB4_6458 Depth=2
	s_and_not1_saveexec_b32 s10, s10
; %bb.7294:                             ;   in Loop: Header=BB4_6458 Depth=2
	v_mov_b64_e32 v[10:11], v[52:53]
	v_bfe_u32 v12, v52, 23, 1
; %bb.7295:                             ;   in Loop: Header=BB4_6458 Depth=2
	s_or_b32 exec_lo, exec_lo, s10
	s_delay_alu instid0(VALU_DEP_2) | instskip(NEXT) | instid1(VALU_DEP_2)
	v_lshrrev_b64 v[10:11], 21, v[10:11]
	v_cmp_gt_i32_e32 vcc_lo, 32, v12
	v_min_i32_e32 v13, 31, v12
	v_cmp_eq_u32_e64 s10, 0, v12
	s_delay_alu instid0(VALU_DEP_2) | instskip(SKIP_1) | instid1(VALU_DEP_2)
	v_dual_cndmask_b32 v11, 0, v11, vcc_lo :: v_dual_lshlrev_b32 v13, 2, v13
	v_cndmask_b32_e32 v10, 3, v10, vcc_lo
	v_and_b32_e32 v13, 0xfc, v13
	s_delay_alu instid0(VALU_DEP_2) | instskip(NEXT) | instid1(VALU_DEP_2)
	v_cmp_eq_u64_e32 vcc_lo, 0, v[10:11]
	v_and_or_b32 v10, v10, 3, v13
	s_and_b32 s10, s10, vcc_lo
	s_delay_alu instid0(VALU_DEP_1) | instid1(SALU_CYCLE_1)
	v_cndmask_b32_e64 v10, v10, 0, s10
	s_delay_alu instid0(VALU_DEP_1)
	v_or_b32_e32 v10, v10, v15
.LBB4_7296:                             ;   in Loop: Header=BB4_6458 Depth=2
	s_or_b32 exec_lo, exec_lo, s13
                                        ; implicit-def: $vgpr15
.LBB4_7297:                             ;   in Loop: Header=BB4_6458 Depth=2
	s_and_not1_saveexec_b32 s10, s12
; %bb.7298:                             ;   in Loop: Header=BB4_6458 Depth=2
	v_or_b32_e32 v10, 0x7b, v15
; %bb.7299:                             ;   in Loop: Header=BB4_6458 Depth=2
	s_or_b32 exec_lo, exec_lo, s10
                                        ; implicit-def: $vgpr118
                                        ; implicit-def: $vgpr11
.LBB4_7300:                             ;   in Loop: Header=BB4_6458 Depth=2
	s_and_not1_saveexec_b32 s10, s11
	s_cbranch_execz .LBB4_6457
; %bb.7301:                             ;   in Loop: Header=BB4_6458 Depth=2
	s_mov_b32 s11, exec_lo
                                        ; implicit-def: $vgpr10
	v_cmpx_ne_u64_e32 0, v[52:53]
	s_xor_b32 s11, exec_lo, s11
; %bb.7302:                             ;   in Loop: Header=BB4_6458 Depth=2
	v_or_b32_e32 v10, 0x7f, v11
                                        ; implicit-def: $vgpr118
; %bb.7303:                             ;   in Loop: Header=BB4_6458 Depth=2
	s_and_not1_saveexec_b32 s11, s11
	s_cbranch_execz .LBB4_6456
; %bb.7304:                             ;   in Loop: Header=BB4_6458 Depth=2
	v_cmp_lt_i32_e32 vcc_lo, -1, v118
	v_cndmask_b32_e32 v10, 0xfc, v110, vcc_lo
	s_branch .LBB4_6456
.LBB4_7305:                             ;   in Loop: Header=BB4_6458 Depth=2
	s_or_saveexec_b32 s14, s14
	v_bfrev_b32_e32 v103, 1
	s_xor_b32 exec_lo, exec_lo, s14
	s_cbranch_execz .LBB4_6473
.LBB4_7306:                             ;   in Loop: Header=BB4_6458 Depth=2
	v_cmp_ne_u16_e32 vcc_lo, 0, v112
	v_mov_b32_e32 v103, 0
	s_and_not1_b32 s13, s13, exec_lo
	s_and_b32 s45, vcc_lo, exec_lo
	s_delay_alu instid0(SALU_CYCLE_1)
	s_or_b32 s13, s13, s45
	s_or_b32 exec_lo, exec_lo, s14
	s_and_saveexec_b32 s14, s13
	s_cbranch_execnz .LBB4_6474
	s_branch .LBB4_6475
.LBB4_7307:                             ;   in Loop: Header=BB4_6458 Depth=2
	s_or_saveexec_b32 s13, s13
	v_bfrev_b32_e32 v99, 1
	s_xor_b32 exec_lo, exec_lo, s13
	s_cbranch_execz .LBB4_6491
.LBB4_7308:                             ;   in Loop: Header=BB4_6458 Depth=2
	v_cmp_ne_u16_e32 vcc_lo, 0, v101
	v_mov_b32_e32 v99, 0
	s_and_not1_b32 s12, s12, exec_lo
	s_and_b32 s14, vcc_lo, exec_lo
	s_delay_alu instid0(SALU_CYCLE_1)
	s_or_b32 s12, s12, s14
	s_or_b32 exec_lo, exec_lo, s13
	s_and_saveexec_b32 s13, s12
	s_cbranch_execnz .LBB4_6492
	s_branch .LBB4_6493
.LBB4_7309:                             ;   in Loop: Header=BB4_6458 Depth=2
	s_or_saveexec_b32 s14, s14
	v_bfrev_b32_e32 v113, 1
	s_xor_b32 exec_lo, exec_lo, s14
	s_cbranch_execz .LBB4_6529
.LBB4_7310:                             ;   in Loop: Header=BB4_6458 Depth=2
	v_cmp_ne_u16_e32 vcc_lo, 0, v52
	v_mov_b32_e32 v113, 0
	s_and_not1_b32 s13, s13, exec_lo
	s_and_b32 s45, vcc_lo, exec_lo
	s_delay_alu instid0(SALU_CYCLE_1)
	s_or_b32 s13, s13, s45
	s_or_b32 exec_lo, exec_lo, s14
	s_and_saveexec_b32 s14, s13
	s_cbranch_execnz .LBB4_6530
	s_branch .LBB4_6531
.LBB4_7311:                             ;   in Loop: Header=BB4_6458 Depth=2
	s_or_saveexec_b32 s13, s13
	v_bfrev_b32_e32 v24, 1
	s_xor_b32 exec_lo, exec_lo, s13
	s_cbranch_execz .LBB4_6547
.LBB4_7312:                             ;   in Loop: Header=BB4_6458 Depth=2
	v_cmp_ne_u16_e32 vcc_lo, 0, v52
	v_mov_b32_e32 v24, 0
	s_and_not1_b32 s12, s12, exec_lo
	s_and_b32 s14, vcc_lo, exec_lo
	s_delay_alu instid0(SALU_CYCLE_1)
	s_or_b32 s12, s12, s14
	s_or_b32 exec_lo, exec_lo, s13
	s_and_saveexec_b32 s13, s12
	s_cbranch_execnz .LBB4_6548
	s_branch .LBB4_6549
.LBB4_7313:                             ;   in Loop: Header=BB4_6458 Depth=2
	s_or_saveexec_b32 s14, s14
	v_bfrev_b32_e32 v114, 1
	s_xor_b32 exec_lo, exec_lo, s14
	s_cbranch_execz .LBB4_6585
.LBB4_7314:                             ;   in Loop: Header=BB4_6458 Depth=2
	v_cmp_ne_u16_e32 vcc_lo, 0, v115
	v_mov_b32_e32 v114, 0
	s_and_not1_b32 s13, s13, exec_lo
	s_and_b32 s45, vcc_lo, exec_lo
	s_delay_alu instid0(SALU_CYCLE_1)
	s_or_b32 s13, s13, s45
	s_or_b32 exec_lo, exec_lo, s14
	s_and_saveexec_b32 s14, s13
	s_cbranch_execnz .LBB4_6586
	s_branch .LBB4_6587
.LBB4_7315:                             ;   in Loop: Header=BB4_6458 Depth=2
	s_or_saveexec_b32 s13, s13
	v_bfrev_b32_e32 v24, 1
	s_xor_b32 exec_lo, exec_lo, s13
	s_cbranch_execz .LBB4_6603
.LBB4_7316:                             ;   in Loop: Header=BB4_6458 Depth=2
	v_cmp_ne_u16_e32 vcc_lo, 0, v103
	v_mov_b32_e32 v24, 0
	s_and_not1_b32 s12, s12, exec_lo
	s_and_b32 s14, vcc_lo, exec_lo
	s_delay_alu instid0(SALU_CYCLE_1)
	s_or_b32 s12, s12, s14
	s_or_b32 exec_lo, exec_lo, s13
	s_and_saveexec_b32 s13, s12
	s_cbranch_execnz .LBB4_6604
	s_branch .LBB4_6605
.LBB4_7317:                             ;   in Loop: Header=BB4_6458 Depth=2
	s_or_saveexec_b32 s14, s14
	v_bfrev_b32_e32 v118, 1
	s_xor_b32 exec_lo, exec_lo, s14
	s_cbranch_execz .LBB4_6685
.LBB4_7318:                             ;   in Loop: Header=BB4_6458 Depth=2
	v_cmp_ne_u16_e32 vcc_lo, 0, v119
	v_mov_b32_e32 v118, 0
	s_and_not1_b32 s13, s13, exec_lo
	s_and_b32 s45, vcc_lo, exec_lo
	s_delay_alu instid0(SALU_CYCLE_1)
	s_or_b32 s13, s13, s45
	s_or_b32 exec_lo, exec_lo, s14
	s_and_saveexec_b32 s14, s13
	s_cbranch_execnz .LBB4_6686
	s_branch .LBB4_6687
.LBB4_7319:                             ;   in Loop: Header=BB4_6458 Depth=2
	s_or_saveexec_b32 s13, s13
	v_bfrev_b32_e32 v25, 1
	s_xor_b32 exec_lo, exec_lo, s13
	s_cbranch_execz .LBB4_6703
.LBB4_7320:                             ;   in Loop: Header=BB4_6458 Depth=2
	v_cmp_ne_u16_e32 vcc_lo, 0, v115
	v_mov_b32_e32 v25, 0
	s_and_not1_b32 s12, s12, exec_lo
	s_and_b32 s14, vcc_lo, exec_lo
	s_delay_alu instid0(SALU_CYCLE_1)
	s_or_b32 s12, s12, s14
	s_or_b32 exec_lo, exec_lo, s13
	s_and_saveexec_b32 s13, s12
	s_cbranch_execnz .LBB4_6704
	s_branch .LBB4_6705
.LBB4_7321:                             ;   in Loop: Header=BB4_6458 Depth=2
	s_or_saveexec_b32 s14, s14
	v_bfrev_b32_e32 v118, 1
	s_xor_b32 exec_lo, exec_lo, s14
	s_cbranch_execz .LBB4_6741
.LBB4_7322:                             ;   in Loop: Header=BB4_6458 Depth=2
	v_cmp_ne_u16_e32 vcc_lo, 0, v96
	v_mov_b32_e32 v118, 0
	s_and_not1_b32 s13, s13, exec_lo
	s_and_b32 s45, vcc_lo, exec_lo
	s_delay_alu instid0(SALU_CYCLE_1)
	s_or_b32 s13, s13, s45
	s_or_b32 exec_lo, exec_lo, s14
	s_and_saveexec_b32 s14, s13
	s_cbranch_execnz .LBB4_6742
	s_branch .LBB4_6743
.LBB4_7323:                             ;   in Loop: Header=BB4_6458 Depth=2
	s_or_saveexec_b32 s13, s13
	v_bfrev_b32_e32 v24, 1
	s_xor_b32 exec_lo, exec_lo, s13
	s_cbranch_execz .LBB4_6759
.LBB4_7324:                             ;   in Loop: Header=BB4_6458 Depth=2
	v_cmp_ne_u16_e32 vcc_lo, 0, v96
	v_mov_b32_e32 v24, 0
	s_and_not1_b32 s12, s12, exec_lo
	s_and_b32 s14, vcc_lo, exec_lo
	s_delay_alu instid0(SALU_CYCLE_1)
	s_or_b32 s12, s12, s14
	s_or_b32 exec_lo, exec_lo, s13
	s_and_saveexec_b32 s13, s12
	s_cbranch_execnz .LBB4_6760
	s_branch .LBB4_6761
.LBB4_7325:                             ;   in Loop: Header=BB4_6458 Depth=2
	s_or_saveexec_b32 s14, s14
	v_bfrev_b32_e32 v118, 1
	s_xor_b32 exec_lo, exec_lo, s14
	s_cbranch_execz .LBB4_6797
.LBB4_7326:                             ;   in Loop: Header=BB4_6458 Depth=2
	v_cmp_ne_u16_e32 vcc_lo, 0, v119
	v_mov_b32_e32 v118, 0
	s_and_not1_b32 s13, s13, exec_lo
	s_and_b32 s45, vcc_lo, exec_lo
	s_delay_alu instid0(SALU_CYCLE_1)
	s_or_b32 s13, s13, s45
	s_or_b32 exec_lo, exec_lo, s14
	s_and_saveexec_b32 s14, s13
	s_cbranch_execnz .LBB4_6798
	s_branch .LBB4_6799
.LBB4_7327:                             ;   in Loop: Header=BB4_6458 Depth=2
	s_or_saveexec_b32 s13, s13
	v_bfrev_b32_e32 v24, 1
	s_xor_b32 exec_lo, exec_lo, s13
	s_cbranch_execz .LBB4_6815
.LBB4_7328:                             ;   in Loop: Header=BB4_6458 Depth=2
	v_cmp_ne_u16_e32 vcc_lo, 0, v115
	v_mov_b32_e32 v24, 0
	s_and_not1_b32 s12, s12, exec_lo
	s_and_b32 s14, vcc_lo, exec_lo
	s_delay_alu instid0(SALU_CYCLE_1)
	s_or_b32 s12, s12, s14
	s_or_b32 exec_lo, exec_lo, s13
	s_and_saveexec_b32 s13, s12
	s_cbranch_execnz .LBB4_6816
	s_branch .LBB4_6817
.LBB4_7329:                             ;   in Loop: Header=BB4_6458 Depth=2
	s_or_saveexec_b32 s14, s14
	v_bfrev_b32_e32 v115, 1
	s_xor_b32 exec_lo, exec_lo, s14
	s_cbranch_execz .LBB4_6897
.LBB4_7330:                             ;   in Loop: Header=BB4_6458 Depth=2
	v_cmp_ne_u16_e32 vcc_lo, 0, v116
	v_mov_b32_e32 v115, 0
	s_and_not1_b32 s13, s13, exec_lo
	s_and_b32 s45, vcc_lo, exec_lo
	s_delay_alu instid0(SALU_CYCLE_1)
	s_or_b32 s13, s13, s45
	s_or_b32 exec_lo, exec_lo, s14
	s_and_saveexec_b32 s14, s13
	s_cbranch_execnz .LBB4_6898
	s_branch .LBB4_6899
.LBB4_7331:                             ;   in Loop: Header=BB4_6458 Depth=2
	s_or_saveexec_b32 s13, s13
	v_bfrev_b32_e32 v52, 1
	s_xor_b32 exec_lo, exec_lo, s13
	s_cbranch_execz .LBB4_6915
.LBB4_7332:                             ;   in Loop: Header=BB4_6458 Depth=2
	v_cmp_ne_u16_e32 vcc_lo, 0, v99
	v_mov_b32_e32 v52, 0
	s_and_not1_b32 s12, s12, exec_lo
	s_and_b32 s14, vcc_lo, exec_lo
	s_delay_alu instid0(SALU_CYCLE_1)
	s_or_b32 s12, s12, s14
	s_or_b32 exec_lo, exec_lo, s13
	s_and_saveexec_b32 s13, s12
	s_cbranch_execnz .LBB4_6916
	s_branch .LBB4_6917
.LBB4_7333:                             ;   in Loop: Header=BB4_6458 Depth=2
	s_or_saveexec_b32 s14, s14
	v_bfrev_b32_e32 v117, 1
	s_xor_b32 exec_lo, exec_lo, s14
	s_cbranch_execz .LBB4_6953
.LBB4_7334:                             ;   in Loop: Header=BB4_6458 Depth=2
	v_cmp_ne_u16_e32 vcc_lo, 0, v52
	v_mov_b32_e32 v117, 0
	s_and_not1_b32 s13, s13, exec_lo
	s_and_b32 s45, vcc_lo, exec_lo
	s_delay_alu instid0(SALU_CYCLE_1)
	s_or_b32 s13, s13, s45
	s_or_b32 exec_lo, exec_lo, s14
	s_and_saveexec_b32 s14, s13
	s_cbranch_execnz .LBB4_6954
	s_branch .LBB4_6955
.LBB4_7335:                             ;   in Loop: Header=BB4_6458 Depth=2
	s_or_saveexec_b32 s13, s13
	v_bfrev_b32_e32 v10, 1
	s_xor_b32 exec_lo, exec_lo, s13
	s_cbranch_execz .LBB4_6971
.LBB4_7336:                             ;   in Loop: Header=BB4_6458 Depth=2
	v_cmp_ne_u16_e32 vcc_lo, 0, v52
	v_mov_b32_e32 v10, 0
	s_and_not1_b32 s12, s12, exec_lo
	s_and_b32 s14, vcc_lo, exec_lo
	s_delay_alu instid0(SALU_CYCLE_1)
	s_or_b32 s12, s12, s14
	s_or_b32 exec_lo, exec_lo, s13
	s_and_saveexec_b32 s13, s12
	s_cbranch_execnz .LBB4_6972
	s_branch .LBB4_6973
.LBB4_7337:                             ;   in Loop: Header=BB4_6458 Depth=2
	s_or_saveexec_b32 s14, s14
	v_bfrev_b32_e32 v118, 1
	s_xor_b32 exec_lo, exec_lo, s14
	s_cbranch_execz .LBB4_7009
.LBB4_7338:                             ;   in Loop: Header=BB4_6458 Depth=2
	v_cmp_ne_u16_e32 vcc_lo, 0, v119
	v_mov_b32_e32 v118, 0
	s_and_not1_b32 s13, s13, exec_lo
	s_and_b32 s45, vcc_lo, exec_lo
	s_delay_alu instid0(SALU_CYCLE_1)
	s_or_b32 s13, s13, s45
	s_or_b32 exec_lo, exec_lo, s14
	s_and_saveexec_b32 s14, s13
	s_cbranch_execnz .LBB4_7010
	s_branch .LBB4_7011
.LBB4_7339:                             ;   in Loop: Header=BB4_6458 Depth=2
	s_or_saveexec_b32 s13, s13
	v_bfrev_b32_e32 v10, 1
	s_xor_b32 exec_lo, exec_lo, s13
	s_cbranch_execz .LBB4_7027
.LBB4_7340:                             ;   in Loop: Header=BB4_6458 Depth=2
	v_cmp_ne_u16_e32 vcc_lo, 0, v115
	v_mov_b32_e32 v10, 0
	s_and_not1_b32 s12, s12, exec_lo
	s_and_b32 s14, vcc_lo, exec_lo
	s_delay_alu instid0(SALU_CYCLE_1)
	s_or_b32 s12, s12, s14
	s_or_b32 exec_lo, exec_lo, s13
	s_and_saveexec_b32 s13, s12
	s_cbranch_execnz .LBB4_7028
	s_branch .LBB4_7029
.LBB4_7341:                             ;   in Loop: Header=BB4_6458 Depth=2
	s_or_saveexec_b32 s14, s14
	v_bfrev_b32_e32 v41, 1
	s_xor_b32 exec_lo, exec_lo, s14
	s_cbranch_execz .LBB4_7109
.LBB4_7342:                             ;   in Loop: Header=BB4_6458 Depth=2
	v_cmp_ne_u16_e32 vcc_lo, 0, v42
	v_mov_b32_e32 v41, 0
	s_and_not1_b32 s13, s13, exec_lo
	s_and_b32 s45, vcc_lo, exec_lo
	s_delay_alu instid0(SALU_CYCLE_1)
	s_or_b32 s13, s13, s45
	s_or_b32 exec_lo, exec_lo, s14
	s_and_saveexec_b32 s14, s13
	s_cbranch_execnz .LBB4_7110
	s_branch .LBB4_7111
.LBB4_7343:                             ;   in Loop: Header=BB4_6458 Depth=2
	s_or_saveexec_b32 s13, s13
	v_bfrev_b32_e32 v118, 1
	s_xor_b32 exec_lo, exec_lo, s13
	s_cbranch_execz .LBB4_7127
.LBB4_7344:                             ;   in Loop: Header=BB4_6458 Depth=2
	v_cmp_ne_u16_e32 vcc_lo, 0, v119
	v_mov_b32_e32 v118, 0
	s_and_not1_b32 s12, s12, exec_lo
	s_and_b32 s14, vcc_lo, exec_lo
	s_delay_alu instid0(SALU_CYCLE_1)
	s_or_b32 s12, s12, s14
	s_or_b32 exec_lo, exec_lo, s13
	s_and_saveexec_b32 s13, s12
	s_cbranch_execnz .LBB4_7128
	s_branch .LBB4_7129
.LBB4_7345:                             ;   in Loop: Header=BB4_6458 Depth=2
	s_or_saveexec_b32 s14, s14
	v_bfrev_b32_e32 v42, 1
	s_xor_b32 exec_lo, exec_lo, s14
	s_cbranch_execz .LBB4_7165
.LBB4_7346:                             ;   in Loop: Header=BB4_6458 Depth=2
	v_cmp_ne_u16_e32 vcc_lo, 0, v14
	v_mov_b32_e32 v42, 0
	s_and_not1_b32 s13, s13, exec_lo
	s_and_b32 s45, vcc_lo, exec_lo
	s_delay_alu instid0(SALU_CYCLE_1)
	s_or_b32 s13, s13, s45
	s_or_b32 exec_lo, exec_lo, s14
	s_and_saveexec_b32 s14, s13
	s_cbranch_execnz .LBB4_7166
	s_branch .LBB4_7167
.LBB4_7347:                             ;   in Loop: Header=BB4_6458 Depth=2
	s_or_saveexec_b32 s13, s13
	v_bfrev_b32_e32 v24, 1
	s_xor_b32 exec_lo, exec_lo, s13
	s_cbranch_execz .LBB4_7183
.LBB4_7348:                             ;   in Loop: Header=BB4_6458 Depth=2
	v_cmp_ne_u16_e32 vcc_lo, 0, v14
	v_mov_b32_e32 v24, 0
	s_and_not1_b32 s12, s12, exec_lo
	s_and_b32 s14, vcc_lo, exec_lo
	s_delay_alu instid0(SALU_CYCLE_1)
	s_or_b32 s12, s12, s14
	s_or_b32 exec_lo, exec_lo, s13
	s_and_saveexec_b32 s13, s12
	s_cbranch_execnz .LBB4_7184
	s_branch .LBB4_7185
.LBB4_7349:                             ;   in Loop: Header=BB4_6458 Depth=2
	s_or_saveexec_b32 s14, s14
	v_bfrev_b32_e32 v42, 1
	s_xor_b32 exec_lo, exec_lo, s14
	s_cbranch_execz .LBB4_7221
.LBB4_7350:                             ;   in Loop: Header=BB4_6458 Depth=2
	v_cmp_ne_u16_e32 vcc_lo, 0, v43
	v_mov_b32_e32 v42, 0
	s_and_not1_b32 s13, s13, exec_lo
	s_and_b32 s45, vcc_lo, exec_lo
	s_delay_alu instid0(SALU_CYCLE_1)
	s_or_b32 s13, s13, s45
	s_or_b32 exec_lo, exec_lo, s14
	s_and_saveexec_b32 s14, s13
	s_cbranch_execnz .LBB4_7222
	s_branch .LBB4_7223
.LBB4_7351:                             ;   in Loop: Header=BB4_6458 Depth=2
	s_or_saveexec_b32 s13, s13
	v_bfrev_b32_e32 v10, 1
	s_xor_b32 exec_lo, exec_lo, s13
	s_cbranch_execz .LBB4_7239
.LBB4_7352:                             ;   in Loop: Header=BB4_6458 Depth=2
	v_cmp_ne_u16_e32 vcc_lo, 0, v119
	v_mov_b32_e32 v10, 0
	s_and_not1_b32 s12, s12, exec_lo
	s_and_b32 s14, vcc_lo, exec_lo
	s_delay_alu instid0(SALU_CYCLE_1)
	s_or_b32 s12, s12, s14
	s_or_b32 exec_lo, exec_lo, s13
	s_and_saveexec_b32 s13, s12
	s_cbranch_execnz .LBB4_7240
	s_branch .LBB4_7241
.LBB4_7353:                             ;   in Loop: Header=BB4_4329 Depth=1
	s_or_b32 exec_lo, exec_lo, s43
.LBB4_7354:                             ;   in Loop: Header=BB4_4329 Depth=1
	s_delay_alu instid0(SALU_CYCLE_1) | instskip(NEXT) | instid1(VALU_DEP_2)
	s_or_b32 exec_lo, exec_lo, s42
	v_cmp_lt_i32_e32 vcc_lo, 0, v30
	v_and_b32_e32 v10, 15, v111
	v_and_b32_e32 v11, 0x1f0, v111
	v_cndmask_b32_e32 v12, 0, v54, vcc_lo
	s_delay_alu instid0(VALU_DEP_2) | instskip(NEXT) | instid1(VALU_DEP_2)
	v_dual_cndmask_b32 v122, v3, v10, s7 :: v_dual_cndmask_b32 v3, 0, v11, s7
	v_sub_nc_u32_e32 v10, v12, v30
	s_delay_alu instid0(VALU_DEP_2) | instskip(NEXT) | instid1(VALU_DEP_3)
	v_cmp_ne_u32_e32 vcc_lo, 0, v122
	v_and_or_b32 v30, 0x3ffffe00, v111, v3
	s_delay_alu instid0(VALU_DEP_3)
	v_lshl_add_u32 v123, v10, 5, v0
	s_and_b32 s7, vcc_lo, exec_lo
.LBB4_7355:                             ;   in Loop: Header=BB4_4329 Depth=1
	s_or_b32 exec_lo, exec_lo, s41
	s_and_saveexec_b32 s12, s7
	s_cbranch_execz .LBB4_8520
.LBB4_7356:                             ;   in Loop: Header=BB4_4329 Depth=1
	v_dual_ashrrev_i32 v0, 31, v123 :: v_dual_lshrrev_b32 v3, 9, v122
	s_mov_b32 s10, exec_lo
	s_delay_alu instid0(VALU_DEP_1) | instskip(NEXT) | instid1(VALU_DEP_1)
	v_lshrrev_b32_e32 v0, 27, v0
	v_add_nc_u32_e32 v10, v123, v0
	s_delay_alu instid0(VALU_DEP_1) | instskip(NEXT) | instid1(VALU_DEP_1)
	v_ashrrev_i32_e32 v0, 5, v10
	v_sub_nc_u32_e32 v3, v3, v0
	s_delay_alu instid0(VALU_DEP_1)
	v_cmpx_lt_i32_e32 0, v3
	s_cbranch_execz .LBB4_8448
; %bb.7357:                             ;   in Loop: Header=BB4_4329 Depth=1
	v_and_b32_e32 v10, 0xffffffe0, v10
	s_trap 2
	ds_load_b64 v[12:13], v0
	v_lshlrev_b32_e32 v11, 9, v0
	v_add_nc_u64_e32 v[16:17], 0x1e0, v[86:87]
	v_sub_nc_u32_e32 v10, v123, v10
	s_bitcmp1_b32 s40, 0
	s_mov_b32 s11, 0
	s_cselect_b32 s13, -1, 0
	s_delay_alu instid0(VALU_DEP_1) | instskip(NEXT) | instid1(VALU_DEP_1)
	v_add3_u32 v14, v30, v10, v11
	v_ashrrev_i32_e32 v15, 31, v14
	s_delay_alu instid0(VALU_DEP_1)
	v_add_nc_u64_e32 v[10:11], v[14:15], v[84:85]
	s_wait_dscnt 0x0
	v_add_nc_u64_e32 v[12:13], v[12:13], v[14:15]
	v_add_nc_u64_e32 v[14:15], v[16:17], v[14:15]
	s_branch .LBB4_7360
.LBB4_7358:                             ;   in Loop: Header=BB4_7360 Depth=2
	s_or_b32 exec_lo, exec_lo, s14
.LBB4_7359:                             ;   in Loop: Header=BB4_7360 Depth=2
	s_delay_alu instid0(SALU_CYCLE_1)
	s_or_b32 exec_lo, exec_lo, s7
	v_sub_nc_u32_e32 v3, v3, v54
	s_clause 0xf
	flat_store_b8 v[14:15], v95 offset:-480 th:TH_STORE_NT
	flat_store_b8 v[14:15], v91 offset:-448 th:TH_STORE_NT
	;; [unrolled: 1-line block ×15, first 2 shown]
	flat_store_b8 v[14:15], v17 th:TH_STORE_NT
	v_add_nc_u64_e32 v[10:11], v[10:11], v[68:69]
	v_add_nc_u64_e32 v[12:13], v[12:13], v[68:69]
	v_cmp_gt_i32_e32 vcc_lo, 1, v3
	s_wait_xcnt 0x0
	v_add_nc_u64_e32 v[14:15], v[14:15], v[68:69]
	s_or_b32 s11, vcc_lo, s11
	s_delay_alu instid0(SALU_CYCLE_1)
	s_and_not1_b32 exec_lo, exec_lo, s11
	s_cbranch_execz .LBB4_8447
.LBB4_7360:                             ;   Parent Loop BB4_4329 Depth=1
                                        ; =>  This Inner Loop Header: Depth=2
	s_clause 0xf
	flat_load_u8 v19, v[10:11] th:TH_LOAD_NT
	flat_load_i8 v92, v[10:11] offset:32 th:TH_LOAD_NT
	flat_load_i8 v88, v[10:11] offset:64 th:TH_LOAD_NT
	;; [unrolled: 1-line block ×15, first 2 shown]
	s_clause 0xf
	flat_load_i8 v94, v[12:13] th:TH_LOAD_NT
	flat_load_i8 v90, v[12:13] offset:32 th:TH_LOAD_NT
	flat_load_i8 v78, v[12:13] offset:64 th:TH_LOAD_NT
	;; [unrolled: 1-line block ×15, first 2 shown]
	s_and_b32 vcc_lo, exec_lo, s13
	s_mov_b32 s14, -1
	s_wait_loadcnt_dscnt 0x1f1f
	v_bfe_i32 v52, v19, 0, 8
	v_and_b32_e32 v17, 0xffff, v19
	v_cmp_ne_u16_e64 s7, 0, v19
                                        ; implicit-def: $vgpr19
	s_cbranch_vccz .LBB4_7382
; %bb.7361:                             ;   in Loop: Header=BB4_7360 Depth=2
	v_dual_mov_b32 v21, 0 :: v_dual_mov_b32 v19, 0
	s_wait_xcnt 0x0
	s_and_saveexec_b32 s14, s7
	s_cbranch_execz .LBB4_7371
; %bb.7362:                             ;   in Loop: Header=BB4_7360 Depth=2
	v_bfrev_b32_e32 v19, 1
	s_mov_b32 s41, exec_lo
	v_cmpx_ne_u16_e32 0xff80, v52
	s_cbranch_execz .LBB4_7370
; %bb.7363:                             ;   in Loop: Header=BB4_7360 Depth=2
	v_and_b32_e32 v19, 0x7c, v17
	v_and_b32_e32 v23, 3, v17
	s_delay_alu instid0(VALU_DEP_2) | instskip(SKIP_1) | instid1(SALU_CYCLE_1)
	v_cmp_ne_u32_e32 vcc_lo, 0x7c, v19
                                        ; implicit-def: $vgpr19
	s_and_saveexec_b32 s42, vcc_lo
	s_xor_b32 s42, exec_lo, s42
	s_cbranch_execz .LBB4_7367
; %bb.7364:                             ;   in Loop: Header=BB4_7360 Depth=2
	v_bfe_u32 v19, v17, 2, 5
	s_mov_b32 s43, exec_lo
	s_delay_alu instid0(VALU_DEP_1)
	v_cmpx_eq_u32_e32 0, v19
; %bb.7365:                             ;   in Loop: Header=BB4_7360 Depth=2
	v_clz_i32_u32_e32 v19, v23
	s_delay_alu instid0(VALU_DEP_1) | instskip(NEXT) | instid1(VALU_DEP_1)
	v_min_u32_e32 v19, 32, v19
	v_subrev_nc_u32_e32 v23, 29, v19
	s_delay_alu instid0(VALU_DEP_1) | instskip(NEXT) | instid1(VALU_DEP_1)
	v_lshlrev_b64_e32 v[104:105], v23, v[52:53]
	v_dual_sub_nc_u32 v19, 30, v19 :: v_dual_bitop2_b32 v23, 3, v104 bitop3:0x40
; %bb.7366:                             ;   in Loop: Header=BB4_7360 Depth=2
	s_or_b32 exec_lo, exec_lo, s43
	v_bfe_i32 v25, v52, 0, 16
	s_delay_alu instid0(VALU_DEP_1) | instskip(NEXT) | instid1(VALU_DEP_1)
	v_and_b32_e32 v25, 0x80000000, v25
	v_lshl_add_u32 v19, v19, 23, v25
	s_delay_alu instid0(VALU_DEP_1) | instskip(NEXT) | instid1(VALU_DEP_1)
	v_lshl_or_b32 v19, v23, 21, v19
                                        ; implicit-def: $vgpr23
	v_add_nc_u32_e32 v19, 0x38000000, v19
.LBB4_7367:                             ;   in Loop: Header=BB4_7360 Depth=2
	s_and_not1_saveexec_b32 s42, s42
; %bb.7368:                             ;   in Loop: Header=BB4_7360 Depth=2
	v_cmp_lt_i16_e32 vcc_lo, -1, v52
	v_cndmask_b32_e32 v19, 0xff800000, v109, vcc_lo
	v_cmp_eq_u32_e32 vcc_lo, 0, v23
	s_delay_alu instid0(VALU_DEP_2)
	v_cndmask_b32_e32 v19, 0x7f800001, v19, vcc_lo
; %bb.7369:                             ;   in Loop: Header=BB4_7360 Depth=2
	s_or_b32 exec_lo, exec_lo, s42
.LBB4_7370:                             ;   in Loop: Header=BB4_7360 Depth=2
	s_delay_alu instid0(SALU_CYCLE_1)
	s_or_b32 exec_lo, exec_lo, s41
.LBB4_7371:                             ;   in Loop: Header=BB4_7360 Depth=2
	s_delay_alu instid0(SALU_CYCLE_1) | instskip(NEXT) | instid1(SALU_CYCLE_1)
	s_or_b32 exec_lo, exec_lo, s14
	s_mov_b32 s14, exec_lo
	s_wait_loadcnt_dscnt 0xf0f
	v_cmpx_ne_u16_e32 0, v94
	s_cbranch_execz .LBB4_7381
; %bb.7372:                             ;   in Loop: Header=BB4_7360 Depth=2
	v_bfrev_b32_e32 v21, 1
	s_mov_b32 s41, exec_lo
	v_cmpx_ne_u16_e32 0xff80, v94
	s_cbranch_execz .LBB4_7380
; %bb.7373:                             ;   in Loop: Header=BB4_7360 Depth=2
	v_and_b32_e32 v21, 0x7c, v94
	v_and_b32_e32 v23, 3, v94
	s_delay_alu instid0(VALU_DEP_2) | instskip(SKIP_1) | instid1(SALU_CYCLE_1)
	v_cmp_ne_u32_e32 vcc_lo, 0x7c, v21
                                        ; implicit-def: $vgpr21
	s_and_saveexec_b32 s42, vcc_lo
	s_xor_b32 s42, exec_lo, s42
	s_cbranch_execz .LBB4_7377
; %bb.7374:                             ;   in Loop: Header=BB4_7360 Depth=2
	v_and_b32_e32 v21, 0xff, v94
	s_mov_b32 s43, exec_lo
	s_delay_alu instid0(VALU_DEP_1) | instskip(NEXT) | instid1(VALU_DEP_1)
	v_bfe_u32 v21, v21, 2, 5
	v_cmpx_eq_u32_e32 0, v21
	s_cbranch_execz .LBB4_7376
; %bb.7375:                             ;   in Loop: Header=BB4_7360 Depth=2
	v_clz_i32_u32_e32 v21, v23
	s_delay_alu instid0(VALU_DEP_1) | instskip(SKIP_1) | instid1(VALU_DEP_2)
	v_min_u32_e32 v21, 32, v21
	v_mov_b32_e32 v95, v53
	v_subrev_nc_u32_e32 v23, 29, v21
	v_sub_nc_u32_e32 v21, 30, v21
	s_delay_alu instid0(VALU_DEP_2) | instskip(NEXT) | instid1(VALU_DEP_1)
	v_lshlrev_b64_e32 v[104:105], v23, v[94:95]
	v_and_b32_e32 v23, 3, v104
.LBB4_7376:                             ;   in Loop: Header=BB4_7360 Depth=2
	s_or_b32 exec_lo, exec_lo, s43
	v_bfe_i32 v25, v94, 0, 16
	s_delay_alu instid0(VALU_DEP_1) | instskip(NEXT) | instid1(VALU_DEP_1)
	v_and_b32_e32 v25, 0x80000000, v25
	v_lshl_add_u32 v21, v21, 23, v25
	s_delay_alu instid0(VALU_DEP_1) | instskip(NEXT) | instid1(VALU_DEP_1)
	v_lshl_or_b32 v21, v23, 21, v21
                                        ; implicit-def: $vgpr23
	v_add_nc_u32_e32 v21, 0x38000000, v21
.LBB4_7377:                             ;   in Loop: Header=BB4_7360 Depth=2
	s_and_not1_saveexec_b32 s42, s42
; %bb.7378:                             ;   in Loop: Header=BB4_7360 Depth=2
	v_cmp_lt_i16_e32 vcc_lo, -1, v94
	v_cndmask_b32_e32 v21, 0xff800000, v109, vcc_lo
	v_cmp_eq_u32_e32 vcc_lo, 0, v23
	s_delay_alu instid0(VALU_DEP_2)
	v_cndmask_b32_e32 v21, 0x7f800001, v21, vcc_lo
; %bb.7379:                             ;   in Loop: Header=BB4_7360 Depth=2
	s_or_b32 exec_lo, exec_lo, s42
.LBB4_7380:                             ;   in Loop: Header=BB4_7360 Depth=2
	s_delay_alu instid0(SALU_CYCLE_1)
	s_or_b32 exec_lo, exec_lo, s41
.LBB4_7381:                             ;   in Loop: Header=BB4_7360 Depth=2
	s_delay_alu instid0(SALU_CYCLE_1) | instskip(NEXT) | instid1(VALU_DEP_1)
	s_or_b32 exec_lo, exec_lo, s14
	v_dual_max_num_f32 v21, v21, v21 :: v_dual_max_num_f32 v19, v19, v19
	s_mov_b32 s14, 0
	s_delay_alu instid0(VALU_DEP_1)
	v_max_num_f32_e32 v19, v19, v21
.LBB4_7382:                             ;   in Loop: Header=BB4_7360 Depth=2
	s_and_b32 vcc_lo, exec_lo, s14
	s_cbranch_vccz .LBB4_7404
; %bb.7383:                             ;   in Loop: Header=BB4_7360 Depth=2
	v_dual_mov_b32 v21, 0 :: v_dual_mov_b32 v19, 0
	s_wait_xcnt 0x0
	s_and_saveexec_b32 s14, s7
	s_cbranch_execz .LBB4_7393
; %bb.7384:                             ;   in Loop: Header=BB4_7360 Depth=2
	v_bfrev_b32_e32 v19, 1
	s_mov_b32 s7, exec_lo
	v_cmpx_ne_u16_e32 0xff80, v52
	s_cbranch_execz .LBB4_7392
; %bb.7385:                             ;   in Loop: Header=BB4_7360 Depth=2
	v_and_b32_e32 v19, 0x7c, v17
	v_and_b32_e32 v23, 3, v17
	s_delay_alu instid0(VALU_DEP_2) | instskip(SKIP_1) | instid1(SALU_CYCLE_1)
	v_cmp_ne_u32_e32 vcc_lo, 0x7c, v19
                                        ; implicit-def: $vgpr19
	s_and_saveexec_b32 s41, vcc_lo
	s_xor_b32 s41, exec_lo, s41
	s_cbranch_execz .LBB4_7389
; %bb.7386:                             ;   in Loop: Header=BB4_7360 Depth=2
	v_bfe_u32 v17, v17, 2, 5
	s_mov_b32 s42, exec_lo
	s_delay_alu instid0(VALU_DEP_1)
	v_cmpx_eq_u32_e32 0, v17
; %bb.7387:                             ;   in Loop: Header=BB4_7360 Depth=2
	v_clz_i32_u32_e32 v17, v23
	s_delay_alu instid0(VALU_DEP_1) | instskip(NEXT) | instid1(VALU_DEP_1)
	v_min_u32_e32 v17, 32, v17
	v_subrev_nc_u32_e32 v19, 29, v17
	s_delay_alu instid0(VALU_DEP_1) | instskip(NEXT) | instid1(VALU_DEP_1)
	v_lshlrev_b64_e32 v[104:105], v19, v[52:53]
	v_dual_sub_nc_u32 v17, 30, v17 :: v_dual_bitop2_b32 v23, 3, v104 bitop3:0x40
; %bb.7388:                             ;   in Loop: Header=BB4_7360 Depth=2
	s_or_b32 exec_lo, exec_lo, s42
	v_bfe_i32 v19, v52, 0, 16
	s_delay_alu instid0(VALU_DEP_1) | instskip(NEXT) | instid1(VALU_DEP_1)
	v_and_b32_e32 v19, 0x80000000, v19
	v_lshl_add_u32 v17, v17, 23, v19
	s_delay_alu instid0(VALU_DEP_1) | instskip(NEXT) | instid1(VALU_DEP_1)
	v_lshl_or_b32 v17, v23, 21, v17
                                        ; implicit-def: $vgpr23
	v_add_nc_u32_e32 v19, 0x38000000, v17
.LBB4_7389:                             ;   in Loop: Header=BB4_7360 Depth=2
	s_and_not1_saveexec_b32 s41, s41
; %bb.7390:                             ;   in Loop: Header=BB4_7360 Depth=2
	v_cmp_lt_i16_e32 vcc_lo, -1, v52
	v_cndmask_b32_e32 v17, 0xff800000, v109, vcc_lo
	v_cmp_eq_u32_e32 vcc_lo, 0, v23
	s_delay_alu instid0(VALU_DEP_2)
	v_cndmask_b32_e32 v19, 0x7f800001, v17, vcc_lo
; %bb.7391:                             ;   in Loop: Header=BB4_7360 Depth=2
	s_or_b32 exec_lo, exec_lo, s41
.LBB4_7392:                             ;   in Loop: Header=BB4_7360 Depth=2
	s_delay_alu instid0(SALU_CYCLE_1)
	s_or_b32 exec_lo, exec_lo, s7
.LBB4_7393:                             ;   in Loop: Header=BB4_7360 Depth=2
	s_delay_alu instid0(SALU_CYCLE_1) | instskip(NEXT) | instid1(SALU_CYCLE_1)
	s_or_b32 exec_lo, exec_lo, s14
	s_mov_b32 s7, exec_lo
	s_wait_loadcnt_dscnt 0xf0f
	v_cmpx_ne_u16_e32 0, v94
	s_cbranch_execz .LBB4_7403
; %bb.7394:                             ;   in Loop: Header=BB4_7360 Depth=2
	v_bfrev_b32_e32 v21, 1
	s_mov_b32 s14, exec_lo
	v_cmpx_ne_u16_e32 0xff80, v94
	s_cbranch_execz .LBB4_7402
; %bb.7395:                             ;   in Loop: Header=BB4_7360 Depth=2
	v_and_b32_e32 v21, 0x7c, v94
	v_and_b32_e32 v17, 3, v94
	s_delay_alu instid0(VALU_DEP_2) | instskip(SKIP_1) | instid1(SALU_CYCLE_1)
	v_cmp_ne_u32_e32 vcc_lo, 0x7c, v21
                                        ; implicit-def: $vgpr21
	s_and_saveexec_b32 s41, vcc_lo
	s_xor_b32 s41, exec_lo, s41
	s_cbranch_execz .LBB4_7399
; %bb.7396:                             ;   in Loop: Header=BB4_7360 Depth=2
	v_and_b32_e32 v21, 0xff, v94
	s_mov_b32 s42, exec_lo
	s_delay_alu instid0(VALU_DEP_1) | instskip(NEXT) | instid1(VALU_DEP_1)
	v_bfe_u32 v21, v21, 2, 5
	v_cmpx_eq_u32_e32 0, v21
; %bb.7397:                             ;   in Loop: Header=BB4_7360 Depth=2
	v_clz_i32_u32_e32 v17, v17
	s_delay_alu instid0(VALU_DEP_1) | instskip(SKIP_1) | instid1(VALU_DEP_2)
	v_min_u32_e32 v17, 32, v17
	v_mov_b32_e32 v95, v53
	v_subrev_nc_u32_e32 v21, 29, v17
	s_delay_alu instid0(VALU_DEP_1) | instskip(NEXT) | instid1(VALU_DEP_1)
	v_lshlrev_b64_e32 v[104:105], v21, v[94:95]
	v_dual_sub_nc_u32 v21, 30, v17 :: v_dual_bitop2_b32 v17, 3, v104 bitop3:0x40
; %bb.7398:                             ;   in Loop: Header=BB4_7360 Depth=2
	s_or_b32 exec_lo, exec_lo, s42
	v_bfe_i32 v23, v94, 0, 16
                                        ; implicit-def: $vgpr94
	s_delay_alu instid0(VALU_DEP_1) | instskip(NEXT) | instid1(VALU_DEP_1)
	v_and_b32_e32 v23, 0x80000000, v23
	v_lshl_add_u32 v21, v21, 23, v23
	s_delay_alu instid0(VALU_DEP_1) | instskip(NEXT) | instid1(VALU_DEP_1)
	v_lshl_or_b32 v17, v17, 21, v21
	v_add_nc_u32_e32 v21, 0x38000000, v17
                                        ; implicit-def: $vgpr17
.LBB4_7399:                             ;   in Loop: Header=BB4_7360 Depth=2
	s_and_not1_saveexec_b32 s41, s41
; %bb.7400:                             ;   in Loop: Header=BB4_7360 Depth=2
	v_cmp_lt_i16_e32 vcc_lo, -1, v94
	v_cndmask_b32_e32 v21, 0xff800000, v109, vcc_lo
	v_cmp_eq_u32_e32 vcc_lo, 0, v17
	s_delay_alu instid0(VALU_DEP_2)
	v_cndmask_b32_e32 v21, 0x7f800001, v21, vcc_lo
; %bb.7401:                             ;   in Loop: Header=BB4_7360 Depth=2
	s_or_b32 exec_lo, exec_lo, s41
.LBB4_7402:                             ;   in Loop: Header=BB4_7360 Depth=2
	s_delay_alu instid0(SALU_CYCLE_1)
	s_or_b32 exec_lo, exec_lo, s14
.LBB4_7403:                             ;   in Loop: Header=BB4_7360 Depth=2
	s_delay_alu instid0(SALU_CYCLE_1) | instskip(NEXT) | instid1(VALU_DEP_1)
	s_or_b32 exec_lo, exec_lo, s7
	v_dual_max_num_f32 v17, v21, v21 :: v_dual_max_num_f32 v19, v19, v19
	s_delay_alu instid0(VALU_DEP_1)
	v_min_num_f32_e32 v19, v19, v17
.LBB4_7404:                             ;   in Loop: Header=BB4_7360 Depth=2
	s_wait_loadcnt_dscnt 0xf0f
	s_delay_alu instid0(VALU_DEP_1) | instskip(SKIP_2) | instid1(VALU_DEP_2)
	v_and_b32_e32 v94, 0x7f800000, v19
	v_mov_b32_e32 v95, v53
	v_and_b32_e32 v52, 0x7fffff, v19
	v_cmp_ne_u64_e32 vcc_lo, 0x7f800000, v[94:95]
                                        ; implicit-def: $vgpr95
	s_wait_xcnt 0x0
	s_and_saveexec_b32 s7, vcc_lo
	s_delay_alu instid0(SALU_CYCLE_1)
	s_xor_b32 s14, exec_lo, s7
	s_cbranch_execz .LBB4_7422
; %bb.7405:                             ;   in Loop: Header=BB4_7360 Depth=2
	v_and_b32_e32 v94, 0x7fffffff, v19
	v_dual_mov_b32 v95, v53 :: v_dual_lshrrev_b32 v17, 24, v19
	s_delay_alu instid0(VALU_DEP_1) | instskip(NEXT) | instid1(VALU_DEP_2)
	v_cmp_gt_u64_e32 vcc_lo, 0x47600001, v[94:95]
	v_and_b32_e32 v17, 0x80, v17
                                        ; implicit-def: $vgpr95
	s_and_saveexec_b32 s7, vcc_lo
	s_delay_alu instid0(SALU_CYCLE_1)
	s_xor_b32 s41, exec_lo, s7
	s_cbranch_execz .LBB4_7419
; %bb.7406:                             ;   in Loop: Header=BB4_7360 Depth=2
	v_mov_b32_e32 v95, 0
	s_mov_b32 s42, exec_lo
	v_cmpx_ne_u32_e32 0, v19
	s_cbranch_execz .LBB4_7418
; %bb.7407:                             ;   in Loop: Header=BB4_7360 Depth=2
	v_bfe_u32 v19, v19, 23, 8
	v_or_b32_e32 v25, 0x800000, v52
	s_delay_alu instid0(VALU_DEP_2) | instskip(SKIP_1) | instid1(VALU_DEP_2)
	v_sub_nc_u32_e32 v21, 0x71, v19
	v_cmp_gt_u32_e32 vcc_lo, 0x72, v19
	v_cndmask_b32_e32 v21, 0, v21, vcc_lo
	v_cmp_eq_u32_e32 vcc_lo, 0, v19
	s_delay_alu instid0(VALU_DEP_2) | instskip(NEXT) | instid1(VALU_DEP_1)
	v_cndmask_b32_e64 v21, v21, 0x70, vcc_lo
	v_dual_cndmask_b32 v52, v25, v52 :: v_dual_add_nc_u32 v23, 21, v21
	s_delay_alu instid0(VALU_DEP_1) | instskip(SKIP_1) | instid1(VALU_DEP_1)
	v_lshlrev_b64_e64 v[94:95], v23, -1
	v_add_nc_u32_e32 v23, 20, v21
	v_lshlrev_b64_e64 v[104:105], v23, 1
	s_delay_alu instid0(VALU_DEP_3) | instskip(NEXT) | instid1(VALU_DEP_4)
	v_bfi_b32 v125, v95, 0, 0
	v_bfi_b32 v124, v94, 0, v52
	v_lshrrev_b64 v[94:95], v21, v[52:53]
	s_delay_alu instid0(VALU_DEP_2) | instskip(NEXT) | instid1(VALU_DEP_2)
	v_cmp_eq_u64_e64 s7, v[124:125], v[104:105]
	v_mov_b64_e32 v[104:105], v[94:95]
	s_and_saveexec_b32 s43, s7
; %bb.7408:                             ;   in Loop: Header=BB4_7360 Depth=2
	v_bfe_u32 v52, v94, 21, 1
	s_delay_alu instid0(VALU_DEP_1) | instskip(NEXT) | instid1(VALU_DEP_1)
	v_add_nc_u64_e32 v[104:105], v[94:95], v[52:53]
	v_add_nc_u64_e32 v[104:105], -1, v[104:105]
; %bb.7409:                             ;   in Loop: Header=BB4_7360 Depth=2
	s_or_b32 exec_lo, exec_lo, s43
	v_add_nc_u32_e32 v19, 0xffffff81, v19
	v_lshrrev_b32_e32 v23, 23, v94
	s_mov_b32 s7, exec_lo
	s_delay_alu instid0(VALU_DEP_2) | instskip(NEXT) | instid1(VALU_DEP_1)
	v_cndmask_b32_e64 v19, v19, 0xffffff82, vcc_lo
	v_add3_u32 v21, v21, v19, v23
	v_and_b32_e32 v19, 0x1fffff, v104
	s_delay_alu instid0(VALU_DEP_1) | instskip(NEXT) | instid1(VALU_DEP_1)
	v_dual_add_nc_u32 v23, 14, v21 :: v_dual_add_nc_u32 v52, v19, v94
                                        ; implicit-def: $vgpr94_vgpr95
                                        ; implicit-def: $vgpr19
	v_cmpx_ne_u32_e32 0, v23
	s_xor_b32 s7, exec_lo, s7
; %bb.7410:                             ;   in Loop: Header=BB4_7360 Depth=2
	s_delay_alu instid0(VALU_DEP_2) | instskip(SKIP_2) | instid1(VALU_DEP_2)
	v_cmp_lt_u64_e32 vcc_lo, 0xffffff, v[52:53]
	v_add_nc_u32_e32 v19, 15, v21
	v_cndmask_b32_e64 v21, 0, 1, vcc_lo
	v_cndmask_b32_e32 v19, v23, v19, vcc_lo
	s_delay_alu instid0(VALU_DEP_2)
	v_lshrrev_b64 v[94:95], v21, v[52:53]
; %bb.7411:                             ;   in Loop: Header=BB4_7360 Depth=2
	s_and_not1_saveexec_b32 s7, s7
; %bb.7412:                             ;   in Loop: Header=BB4_7360 Depth=2
	v_mov_b64_e32 v[94:95], v[52:53]
	v_bfe_u32 v19, v52, 23, 1
; %bb.7413:                             ;   in Loop: Header=BB4_7360 Depth=2
	s_or_b32 exec_lo, exec_lo, s7
	s_delay_alu instid0(VALU_DEP_2) | instskip(NEXT) | instid1(VALU_DEP_2)
	v_lshrrev_b64 v[94:95], 21, v[94:95]
	v_cmp_gt_i32_e32 vcc_lo, 32, v19
	v_cmp_ne_u32_e64 s7, 0, v19
	s_delay_alu instid0(VALU_DEP_3) | instskip(NEXT) | instid1(VALU_DEP_1)
	v_dual_cndmask_b32 v95, 0, v95 :: v_dual_cndmask_b32 v94, 3, v94
	v_cmp_ne_u64_e32 vcc_lo, 0, v[94:95]
                                        ; implicit-def: $vgpr95
	s_or_b32 s7, s7, vcc_lo
	s_delay_alu instid0(SALU_CYCLE_1) | instskip(NEXT) | instid1(SALU_CYCLE_1)
	s_and_saveexec_b32 s43, s7
	s_xor_b32 s7, exec_lo, s43
; %bb.7414:                             ;   in Loop: Header=BB4_7360 Depth=2
	v_min_i32_e32 v19, 31, v19
	s_delay_alu instid0(VALU_DEP_1) | instskip(NEXT) | instid1(VALU_DEP_1)
	v_lshl_or_b32 v17, v19, 2, v17
	v_and_or_b32 v95, v94, 3, v17
                                        ; implicit-def: $vgpr17
; %bb.7415:                             ;   in Loop: Header=BB4_7360 Depth=2
	s_and_not1_saveexec_b32 s7, s7
; %bb.7416:                             ;   in Loop: Header=BB4_7360 Depth=2
	v_mov_b32_e32 v95, v17
; %bb.7417:                             ;   in Loop: Header=BB4_7360 Depth=2
	s_or_b32 exec_lo, exec_lo, s7
.LBB4_7418:                             ;   in Loop: Header=BB4_7360 Depth=2
	s_delay_alu instid0(SALU_CYCLE_1)
	s_or_b32 exec_lo, exec_lo, s42
                                        ; implicit-def: $vgpr17
.LBB4_7419:                             ;   in Loop: Header=BB4_7360 Depth=2
	s_and_not1_saveexec_b32 s7, s41
; %bb.7420:                             ;   in Loop: Header=BB4_7360 Depth=2
	v_or_b32_e32 v95, 0x7b, v17
; %bb.7421:                             ;   in Loop: Header=BB4_7360 Depth=2
	s_or_b32 exec_lo, exec_lo, s7
                                        ; implicit-def: $vgpr19
.LBB4_7422:                             ;   in Loop: Header=BB4_7360 Depth=2
	s_and_not1_saveexec_b32 s7, s14
	s_cbranch_execz .LBB4_7428
; %bb.7423:                             ;   in Loop: Header=BB4_7360 Depth=2
	s_mov_b32 s14, exec_lo
                                        ; implicit-def: $vgpr95
	v_cmpx_ne_u64_e32 0, v[52:53]
	s_xor_b32 s14, exec_lo, s14
; %bb.7424:                             ;   in Loop: Header=BB4_7360 Depth=2
	v_lshrrev_b32_e32 v17, 24, v19
                                        ; implicit-def: $vgpr19
	s_delay_alu instid0(VALU_DEP_1)
	v_or_b32_e32 v95, 0x7f, v17
; %bb.7425:                             ;   in Loop: Header=BB4_7360 Depth=2
	s_and_not1_saveexec_b32 s14, s14
; %bb.7426:                             ;   in Loop: Header=BB4_7360 Depth=2
	v_cmp_lt_i32_e32 vcc_lo, -1, v19
	v_cndmask_b32_e64 v95, -4, 0x7c, vcc_lo
; %bb.7427:                             ;   in Loop: Header=BB4_7360 Depth=2
	s_or_b32 exec_lo, exec_lo, s14
.LBB4_7428:                             ;   in Loop: Header=BB4_7360 Depth=2
	s_delay_alu instid0(SALU_CYCLE_1)
	s_or_b32 exec_lo, exec_lo, s7
	v_and_b32_e32 v17, 0xff, v92
	v_cmp_ne_u16_e64 s7, 0, v92
	s_and_not1_b32 vcc_lo, exec_lo, s13
	s_mov_b32 s14, -1
                                        ; implicit-def: $vgpr19
	s_cbranch_vccnz .LBB4_7450
; %bb.7429:                             ;   in Loop: Header=BB4_7360 Depth=2
	v_dual_mov_b32 v21, 0 :: v_dual_mov_b32 v19, 0
	s_and_saveexec_b32 s14, s7
	s_cbranch_execz .LBB4_7439
; %bb.7430:                             ;   in Loop: Header=BB4_7360 Depth=2
	v_bfrev_b32_e32 v19, 1
	s_mov_b32 s41, exec_lo
	v_cmpx_ne_u16_e32 0xff80, v92
	s_cbranch_execz .LBB4_7438
; %bb.7431:                             ;   in Loop: Header=BB4_7360 Depth=2
	v_and_b32_e32 v19, 0x7c, v17
	v_and_b32_e32 v23, 3, v17
	s_delay_alu instid0(VALU_DEP_2) | instskip(SKIP_1) | instid1(SALU_CYCLE_1)
	v_cmp_ne_u32_e32 vcc_lo, 0x7c, v19
                                        ; implicit-def: $vgpr19
	s_and_saveexec_b32 s42, vcc_lo
	s_xor_b32 s42, exec_lo, s42
	s_cbranch_execz .LBB4_7435
; %bb.7432:                             ;   in Loop: Header=BB4_7360 Depth=2
	v_bfe_u32 v19, v17, 2, 5
	s_mov_b32 s43, exec_lo
	s_delay_alu instid0(VALU_DEP_1)
	v_cmpx_eq_u32_e32 0, v19
	s_cbranch_execz .LBB4_7434
; %bb.7433:                             ;   in Loop: Header=BB4_7360 Depth=2
	v_clz_i32_u32_e32 v19, v23
	s_delay_alu instid0(VALU_DEP_1) | instskip(SKIP_1) | instid1(VALU_DEP_2)
	v_min_u32_e32 v19, 32, v19
	v_mov_b32_e32 v93, v53
	v_subrev_nc_u32_e32 v23, 29, v19
	v_sub_nc_u32_e32 v19, 30, v19
	s_delay_alu instid0(VALU_DEP_2) | instskip(NEXT) | instid1(VALU_DEP_1)
	v_lshlrev_b64_e32 v[104:105], v23, v[92:93]
	v_and_b32_e32 v23, 3, v104
.LBB4_7434:                             ;   in Loop: Header=BB4_7360 Depth=2
	s_or_b32 exec_lo, exec_lo, s43
	v_bfe_i32 v25, v92, 0, 16
	s_delay_alu instid0(VALU_DEP_1) | instskip(NEXT) | instid1(VALU_DEP_1)
	v_and_b32_e32 v25, 0x80000000, v25
	v_lshl_add_u32 v19, v19, 23, v25
	s_delay_alu instid0(VALU_DEP_1) | instskip(NEXT) | instid1(VALU_DEP_1)
	v_lshl_or_b32 v19, v23, 21, v19
                                        ; implicit-def: $vgpr23
	v_add_nc_u32_e32 v19, 0x38000000, v19
.LBB4_7435:                             ;   in Loop: Header=BB4_7360 Depth=2
	s_and_not1_saveexec_b32 s42, s42
; %bb.7436:                             ;   in Loop: Header=BB4_7360 Depth=2
	v_cmp_lt_i16_e32 vcc_lo, -1, v92
	v_cndmask_b32_e32 v19, 0xff800000, v109, vcc_lo
	v_cmp_eq_u32_e32 vcc_lo, 0, v23
	s_delay_alu instid0(VALU_DEP_2)
	v_cndmask_b32_e32 v19, 0x7f800001, v19, vcc_lo
; %bb.7437:                             ;   in Loop: Header=BB4_7360 Depth=2
	s_or_b32 exec_lo, exec_lo, s42
.LBB4_7438:                             ;   in Loop: Header=BB4_7360 Depth=2
	s_delay_alu instid0(SALU_CYCLE_1)
	s_or_b32 exec_lo, exec_lo, s41
.LBB4_7439:                             ;   in Loop: Header=BB4_7360 Depth=2
	s_delay_alu instid0(SALU_CYCLE_1) | instskip(NEXT) | instid1(SALU_CYCLE_1)
	s_or_b32 exec_lo, exec_lo, s14
	s_mov_b32 s14, exec_lo
	s_wait_loadcnt_dscnt 0xe0e
	v_cmpx_ne_u16_e32 0, v90
	s_cbranch_execz .LBB4_7449
; %bb.7440:                             ;   in Loop: Header=BB4_7360 Depth=2
	v_bfrev_b32_e32 v21, 1
	s_mov_b32 s41, exec_lo
	v_cmpx_ne_u16_e32 0xff80, v90
	s_cbranch_execz .LBB4_7448
; %bb.7441:                             ;   in Loop: Header=BB4_7360 Depth=2
	v_and_b32_e32 v21, 0x7c, v90
	v_and_b32_e32 v23, 3, v90
	s_delay_alu instid0(VALU_DEP_2) | instskip(SKIP_1) | instid1(SALU_CYCLE_1)
	v_cmp_ne_u32_e32 vcc_lo, 0x7c, v21
                                        ; implicit-def: $vgpr21
	s_and_saveexec_b32 s42, vcc_lo
	s_xor_b32 s42, exec_lo, s42
	s_cbranch_execz .LBB4_7445
; %bb.7442:                             ;   in Loop: Header=BB4_7360 Depth=2
	v_and_b32_e32 v21, 0xff, v90
	s_mov_b32 s43, exec_lo
	s_delay_alu instid0(VALU_DEP_1) | instskip(NEXT) | instid1(VALU_DEP_1)
	v_bfe_u32 v21, v21, 2, 5
	v_cmpx_eq_u32_e32 0, v21
	s_cbranch_execz .LBB4_7444
; %bb.7443:                             ;   in Loop: Header=BB4_7360 Depth=2
	v_clz_i32_u32_e32 v21, v23
	s_delay_alu instid0(VALU_DEP_1) | instskip(SKIP_1) | instid1(VALU_DEP_2)
	v_min_u32_e32 v21, 32, v21
	v_mov_b32_e32 v91, v53
	v_subrev_nc_u32_e32 v23, 29, v21
	v_sub_nc_u32_e32 v21, 30, v21
	s_delay_alu instid0(VALU_DEP_2) | instskip(NEXT) | instid1(VALU_DEP_1)
	v_lshlrev_b64_e32 v[104:105], v23, v[90:91]
	v_and_b32_e32 v23, 3, v104
.LBB4_7444:                             ;   in Loop: Header=BB4_7360 Depth=2
	s_or_b32 exec_lo, exec_lo, s43
	v_bfe_i32 v25, v90, 0, 16
	s_delay_alu instid0(VALU_DEP_1) | instskip(NEXT) | instid1(VALU_DEP_1)
	v_and_b32_e32 v25, 0x80000000, v25
	v_lshl_add_u32 v21, v21, 23, v25
	s_delay_alu instid0(VALU_DEP_1) | instskip(NEXT) | instid1(VALU_DEP_1)
	v_lshl_or_b32 v21, v23, 21, v21
                                        ; implicit-def: $vgpr23
	v_add_nc_u32_e32 v21, 0x38000000, v21
.LBB4_7445:                             ;   in Loop: Header=BB4_7360 Depth=2
	s_and_not1_saveexec_b32 s42, s42
; %bb.7446:                             ;   in Loop: Header=BB4_7360 Depth=2
	v_cmp_lt_i16_e32 vcc_lo, -1, v90
	v_cndmask_b32_e32 v21, 0xff800000, v109, vcc_lo
	v_cmp_eq_u32_e32 vcc_lo, 0, v23
	s_delay_alu instid0(VALU_DEP_2)
	v_cndmask_b32_e32 v21, 0x7f800001, v21, vcc_lo
; %bb.7447:                             ;   in Loop: Header=BB4_7360 Depth=2
	s_or_b32 exec_lo, exec_lo, s42
.LBB4_7448:                             ;   in Loop: Header=BB4_7360 Depth=2
	s_delay_alu instid0(SALU_CYCLE_1)
	s_or_b32 exec_lo, exec_lo, s41
.LBB4_7449:                             ;   in Loop: Header=BB4_7360 Depth=2
	s_delay_alu instid0(SALU_CYCLE_1) | instskip(NEXT) | instid1(VALU_DEP_1)
	s_or_b32 exec_lo, exec_lo, s14
	v_dual_max_num_f32 v21, v21, v21 :: v_dual_max_num_f32 v19, v19, v19
	s_mov_b32 s14, 0
	s_delay_alu instid0(VALU_DEP_1)
	v_max_num_f32_e32 v19, v19, v21
.LBB4_7450:                             ;   in Loop: Header=BB4_7360 Depth=2
	s_and_b32 vcc_lo, exec_lo, s14
	s_cbranch_vccz .LBB4_7472
; %bb.7451:                             ;   in Loop: Header=BB4_7360 Depth=2
	v_dual_mov_b32 v21, 0 :: v_dual_mov_b32 v19, 0
	s_and_saveexec_b32 s14, s7
	s_cbranch_execz .LBB4_7461
; %bb.7452:                             ;   in Loop: Header=BB4_7360 Depth=2
	v_bfrev_b32_e32 v19, 1
	s_mov_b32 s7, exec_lo
	v_cmpx_ne_u16_e32 0xff80, v92
	s_cbranch_execz .LBB4_7460
; %bb.7453:                             ;   in Loop: Header=BB4_7360 Depth=2
	v_and_b32_e32 v19, 0x7c, v17
	v_and_b32_e32 v23, 3, v17
	s_delay_alu instid0(VALU_DEP_2) | instskip(SKIP_1) | instid1(SALU_CYCLE_1)
	v_cmp_ne_u32_e32 vcc_lo, 0x7c, v19
                                        ; implicit-def: $vgpr19
	s_and_saveexec_b32 s41, vcc_lo
	s_xor_b32 s41, exec_lo, s41
	s_cbranch_execz .LBB4_7457
; %bb.7454:                             ;   in Loop: Header=BB4_7360 Depth=2
	v_bfe_u32 v17, v17, 2, 5
	s_mov_b32 s42, exec_lo
	s_delay_alu instid0(VALU_DEP_1)
	v_cmpx_eq_u32_e32 0, v17
	s_cbranch_execz .LBB4_7456
; %bb.7455:                             ;   in Loop: Header=BB4_7360 Depth=2
	v_clz_i32_u32_e32 v17, v23
	s_delay_alu instid0(VALU_DEP_1) | instskip(SKIP_1) | instid1(VALU_DEP_2)
	v_min_u32_e32 v17, 32, v17
	v_mov_b32_e32 v93, v53
	v_subrev_nc_u32_e32 v19, 29, v17
	v_sub_nc_u32_e32 v17, 30, v17
	s_delay_alu instid0(VALU_DEP_2) | instskip(NEXT) | instid1(VALU_DEP_1)
	v_lshlrev_b64_e32 v[104:105], v19, v[92:93]
	v_and_b32_e32 v23, 3, v104
.LBB4_7456:                             ;   in Loop: Header=BB4_7360 Depth=2
	s_or_b32 exec_lo, exec_lo, s42
	v_bfe_i32 v19, v92, 0, 16
                                        ; implicit-def: $vgpr92
	s_delay_alu instid0(VALU_DEP_1) | instskip(NEXT) | instid1(VALU_DEP_1)
	v_and_b32_e32 v19, 0x80000000, v19
	v_lshl_add_u32 v17, v17, 23, v19
	s_delay_alu instid0(VALU_DEP_1) | instskip(NEXT) | instid1(VALU_DEP_1)
	v_lshl_or_b32 v17, v23, 21, v17
                                        ; implicit-def: $vgpr23
	v_add_nc_u32_e32 v19, 0x38000000, v17
.LBB4_7457:                             ;   in Loop: Header=BB4_7360 Depth=2
	s_and_not1_saveexec_b32 s41, s41
; %bb.7458:                             ;   in Loop: Header=BB4_7360 Depth=2
	v_cmp_lt_i16_e32 vcc_lo, -1, v92
	v_cndmask_b32_e32 v17, 0xff800000, v109, vcc_lo
	v_cmp_eq_u32_e32 vcc_lo, 0, v23
	s_delay_alu instid0(VALU_DEP_2)
	v_cndmask_b32_e32 v19, 0x7f800001, v17, vcc_lo
; %bb.7459:                             ;   in Loop: Header=BB4_7360 Depth=2
	s_or_b32 exec_lo, exec_lo, s41
.LBB4_7460:                             ;   in Loop: Header=BB4_7360 Depth=2
	s_delay_alu instid0(SALU_CYCLE_1)
	s_or_b32 exec_lo, exec_lo, s7
.LBB4_7461:                             ;   in Loop: Header=BB4_7360 Depth=2
	s_delay_alu instid0(SALU_CYCLE_1) | instskip(NEXT) | instid1(SALU_CYCLE_1)
	s_or_b32 exec_lo, exec_lo, s14
	s_mov_b32 s7, exec_lo
	s_wait_loadcnt_dscnt 0xe0e
	v_cmpx_ne_u16_e32 0, v90
	s_cbranch_execz .LBB4_7471
; %bb.7462:                             ;   in Loop: Header=BB4_7360 Depth=2
	v_bfrev_b32_e32 v21, 1
	s_mov_b32 s14, exec_lo
	v_cmpx_ne_u16_e32 0xff80, v90
	s_cbranch_execz .LBB4_7470
; %bb.7463:                             ;   in Loop: Header=BB4_7360 Depth=2
	v_and_b32_e32 v21, 0x7c, v90
	v_and_b32_e32 v17, 3, v90
	s_delay_alu instid0(VALU_DEP_2) | instskip(SKIP_1) | instid1(SALU_CYCLE_1)
	v_cmp_ne_u32_e32 vcc_lo, 0x7c, v21
                                        ; implicit-def: $vgpr21
	s_and_saveexec_b32 s41, vcc_lo
	s_xor_b32 s41, exec_lo, s41
	s_cbranch_execz .LBB4_7467
; %bb.7464:                             ;   in Loop: Header=BB4_7360 Depth=2
	v_and_b32_e32 v21, 0xff, v90
	s_mov_b32 s42, exec_lo
	s_delay_alu instid0(VALU_DEP_1) | instskip(NEXT) | instid1(VALU_DEP_1)
	v_bfe_u32 v21, v21, 2, 5
	v_cmpx_eq_u32_e32 0, v21
; %bb.7465:                             ;   in Loop: Header=BB4_7360 Depth=2
	v_clz_i32_u32_e32 v17, v17
	s_delay_alu instid0(VALU_DEP_1) | instskip(SKIP_1) | instid1(VALU_DEP_2)
	v_min_u32_e32 v17, 32, v17
	v_mov_b32_e32 v91, v53
	v_subrev_nc_u32_e32 v21, 29, v17
	s_delay_alu instid0(VALU_DEP_1) | instskip(NEXT) | instid1(VALU_DEP_1)
	v_lshlrev_b64_e32 v[92:93], v21, v[90:91]
	v_dual_sub_nc_u32 v21, 30, v17 :: v_dual_bitop2_b32 v17, 3, v92 bitop3:0x40
; %bb.7466:                             ;   in Loop: Header=BB4_7360 Depth=2
	s_or_b32 exec_lo, exec_lo, s42
	v_bfe_i32 v23, v90, 0, 16
                                        ; implicit-def: $vgpr90
	s_delay_alu instid0(VALU_DEP_1) | instskip(NEXT) | instid1(VALU_DEP_1)
	v_and_b32_e32 v23, 0x80000000, v23
	v_lshl_add_u32 v21, v21, 23, v23
	s_delay_alu instid0(VALU_DEP_1) | instskip(NEXT) | instid1(VALU_DEP_1)
	v_lshl_or_b32 v17, v17, 21, v21
	v_add_nc_u32_e32 v21, 0x38000000, v17
                                        ; implicit-def: $vgpr17
.LBB4_7467:                             ;   in Loop: Header=BB4_7360 Depth=2
	s_and_not1_saveexec_b32 s41, s41
; %bb.7468:                             ;   in Loop: Header=BB4_7360 Depth=2
	v_cmp_lt_i16_e32 vcc_lo, -1, v90
	v_cndmask_b32_e32 v21, 0xff800000, v109, vcc_lo
	v_cmp_eq_u32_e32 vcc_lo, 0, v17
	s_delay_alu instid0(VALU_DEP_2)
	v_cndmask_b32_e32 v21, 0x7f800001, v21, vcc_lo
; %bb.7469:                             ;   in Loop: Header=BB4_7360 Depth=2
	s_or_b32 exec_lo, exec_lo, s41
.LBB4_7470:                             ;   in Loop: Header=BB4_7360 Depth=2
	s_delay_alu instid0(SALU_CYCLE_1)
	s_or_b32 exec_lo, exec_lo, s14
.LBB4_7471:                             ;   in Loop: Header=BB4_7360 Depth=2
	s_delay_alu instid0(SALU_CYCLE_1) | instskip(NEXT) | instid1(VALU_DEP_1)
	s_or_b32 exec_lo, exec_lo, s7
	v_dual_max_num_f32 v17, v21, v21 :: v_dual_max_num_f32 v19, v19, v19
	s_delay_alu instid0(VALU_DEP_1)
	v_min_num_f32_e32 v19, v19, v17
.LBB4_7472:                             ;   in Loop: Header=BB4_7360 Depth=2
	s_wait_loadcnt_dscnt 0xe0e
	s_delay_alu instid0(VALU_DEP_1) | instskip(SKIP_2) | instid1(VALU_DEP_2)
	v_and_b32_e32 v90, 0x7f800000, v19
	v_mov_b32_e32 v91, v53
	v_and_b32_e32 v52, 0x7fffff, v19
	v_cmp_ne_u64_e32 vcc_lo, 0x7f800000, v[90:91]
                                        ; implicit-def: $vgpr91
	s_and_saveexec_b32 s7, vcc_lo
	s_delay_alu instid0(SALU_CYCLE_1)
	s_xor_b32 s14, exec_lo, s7
	s_cbranch_execz .LBB4_7490
; %bb.7473:                             ;   in Loop: Header=BB4_7360 Depth=2
	v_and_b32_e32 v90, 0x7fffffff, v19
	v_dual_mov_b32 v91, v53 :: v_dual_lshrrev_b32 v17, 24, v19
	s_delay_alu instid0(VALU_DEP_1) | instskip(NEXT) | instid1(VALU_DEP_2)
	v_cmp_gt_u64_e32 vcc_lo, 0x47600001, v[90:91]
	v_and_b32_e32 v17, 0x80, v17
                                        ; implicit-def: $vgpr91
	s_and_saveexec_b32 s7, vcc_lo
	s_delay_alu instid0(SALU_CYCLE_1)
	s_xor_b32 s41, exec_lo, s7
	s_cbranch_execz .LBB4_7487
; %bb.7474:                             ;   in Loop: Header=BB4_7360 Depth=2
	v_mov_b32_e32 v91, 0
	s_mov_b32 s42, exec_lo
	v_cmpx_ne_u32_e32 0, v19
	s_cbranch_execz .LBB4_7486
; %bb.7475:                             ;   in Loop: Header=BB4_7360 Depth=2
	v_bfe_u32 v19, v19, 23, 8
	v_or_b32_e32 v25, 0x800000, v52
	s_delay_alu instid0(VALU_DEP_2) | instskip(SKIP_1) | instid1(VALU_DEP_2)
	v_sub_nc_u32_e32 v21, 0x71, v19
	v_cmp_gt_u32_e32 vcc_lo, 0x72, v19
	v_cndmask_b32_e32 v21, 0, v21, vcc_lo
	v_cmp_eq_u32_e32 vcc_lo, 0, v19
	s_delay_alu instid0(VALU_DEP_2) | instskip(NEXT) | instid1(VALU_DEP_1)
	v_cndmask_b32_e64 v21, v21, 0x70, vcc_lo
	v_dual_cndmask_b32 v52, v25, v52 :: v_dual_add_nc_u32 v23, 21, v21
	s_delay_alu instid0(VALU_DEP_1) | instskip(SKIP_1) | instid1(VALU_DEP_1)
	v_lshlrev_b64_e64 v[90:91], v23, -1
	v_add_nc_u32_e32 v23, 20, v21
	v_lshlrev_b64_e64 v[92:93], v23, 1
	s_delay_alu instid0(VALU_DEP_3) | instskip(NEXT) | instid1(VALU_DEP_4)
	v_bfi_b32 v105, v91, 0, 0
	v_bfi_b32 v104, v90, 0, v52
	v_lshrrev_b64 v[90:91], v21, v[52:53]
	s_delay_alu instid0(VALU_DEP_2) | instskip(NEXT) | instid1(VALU_DEP_2)
	v_cmp_eq_u64_e64 s7, v[104:105], v[92:93]
	v_mov_b64_e32 v[92:93], v[90:91]
	s_and_saveexec_b32 s43, s7
; %bb.7476:                             ;   in Loop: Header=BB4_7360 Depth=2
	v_bfe_u32 v52, v90, 21, 1
	s_delay_alu instid0(VALU_DEP_1) | instskip(NEXT) | instid1(VALU_DEP_1)
	v_add_nc_u64_e32 v[92:93], v[90:91], v[52:53]
	v_add_nc_u64_e32 v[92:93], -1, v[92:93]
; %bb.7477:                             ;   in Loop: Header=BB4_7360 Depth=2
	s_or_b32 exec_lo, exec_lo, s43
	v_add_nc_u32_e32 v19, 0xffffff81, v19
	v_lshrrev_b32_e32 v23, 23, v90
	s_mov_b32 s7, exec_lo
	s_delay_alu instid0(VALU_DEP_2) | instskip(NEXT) | instid1(VALU_DEP_1)
	v_cndmask_b32_e64 v19, v19, 0xffffff82, vcc_lo
	v_add3_u32 v21, v21, v19, v23
	v_and_b32_e32 v19, 0x1fffff, v92
	s_delay_alu instid0(VALU_DEP_1) | instskip(NEXT) | instid1(VALU_DEP_1)
	v_dual_add_nc_u32 v23, 14, v21 :: v_dual_add_nc_u32 v52, v19, v90
                                        ; implicit-def: $vgpr90_vgpr91
                                        ; implicit-def: $vgpr19
	v_cmpx_ne_u32_e32 0, v23
	s_xor_b32 s7, exec_lo, s7
; %bb.7478:                             ;   in Loop: Header=BB4_7360 Depth=2
	s_delay_alu instid0(VALU_DEP_2) | instskip(SKIP_2) | instid1(VALU_DEP_2)
	v_cmp_lt_u64_e32 vcc_lo, 0xffffff, v[52:53]
	v_add_nc_u32_e32 v19, 15, v21
	v_cndmask_b32_e64 v21, 0, 1, vcc_lo
	v_cndmask_b32_e32 v19, v23, v19, vcc_lo
	s_delay_alu instid0(VALU_DEP_2)
	v_lshrrev_b64 v[90:91], v21, v[52:53]
; %bb.7479:                             ;   in Loop: Header=BB4_7360 Depth=2
	s_and_not1_saveexec_b32 s7, s7
; %bb.7480:                             ;   in Loop: Header=BB4_7360 Depth=2
	v_mov_b64_e32 v[90:91], v[52:53]
	v_bfe_u32 v19, v52, 23, 1
; %bb.7481:                             ;   in Loop: Header=BB4_7360 Depth=2
	s_or_b32 exec_lo, exec_lo, s7
	s_delay_alu instid0(VALU_DEP_2) | instskip(NEXT) | instid1(VALU_DEP_2)
	v_lshrrev_b64 v[90:91], 21, v[90:91]
	v_cmp_gt_i32_e32 vcc_lo, 32, v19
	v_cmp_ne_u32_e64 s7, 0, v19
	s_delay_alu instid0(VALU_DEP_3) | instskip(NEXT) | instid1(VALU_DEP_1)
	v_dual_cndmask_b32 v91, 0, v91 :: v_dual_cndmask_b32 v90, 3, v90
	v_cmp_ne_u64_e32 vcc_lo, 0, v[90:91]
                                        ; implicit-def: $vgpr91
	s_or_b32 s7, s7, vcc_lo
	s_delay_alu instid0(SALU_CYCLE_1) | instskip(NEXT) | instid1(SALU_CYCLE_1)
	s_and_saveexec_b32 s43, s7
	s_xor_b32 s7, exec_lo, s43
; %bb.7482:                             ;   in Loop: Header=BB4_7360 Depth=2
	v_min_i32_e32 v19, 31, v19
	s_delay_alu instid0(VALU_DEP_1) | instskip(NEXT) | instid1(VALU_DEP_1)
	v_lshl_or_b32 v17, v19, 2, v17
	v_and_or_b32 v91, v90, 3, v17
                                        ; implicit-def: $vgpr17
; %bb.7483:                             ;   in Loop: Header=BB4_7360 Depth=2
	s_and_not1_saveexec_b32 s7, s7
; %bb.7484:                             ;   in Loop: Header=BB4_7360 Depth=2
	v_mov_b32_e32 v91, v17
; %bb.7485:                             ;   in Loop: Header=BB4_7360 Depth=2
	s_or_b32 exec_lo, exec_lo, s7
.LBB4_7486:                             ;   in Loop: Header=BB4_7360 Depth=2
	s_delay_alu instid0(SALU_CYCLE_1)
	s_or_b32 exec_lo, exec_lo, s42
                                        ; implicit-def: $vgpr17
.LBB4_7487:                             ;   in Loop: Header=BB4_7360 Depth=2
	s_and_not1_saveexec_b32 s7, s41
; %bb.7488:                             ;   in Loop: Header=BB4_7360 Depth=2
	v_or_b32_e32 v91, 0x7b, v17
; %bb.7489:                             ;   in Loop: Header=BB4_7360 Depth=2
	s_or_b32 exec_lo, exec_lo, s7
                                        ; implicit-def: $vgpr19
.LBB4_7490:                             ;   in Loop: Header=BB4_7360 Depth=2
	s_and_not1_saveexec_b32 s7, s14
	s_cbranch_execz .LBB4_7496
; %bb.7491:                             ;   in Loop: Header=BB4_7360 Depth=2
	s_mov_b32 s14, exec_lo
                                        ; implicit-def: $vgpr91
	v_cmpx_ne_u64_e32 0, v[52:53]
	s_xor_b32 s14, exec_lo, s14
; %bb.7492:                             ;   in Loop: Header=BB4_7360 Depth=2
	v_lshrrev_b32_e32 v17, 24, v19
                                        ; implicit-def: $vgpr19
	s_delay_alu instid0(VALU_DEP_1)
	v_or_b32_e32 v91, 0x7f, v17
; %bb.7493:                             ;   in Loop: Header=BB4_7360 Depth=2
	s_and_not1_saveexec_b32 s14, s14
; %bb.7494:                             ;   in Loop: Header=BB4_7360 Depth=2
	v_cmp_lt_i32_e32 vcc_lo, -1, v19
	v_cndmask_b32_e64 v91, -4, 0x7c, vcc_lo
; %bb.7495:                             ;   in Loop: Header=BB4_7360 Depth=2
	s_or_b32 exec_lo, exec_lo, s14
.LBB4_7496:                             ;   in Loop: Header=BB4_7360 Depth=2
	s_delay_alu instid0(SALU_CYCLE_1)
	s_or_b32 exec_lo, exec_lo, s7
	v_and_b32_e32 v17, 0xff, v88
	v_cmp_ne_u16_e64 s7, 0, v88
	s_and_not1_b32 vcc_lo, exec_lo, s13
	s_mov_b32 s14, -1
                                        ; implicit-def: $vgpr19
	s_cbranch_vccnz .LBB4_7518
; %bb.7497:                             ;   in Loop: Header=BB4_7360 Depth=2
	v_dual_mov_b32 v21, 0 :: v_dual_mov_b32 v19, 0
	s_and_saveexec_b32 s14, s7
	s_cbranch_execz .LBB4_7507
; %bb.7498:                             ;   in Loop: Header=BB4_7360 Depth=2
	v_bfrev_b32_e32 v19, 1
	s_mov_b32 s41, exec_lo
	v_cmpx_ne_u16_e32 0xff80, v88
	s_cbranch_execz .LBB4_7506
; %bb.7499:                             ;   in Loop: Header=BB4_7360 Depth=2
	v_and_b32_e32 v19, 0x7c, v17
	v_and_b32_e32 v23, 3, v17
	s_delay_alu instid0(VALU_DEP_2) | instskip(SKIP_1) | instid1(SALU_CYCLE_1)
	v_cmp_ne_u32_e32 vcc_lo, 0x7c, v19
                                        ; implicit-def: $vgpr19
	s_and_saveexec_b32 s42, vcc_lo
	s_xor_b32 s42, exec_lo, s42
	s_cbranch_execz .LBB4_7503
; %bb.7500:                             ;   in Loop: Header=BB4_7360 Depth=2
	v_bfe_u32 v19, v17, 2, 5
	s_mov_b32 s43, exec_lo
	s_delay_alu instid0(VALU_DEP_1)
	v_cmpx_eq_u32_e32 0, v19
	s_cbranch_execz .LBB4_7502
; %bb.7501:                             ;   in Loop: Header=BB4_7360 Depth=2
	v_clz_i32_u32_e32 v19, v23
	s_delay_alu instid0(VALU_DEP_1) | instskip(SKIP_1) | instid1(VALU_DEP_2)
	v_min_u32_e32 v19, 32, v19
	v_mov_b32_e32 v89, v53
	v_subrev_nc_u32_e32 v23, 29, v19
	v_sub_nc_u32_e32 v19, 30, v19
	s_delay_alu instid0(VALU_DEP_2) | instskip(NEXT) | instid1(VALU_DEP_1)
	v_lshlrev_b64_e32 v[92:93], v23, v[88:89]
	v_and_b32_e32 v23, 3, v92
.LBB4_7502:                             ;   in Loop: Header=BB4_7360 Depth=2
	s_or_b32 exec_lo, exec_lo, s43
	v_bfe_i32 v25, v88, 0, 16
	s_delay_alu instid0(VALU_DEP_1) | instskip(NEXT) | instid1(VALU_DEP_1)
	v_and_b32_e32 v25, 0x80000000, v25
	v_lshl_add_u32 v19, v19, 23, v25
	s_delay_alu instid0(VALU_DEP_1) | instskip(NEXT) | instid1(VALU_DEP_1)
	v_lshl_or_b32 v19, v23, 21, v19
                                        ; implicit-def: $vgpr23
	v_add_nc_u32_e32 v19, 0x38000000, v19
.LBB4_7503:                             ;   in Loop: Header=BB4_7360 Depth=2
	s_and_not1_saveexec_b32 s42, s42
; %bb.7504:                             ;   in Loop: Header=BB4_7360 Depth=2
	v_cmp_lt_i16_e32 vcc_lo, -1, v88
	v_cndmask_b32_e32 v19, 0xff800000, v109, vcc_lo
	v_cmp_eq_u32_e32 vcc_lo, 0, v23
	s_delay_alu instid0(VALU_DEP_2)
	v_cndmask_b32_e32 v19, 0x7f800001, v19, vcc_lo
; %bb.7505:                             ;   in Loop: Header=BB4_7360 Depth=2
	s_or_b32 exec_lo, exec_lo, s42
.LBB4_7506:                             ;   in Loop: Header=BB4_7360 Depth=2
	s_delay_alu instid0(SALU_CYCLE_1)
	s_or_b32 exec_lo, exec_lo, s41
.LBB4_7507:                             ;   in Loop: Header=BB4_7360 Depth=2
	s_delay_alu instid0(SALU_CYCLE_1) | instskip(NEXT) | instid1(SALU_CYCLE_1)
	s_or_b32 exec_lo, exec_lo, s14
	s_mov_b32 s14, exec_lo
	s_wait_loadcnt_dscnt 0xd0d
	v_cmpx_ne_u16_e32 0, v78
	s_cbranch_execz .LBB4_7517
; %bb.7508:                             ;   in Loop: Header=BB4_7360 Depth=2
	v_bfrev_b32_e32 v21, 1
	s_mov_b32 s41, exec_lo
	v_cmpx_ne_u16_e32 0xff80, v78
	s_cbranch_execz .LBB4_7516
; %bb.7509:                             ;   in Loop: Header=BB4_7360 Depth=2
	v_and_b32_e32 v21, 0x7c, v78
	v_and_b32_e32 v23, 3, v78
	s_delay_alu instid0(VALU_DEP_2) | instskip(SKIP_1) | instid1(SALU_CYCLE_1)
	v_cmp_ne_u32_e32 vcc_lo, 0x7c, v21
                                        ; implicit-def: $vgpr21
	s_and_saveexec_b32 s42, vcc_lo
	s_xor_b32 s42, exec_lo, s42
	s_cbranch_execz .LBB4_7513
; %bb.7510:                             ;   in Loop: Header=BB4_7360 Depth=2
	v_and_b32_e32 v21, 0xff, v78
	s_mov_b32 s43, exec_lo
	s_delay_alu instid0(VALU_DEP_1) | instskip(NEXT) | instid1(VALU_DEP_1)
	v_bfe_u32 v21, v21, 2, 5
	v_cmpx_eq_u32_e32 0, v21
	s_cbranch_execz .LBB4_7512
; %bb.7511:                             ;   in Loop: Header=BB4_7360 Depth=2
	v_clz_i32_u32_e32 v21, v23
	s_delay_alu instid0(VALU_DEP_1) | instskip(SKIP_1) | instid1(VALU_DEP_2)
	v_min_u32_e32 v21, 32, v21
	v_mov_b32_e32 v79, v53
	v_subrev_nc_u32_e32 v23, 29, v21
	v_sub_nc_u32_e32 v21, 30, v21
	s_delay_alu instid0(VALU_DEP_2) | instskip(NEXT) | instid1(VALU_DEP_1)
	v_lshlrev_b64_e32 v[92:93], v23, v[78:79]
	v_and_b32_e32 v23, 3, v92
.LBB4_7512:                             ;   in Loop: Header=BB4_7360 Depth=2
	s_or_b32 exec_lo, exec_lo, s43
	v_bfe_i32 v25, v78, 0, 16
	s_delay_alu instid0(VALU_DEP_1) | instskip(NEXT) | instid1(VALU_DEP_1)
	v_and_b32_e32 v25, 0x80000000, v25
	v_lshl_add_u32 v21, v21, 23, v25
	s_delay_alu instid0(VALU_DEP_1) | instskip(NEXT) | instid1(VALU_DEP_1)
	v_lshl_or_b32 v21, v23, 21, v21
                                        ; implicit-def: $vgpr23
	v_add_nc_u32_e32 v21, 0x38000000, v21
.LBB4_7513:                             ;   in Loop: Header=BB4_7360 Depth=2
	s_and_not1_saveexec_b32 s42, s42
; %bb.7514:                             ;   in Loop: Header=BB4_7360 Depth=2
	v_cmp_lt_i16_e32 vcc_lo, -1, v78
	v_cndmask_b32_e32 v21, 0xff800000, v109, vcc_lo
	v_cmp_eq_u32_e32 vcc_lo, 0, v23
	s_delay_alu instid0(VALU_DEP_2)
	v_cndmask_b32_e32 v21, 0x7f800001, v21, vcc_lo
; %bb.7515:                             ;   in Loop: Header=BB4_7360 Depth=2
	s_or_b32 exec_lo, exec_lo, s42
.LBB4_7516:                             ;   in Loop: Header=BB4_7360 Depth=2
	s_delay_alu instid0(SALU_CYCLE_1)
	s_or_b32 exec_lo, exec_lo, s41
.LBB4_7517:                             ;   in Loop: Header=BB4_7360 Depth=2
	s_delay_alu instid0(SALU_CYCLE_1) | instskip(NEXT) | instid1(VALU_DEP_1)
	s_or_b32 exec_lo, exec_lo, s14
	v_dual_max_num_f32 v21, v21, v21 :: v_dual_max_num_f32 v19, v19, v19
	s_mov_b32 s14, 0
	s_delay_alu instid0(VALU_DEP_1)
	v_max_num_f32_e32 v19, v19, v21
.LBB4_7518:                             ;   in Loop: Header=BB4_7360 Depth=2
	s_and_b32 vcc_lo, exec_lo, s14
	s_cbranch_vccz .LBB4_7540
; %bb.7519:                             ;   in Loop: Header=BB4_7360 Depth=2
	v_dual_mov_b32 v21, 0 :: v_dual_mov_b32 v19, 0
	s_and_saveexec_b32 s14, s7
	s_cbranch_execz .LBB4_7529
; %bb.7520:                             ;   in Loop: Header=BB4_7360 Depth=2
	v_bfrev_b32_e32 v19, 1
	s_mov_b32 s7, exec_lo
	v_cmpx_ne_u16_e32 0xff80, v88
	s_cbranch_execz .LBB4_7528
; %bb.7521:                             ;   in Loop: Header=BB4_7360 Depth=2
	v_and_b32_e32 v19, 0x7c, v17
	v_and_b32_e32 v23, 3, v17
	s_delay_alu instid0(VALU_DEP_2) | instskip(SKIP_1) | instid1(SALU_CYCLE_1)
	v_cmp_ne_u32_e32 vcc_lo, 0x7c, v19
                                        ; implicit-def: $vgpr19
	s_and_saveexec_b32 s41, vcc_lo
	s_xor_b32 s41, exec_lo, s41
	s_cbranch_execz .LBB4_7525
; %bb.7522:                             ;   in Loop: Header=BB4_7360 Depth=2
	v_bfe_u32 v17, v17, 2, 5
	s_mov_b32 s42, exec_lo
	s_delay_alu instid0(VALU_DEP_1)
	v_cmpx_eq_u32_e32 0, v17
	s_cbranch_execz .LBB4_7524
; %bb.7523:                             ;   in Loop: Header=BB4_7360 Depth=2
	v_clz_i32_u32_e32 v17, v23
	s_delay_alu instid0(VALU_DEP_1) | instskip(SKIP_1) | instid1(VALU_DEP_2)
	v_min_u32_e32 v17, 32, v17
	v_mov_b32_e32 v89, v53
	v_subrev_nc_u32_e32 v19, 29, v17
	v_sub_nc_u32_e32 v17, 30, v17
	s_delay_alu instid0(VALU_DEP_2) | instskip(NEXT) | instid1(VALU_DEP_1)
	v_lshlrev_b64_e32 v[92:93], v19, v[88:89]
	v_and_b32_e32 v23, 3, v92
.LBB4_7524:                             ;   in Loop: Header=BB4_7360 Depth=2
	s_or_b32 exec_lo, exec_lo, s42
	v_bfe_i32 v19, v88, 0, 16
                                        ; implicit-def: $vgpr88
	s_delay_alu instid0(VALU_DEP_1) | instskip(NEXT) | instid1(VALU_DEP_1)
	v_and_b32_e32 v19, 0x80000000, v19
	v_lshl_add_u32 v17, v17, 23, v19
	s_delay_alu instid0(VALU_DEP_1) | instskip(NEXT) | instid1(VALU_DEP_1)
	v_lshl_or_b32 v17, v23, 21, v17
                                        ; implicit-def: $vgpr23
	v_add_nc_u32_e32 v19, 0x38000000, v17
.LBB4_7525:                             ;   in Loop: Header=BB4_7360 Depth=2
	s_and_not1_saveexec_b32 s41, s41
; %bb.7526:                             ;   in Loop: Header=BB4_7360 Depth=2
	v_cmp_lt_i16_e32 vcc_lo, -1, v88
	v_cndmask_b32_e32 v17, 0xff800000, v109, vcc_lo
	v_cmp_eq_u32_e32 vcc_lo, 0, v23
	s_delay_alu instid0(VALU_DEP_2)
	v_cndmask_b32_e32 v19, 0x7f800001, v17, vcc_lo
; %bb.7527:                             ;   in Loop: Header=BB4_7360 Depth=2
	s_or_b32 exec_lo, exec_lo, s41
.LBB4_7528:                             ;   in Loop: Header=BB4_7360 Depth=2
	s_delay_alu instid0(SALU_CYCLE_1)
	s_or_b32 exec_lo, exec_lo, s7
.LBB4_7529:                             ;   in Loop: Header=BB4_7360 Depth=2
	s_delay_alu instid0(SALU_CYCLE_1) | instskip(NEXT) | instid1(SALU_CYCLE_1)
	s_or_b32 exec_lo, exec_lo, s14
	s_mov_b32 s7, exec_lo
	s_wait_loadcnt_dscnt 0xd0d
	v_cmpx_ne_u16_e32 0, v78
	s_cbranch_execz .LBB4_7539
; %bb.7530:                             ;   in Loop: Header=BB4_7360 Depth=2
	v_bfrev_b32_e32 v21, 1
	s_mov_b32 s14, exec_lo
	v_cmpx_ne_u16_e32 0xff80, v78
	s_cbranch_execz .LBB4_7538
; %bb.7531:                             ;   in Loop: Header=BB4_7360 Depth=2
	v_and_b32_e32 v21, 0x7c, v78
	v_and_b32_e32 v17, 3, v78
	s_delay_alu instid0(VALU_DEP_2) | instskip(SKIP_1) | instid1(SALU_CYCLE_1)
	v_cmp_ne_u32_e32 vcc_lo, 0x7c, v21
                                        ; implicit-def: $vgpr21
	s_and_saveexec_b32 s41, vcc_lo
	s_xor_b32 s41, exec_lo, s41
	s_cbranch_execz .LBB4_7535
; %bb.7532:                             ;   in Loop: Header=BB4_7360 Depth=2
	v_and_b32_e32 v21, 0xff, v78
	s_mov_b32 s42, exec_lo
	s_delay_alu instid0(VALU_DEP_1) | instskip(NEXT) | instid1(VALU_DEP_1)
	v_bfe_u32 v21, v21, 2, 5
	v_cmpx_eq_u32_e32 0, v21
; %bb.7533:                             ;   in Loop: Header=BB4_7360 Depth=2
	v_clz_i32_u32_e32 v17, v17
	s_delay_alu instid0(VALU_DEP_1) | instskip(SKIP_1) | instid1(VALU_DEP_2)
	v_min_u32_e32 v17, 32, v17
	v_mov_b32_e32 v79, v53
	v_subrev_nc_u32_e32 v21, 29, v17
	s_delay_alu instid0(VALU_DEP_1) | instskip(NEXT) | instid1(VALU_DEP_1)
	v_lshlrev_b64_e32 v[88:89], v21, v[78:79]
	v_dual_sub_nc_u32 v21, 30, v17 :: v_dual_bitop2_b32 v17, 3, v88 bitop3:0x40
; %bb.7534:                             ;   in Loop: Header=BB4_7360 Depth=2
	s_or_b32 exec_lo, exec_lo, s42
	v_bfe_i32 v23, v78, 0, 16
                                        ; implicit-def: $vgpr78
	s_delay_alu instid0(VALU_DEP_1) | instskip(NEXT) | instid1(VALU_DEP_1)
	v_and_b32_e32 v23, 0x80000000, v23
	v_lshl_add_u32 v21, v21, 23, v23
	s_delay_alu instid0(VALU_DEP_1) | instskip(NEXT) | instid1(VALU_DEP_1)
	v_lshl_or_b32 v17, v17, 21, v21
	v_add_nc_u32_e32 v21, 0x38000000, v17
                                        ; implicit-def: $vgpr17
.LBB4_7535:                             ;   in Loop: Header=BB4_7360 Depth=2
	s_and_not1_saveexec_b32 s41, s41
; %bb.7536:                             ;   in Loop: Header=BB4_7360 Depth=2
	v_cmp_lt_i16_e32 vcc_lo, -1, v78
	v_cndmask_b32_e32 v21, 0xff800000, v109, vcc_lo
	v_cmp_eq_u32_e32 vcc_lo, 0, v17
	s_delay_alu instid0(VALU_DEP_2)
	v_cndmask_b32_e32 v21, 0x7f800001, v21, vcc_lo
; %bb.7537:                             ;   in Loop: Header=BB4_7360 Depth=2
	s_or_b32 exec_lo, exec_lo, s41
.LBB4_7538:                             ;   in Loop: Header=BB4_7360 Depth=2
	s_delay_alu instid0(SALU_CYCLE_1)
	s_or_b32 exec_lo, exec_lo, s14
.LBB4_7539:                             ;   in Loop: Header=BB4_7360 Depth=2
	s_delay_alu instid0(SALU_CYCLE_1) | instskip(NEXT) | instid1(VALU_DEP_1)
	s_or_b32 exec_lo, exec_lo, s7
	v_dual_max_num_f32 v17, v21, v21 :: v_dual_max_num_f32 v19, v19, v19
	s_delay_alu instid0(VALU_DEP_1)
	v_min_num_f32_e32 v19, v19, v17
.LBB4_7540:                             ;   in Loop: Header=BB4_7360 Depth=2
	s_wait_loadcnt_dscnt 0xd0d
	s_delay_alu instid0(VALU_DEP_1) | instskip(SKIP_2) | instid1(VALU_DEP_2)
	v_and_b32_e32 v78, 0x7f800000, v19
	v_mov_b32_e32 v79, v53
	v_and_b32_e32 v52, 0x7fffff, v19
	v_cmp_ne_u64_e32 vcc_lo, 0x7f800000, v[78:79]
                                        ; implicit-def: $vgpr79
	s_and_saveexec_b32 s7, vcc_lo
	s_delay_alu instid0(SALU_CYCLE_1)
	s_xor_b32 s14, exec_lo, s7
	s_cbranch_execz .LBB4_7558
; %bb.7541:                             ;   in Loop: Header=BB4_7360 Depth=2
	v_and_b32_e32 v78, 0x7fffffff, v19
	v_dual_mov_b32 v79, v53 :: v_dual_lshrrev_b32 v17, 24, v19
	s_delay_alu instid0(VALU_DEP_1) | instskip(NEXT) | instid1(VALU_DEP_2)
	v_cmp_gt_u64_e32 vcc_lo, 0x47600001, v[78:79]
	v_and_b32_e32 v17, 0x80, v17
                                        ; implicit-def: $vgpr79
	s_and_saveexec_b32 s7, vcc_lo
	s_delay_alu instid0(SALU_CYCLE_1)
	s_xor_b32 s41, exec_lo, s7
	s_cbranch_execz .LBB4_7555
; %bb.7542:                             ;   in Loop: Header=BB4_7360 Depth=2
	v_mov_b32_e32 v79, 0
	s_mov_b32 s42, exec_lo
	v_cmpx_ne_u32_e32 0, v19
	s_cbranch_execz .LBB4_7554
; %bb.7543:                             ;   in Loop: Header=BB4_7360 Depth=2
	v_bfe_u32 v19, v19, 23, 8
	v_or_b32_e32 v25, 0x800000, v52
	s_delay_alu instid0(VALU_DEP_2) | instskip(SKIP_1) | instid1(VALU_DEP_2)
	v_sub_nc_u32_e32 v21, 0x71, v19
	v_cmp_gt_u32_e32 vcc_lo, 0x72, v19
	v_cndmask_b32_e32 v21, 0, v21, vcc_lo
	v_cmp_eq_u32_e32 vcc_lo, 0, v19
	s_delay_alu instid0(VALU_DEP_2) | instskip(NEXT) | instid1(VALU_DEP_1)
	v_cndmask_b32_e64 v21, v21, 0x70, vcc_lo
	v_dual_cndmask_b32 v52, v25, v52 :: v_dual_add_nc_u32 v23, 21, v21
	s_delay_alu instid0(VALU_DEP_1) | instskip(SKIP_1) | instid1(VALU_DEP_1)
	v_lshlrev_b64_e64 v[78:79], v23, -1
	v_add_nc_u32_e32 v23, 20, v21
	v_lshlrev_b64_e64 v[88:89], v23, 1
	s_delay_alu instid0(VALU_DEP_3) | instskip(NEXT) | instid1(VALU_DEP_4)
	v_bfi_b32 v93, v79, 0, 0
	v_bfi_b32 v92, v78, 0, v52
	v_lshrrev_b64 v[78:79], v21, v[52:53]
	s_delay_alu instid0(VALU_DEP_2) | instskip(NEXT) | instid1(VALU_DEP_2)
	v_cmp_eq_u64_e64 s7, v[92:93], v[88:89]
	v_mov_b64_e32 v[88:89], v[78:79]
	s_and_saveexec_b32 s43, s7
; %bb.7544:                             ;   in Loop: Header=BB4_7360 Depth=2
	v_bfe_u32 v52, v78, 21, 1
	s_delay_alu instid0(VALU_DEP_1) | instskip(NEXT) | instid1(VALU_DEP_1)
	v_add_nc_u64_e32 v[88:89], v[78:79], v[52:53]
	v_add_nc_u64_e32 v[88:89], -1, v[88:89]
; %bb.7545:                             ;   in Loop: Header=BB4_7360 Depth=2
	s_or_b32 exec_lo, exec_lo, s43
	v_add_nc_u32_e32 v19, 0xffffff81, v19
	v_lshrrev_b32_e32 v23, 23, v78
	s_mov_b32 s7, exec_lo
	s_delay_alu instid0(VALU_DEP_2) | instskip(NEXT) | instid1(VALU_DEP_1)
	v_cndmask_b32_e64 v19, v19, 0xffffff82, vcc_lo
	v_add3_u32 v21, v21, v19, v23
	v_and_b32_e32 v19, 0x1fffff, v88
	s_delay_alu instid0(VALU_DEP_1) | instskip(NEXT) | instid1(VALU_DEP_1)
	v_dual_add_nc_u32 v23, 14, v21 :: v_dual_add_nc_u32 v52, v19, v78
                                        ; implicit-def: $vgpr78_vgpr79
                                        ; implicit-def: $vgpr19
	v_cmpx_ne_u32_e32 0, v23
	s_xor_b32 s7, exec_lo, s7
; %bb.7546:                             ;   in Loop: Header=BB4_7360 Depth=2
	s_delay_alu instid0(VALU_DEP_2) | instskip(SKIP_2) | instid1(VALU_DEP_2)
	v_cmp_lt_u64_e32 vcc_lo, 0xffffff, v[52:53]
	v_add_nc_u32_e32 v19, 15, v21
	v_cndmask_b32_e64 v21, 0, 1, vcc_lo
	v_cndmask_b32_e32 v19, v23, v19, vcc_lo
	s_delay_alu instid0(VALU_DEP_2)
	v_lshrrev_b64 v[78:79], v21, v[52:53]
; %bb.7547:                             ;   in Loop: Header=BB4_7360 Depth=2
	s_and_not1_saveexec_b32 s7, s7
; %bb.7548:                             ;   in Loop: Header=BB4_7360 Depth=2
	v_mov_b64_e32 v[78:79], v[52:53]
	v_bfe_u32 v19, v52, 23, 1
; %bb.7549:                             ;   in Loop: Header=BB4_7360 Depth=2
	s_or_b32 exec_lo, exec_lo, s7
	s_delay_alu instid0(VALU_DEP_2) | instskip(NEXT) | instid1(VALU_DEP_2)
	v_lshrrev_b64 v[78:79], 21, v[78:79]
	v_cmp_gt_i32_e32 vcc_lo, 32, v19
	v_cmp_ne_u32_e64 s7, 0, v19
	s_delay_alu instid0(VALU_DEP_3) | instskip(NEXT) | instid1(VALU_DEP_1)
	v_dual_cndmask_b32 v79, 0, v79 :: v_dual_cndmask_b32 v78, 3, v78
	v_cmp_ne_u64_e32 vcc_lo, 0, v[78:79]
                                        ; implicit-def: $vgpr79
	s_or_b32 s7, s7, vcc_lo
	s_delay_alu instid0(SALU_CYCLE_1) | instskip(NEXT) | instid1(SALU_CYCLE_1)
	s_and_saveexec_b32 s43, s7
	s_xor_b32 s7, exec_lo, s43
; %bb.7550:                             ;   in Loop: Header=BB4_7360 Depth=2
	v_min_i32_e32 v19, 31, v19
	s_delay_alu instid0(VALU_DEP_1) | instskip(NEXT) | instid1(VALU_DEP_1)
	v_lshl_or_b32 v17, v19, 2, v17
	v_and_or_b32 v79, v78, 3, v17
                                        ; implicit-def: $vgpr17
; %bb.7551:                             ;   in Loop: Header=BB4_7360 Depth=2
	s_and_not1_saveexec_b32 s7, s7
; %bb.7552:                             ;   in Loop: Header=BB4_7360 Depth=2
	v_mov_b32_e32 v79, v17
; %bb.7553:                             ;   in Loop: Header=BB4_7360 Depth=2
	s_or_b32 exec_lo, exec_lo, s7
.LBB4_7554:                             ;   in Loop: Header=BB4_7360 Depth=2
	s_delay_alu instid0(SALU_CYCLE_1)
	s_or_b32 exec_lo, exec_lo, s42
                                        ; implicit-def: $vgpr17
.LBB4_7555:                             ;   in Loop: Header=BB4_7360 Depth=2
	s_and_not1_saveexec_b32 s7, s41
; %bb.7556:                             ;   in Loop: Header=BB4_7360 Depth=2
	v_or_b32_e32 v79, 0x7b, v17
; %bb.7557:                             ;   in Loop: Header=BB4_7360 Depth=2
	s_or_b32 exec_lo, exec_lo, s7
                                        ; implicit-def: $vgpr19
.LBB4_7558:                             ;   in Loop: Header=BB4_7360 Depth=2
	s_and_not1_saveexec_b32 s7, s14
	s_cbranch_execz .LBB4_7564
; %bb.7559:                             ;   in Loop: Header=BB4_7360 Depth=2
	s_mov_b32 s14, exec_lo
                                        ; implicit-def: $vgpr79
	v_cmpx_ne_u64_e32 0, v[52:53]
	s_xor_b32 s14, exec_lo, s14
; %bb.7560:                             ;   in Loop: Header=BB4_7360 Depth=2
	v_lshrrev_b32_e32 v17, 24, v19
                                        ; implicit-def: $vgpr19
	s_delay_alu instid0(VALU_DEP_1)
	v_or_b32_e32 v79, 0x7f, v17
; %bb.7561:                             ;   in Loop: Header=BB4_7360 Depth=2
	s_and_not1_saveexec_b32 s14, s14
; %bb.7562:                             ;   in Loop: Header=BB4_7360 Depth=2
	v_cmp_lt_i32_e32 vcc_lo, -1, v19
	v_cndmask_b32_e64 v79, -4, 0x7c, vcc_lo
; %bb.7563:                             ;   in Loop: Header=BB4_7360 Depth=2
	s_or_b32 exec_lo, exec_lo, s14
.LBB4_7564:                             ;   in Loop: Header=BB4_7360 Depth=2
	s_delay_alu instid0(SALU_CYCLE_1)
	s_or_b32 exec_lo, exec_lo, s7
	v_and_b32_e32 v17, 0xff, v76
	v_cmp_ne_u16_e64 s7, 0, v76
	s_and_not1_b32 vcc_lo, exec_lo, s13
	s_mov_b32 s14, -1
                                        ; implicit-def: $vgpr19
	s_cbranch_vccnz .LBB4_7586
; %bb.7565:                             ;   in Loop: Header=BB4_7360 Depth=2
	v_dual_mov_b32 v21, 0 :: v_dual_mov_b32 v19, 0
	s_and_saveexec_b32 s14, s7
	s_cbranch_execz .LBB4_7575
; %bb.7566:                             ;   in Loop: Header=BB4_7360 Depth=2
	v_bfrev_b32_e32 v19, 1
	s_mov_b32 s41, exec_lo
	v_cmpx_ne_u16_e32 0xff80, v76
	s_cbranch_execz .LBB4_7574
; %bb.7567:                             ;   in Loop: Header=BB4_7360 Depth=2
	v_and_b32_e32 v19, 0x7c, v17
	v_and_b32_e32 v23, 3, v17
	s_delay_alu instid0(VALU_DEP_2) | instskip(SKIP_1) | instid1(SALU_CYCLE_1)
	v_cmp_ne_u32_e32 vcc_lo, 0x7c, v19
                                        ; implicit-def: $vgpr19
	s_and_saveexec_b32 s42, vcc_lo
	s_xor_b32 s42, exec_lo, s42
	s_cbranch_execz .LBB4_7571
; %bb.7568:                             ;   in Loop: Header=BB4_7360 Depth=2
	v_bfe_u32 v19, v17, 2, 5
	s_mov_b32 s43, exec_lo
	s_delay_alu instid0(VALU_DEP_1)
	v_cmpx_eq_u32_e32 0, v19
	s_cbranch_execz .LBB4_7570
; %bb.7569:                             ;   in Loop: Header=BB4_7360 Depth=2
	v_clz_i32_u32_e32 v19, v23
	s_delay_alu instid0(VALU_DEP_1) | instskip(SKIP_1) | instid1(VALU_DEP_2)
	v_min_u32_e32 v19, 32, v19
	v_mov_b32_e32 v77, v53
	v_subrev_nc_u32_e32 v23, 29, v19
	v_sub_nc_u32_e32 v19, 30, v19
	s_delay_alu instid0(VALU_DEP_2) | instskip(NEXT) | instid1(VALU_DEP_1)
	v_lshlrev_b64_e32 v[88:89], v23, v[76:77]
	v_and_b32_e32 v23, 3, v88
.LBB4_7570:                             ;   in Loop: Header=BB4_7360 Depth=2
	s_or_b32 exec_lo, exec_lo, s43
	v_bfe_i32 v25, v76, 0, 16
	s_delay_alu instid0(VALU_DEP_1) | instskip(NEXT) | instid1(VALU_DEP_1)
	v_and_b32_e32 v25, 0x80000000, v25
	v_lshl_add_u32 v19, v19, 23, v25
	s_delay_alu instid0(VALU_DEP_1) | instskip(NEXT) | instid1(VALU_DEP_1)
	v_lshl_or_b32 v19, v23, 21, v19
                                        ; implicit-def: $vgpr23
	v_add_nc_u32_e32 v19, 0x38000000, v19
.LBB4_7571:                             ;   in Loop: Header=BB4_7360 Depth=2
	s_and_not1_saveexec_b32 s42, s42
; %bb.7572:                             ;   in Loop: Header=BB4_7360 Depth=2
	v_cmp_lt_i16_e32 vcc_lo, -1, v76
	v_cndmask_b32_e32 v19, 0xff800000, v109, vcc_lo
	v_cmp_eq_u32_e32 vcc_lo, 0, v23
	s_delay_alu instid0(VALU_DEP_2)
	v_cndmask_b32_e32 v19, 0x7f800001, v19, vcc_lo
; %bb.7573:                             ;   in Loop: Header=BB4_7360 Depth=2
	s_or_b32 exec_lo, exec_lo, s42
.LBB4_7574:                             ;   in Loop: Header=BB4_7360 Depth=2
	s_delay_alu instid0(SALU_CYCLE_1)
	s_or_b32 exec_lo, exec_lo, s41
.LBB4_7575:                             ;   in Loop: Header=BB4_7360 Depth=2
	s_delay_alu instid0(SALU_CYCLE_1) | instskip(NEXT) | instid1(SALU_CYCLE_1)
	s_or_b32 exec_lo, exec_lo, s14
	s_mov_b32 s14, exec_lo
	s_wait_loadcnt_dscnt 0xc0c
	v_cmpx_ne_u16_e32 0, v74
	s_cbranch_execz .LBB4_7585
; %bb.7576:                             ;   in Loop: Header=BB4_7360 Depth=2
	v_bfrev_b32_e32 v21, 1
	s_mov_b32 s41, exec_lo
	v_cmpx_ne_u16_e32 0xff80, v74
	s_cbranch_execz .LBB4_7584
; %bb.7577:                             ;   in Loop: Header=BB4_7360 Depth=2
	v_and_b32_e32 v21, 0x7c, v74
	v_and_b32_e32 v23, 3, v74
	s_delay_alu instid0(VALU_DEP_2) | instskip(SKIP_1) | instid1(SALU_CYCLE_1)
	v_cmp_ne_u32_e32 vcc_lo, 0x7c, v21
                                        ; implicit-def: $vgpr21
	s_and_saveexec_b32 s42, vcc_lo
	s_xor_b32 s42, exec_lo, s42
	s_cbranch_execz .LBB4_7581
; %bb.7578:                             ;   in Loop: Header=BB4_7360 Depth=2
	v_and_b32_e32 v21, 0xff, v74
	s_mov_b32 s43, exec_lo
	s_delay_alu instid0(VALU_DEP_1) | instskip(NEXT) | instid1(VALU_DEP_1)
	v_bfe_u32 v21, v21, 2, 5
	v_cmpx_eq_u32_e32 0, v21
	s_cbranch_execz .LBB4_7580
; %bb.7579:                             ;   in Loop: Header=BB4_7360 Depth=2
	v_clz_i32_u32_e32 v21, v23
	s_delay_alu instid0(VALU_DEP_1) | instskip(SKIP_1) | instid1(VALU_DEP_2)
	v_min_u32_e32 v21, 32, v21
	v_mov_b32_e32 v75, v53
	v_subrev_nc_u32_e32 v23, 29, v21
	v_sub_nc_u32_e32 v21, 30, v21
	s_delay_alu instid0(VALU_DEP_2) | instskip(NEXT) | instid1(VALU_DEP_1)
	v_lshlrev_b64_e32 v[88:89], v23, v[74:75]
	v_and_b32_e32 v23, 3, v88
.LBB4_7580:                             ;   in Loop: Header=BB4_7360 Depth=2
	s_or_b32 exec_lo, exec_lo, s43
	v_bfe_i32 v25, v74, 0, 16
	s_delay_alu instid0(VALU_DEP_1) | instskip(NEXT) | instid1(VALU_DEP_1)
	v_and_b32_e32 v25, 0x80000000, v25
	v_lshl_add_u32 v21, v21, 23, v25
	s_delay_alu instid0(VALU_DEP_1) | instskip(NEXT) | instid1(VALU_DEP_1)
	v_lshl_or_b32 v21, v23, 21, v21
                                        ; implicit-def: $vgpr23
	v_add_nc_u32_e32 v21, 0x38000000, v21
.LBB4_7581:                             ;   in Loop: Header=BB4_7360 Depth=2
	s_and_not1_saveexec_b32 s42, s42
; %bb.7582:                             ;   in Loop: Header=BB4_7360 Depth=2
	v_cmp_lt_i16_e32 vcc_lo, -1, v74
	v_cndmask_b32_e32 v21, 0xff800000, v109, vcc_lo
	v_cmp_eq_u32_e32 vcc_lo, 0, v23
	s_delay_alu instid0(VALU_DEP_2)
	v_cndmask_b32_e32 v21, 0x7f800001, v21, vcc_lo
; %bb.7583:                             ;   in Loop: Header=BB4_7360 Depth=2
	s_or_b32 exec_lo, exec_lo, s42
.LBB4_7584:                             ;   in Loop: Header=BB4_7360 Depth=2
	s_delay_alu instid0(SALU_CYCLE_1)
	s_or_b32 exec_lo, exec_lo, s41
.LBB4_7585:                             ;   in Loop: Header=BB4_7360 Depth=2
	s_delay_alu instid0(SALU_CYCLE_1) | instskip(NEXT) | instid1(VALU_DEP_1)
	s_or_b32 exec_lo, exec_lo, s14
	v_dual_max_num_f32 v21, v21, v21 :: v_dual_max_num_f32 v19, v19, v19
	s_mov_b32 s14, 0
	s_delay_alu instid0(VALU_DEP_1)
	v_max_num_f32_e32 v19, v19, v21
.LBB4_7586:                             ;   in Loop: Header=BB4_7360 Depth=2
	s_and_b32 vcc_lo, exec_lo, s14
	s_cbranch_vccz .LBB4_7608
; %bb.7587:                             ;   in Loop: Header=BB4_7360 Depth=2
	v_dual_mov_b32 v21, 0 :: v_dual_mov_b32 v19, 0
	s_and_saveexec_b32 s14, s7
	s_cbranch_execz .LBB4_7597
; %bb.7588:                             ;   in Loop: Header=BB4_7360 Depth=2
	v_bfrev_b32_e32 v19, 1
	s_mov_b32 s7, exec_lo
	v_cmpx_ne_u16_e32 0xff80, v76
	s_cbranch_execz .LBB4_7596
; %bb.7589:                             ;   in Loop: Header=BB4_7360 Depth=2
	v_and_b32_e32 v19, 0x7c, v17
	v_and_b32_e32 v23, 3, v17
	s_delay_alu instid0(VALU_DEP_2) | instskip(SKIP_1) | instid1(SALU_CYCLE_1)
	v_cmp_ne_u32_e32 vcc_lo, 0x7c, v19
                                        ; implicit-def: $vgpr19
	s_and_saveexec_b32 s41, vcc_lo
	s_xor_b32 s41, exec_lo, s41
	s_cbranch_execz .LBB4_7593
; %bb.7590:                             ;   in Loop: Header=BB4_7360 Depth=2
	v_bfe_u32 v17, v17, 2, 5
	s_mov_b32 s42, exec_lo
	s_delay_alu instid0(VALU_DEP_1)
	v_cmpx_eq_u32_e32 0, v17
	s_cbranch_execz .LBB4_7592
; %bb.7591:                             ;   in Loop: Header=BB4_7360 Depth=2
	v_clz_i32_u32_e32 v17, v23
	s_delay_alu instid0(VALU_DEP_1) | instskip(SKIP_1) | instid1(VALU_DEP_2)
	v_min_u32_e32 v17, 32, v17
	v_mov_b32_e32 v77, v53
	v_subrev_nc_u32_e32 v19, 29, v17
	v_sub_nc_u32_e32 v17, 30, v17
	s_delay_alu instid0(VALU_DEP_2) | instskip(NEXT) | instid1(VALU_DEP_1)
	v_lshlrev_b64_e32 v[88:89], v19, v[76:77]
	v_and_b32_e32 v23, 3, v88
.LBB4_7592:                             ;   in Loop: Header=BB4_7360 Depth=2
	s_or_b32 exec_lo, exec_lo, s42
	v_bfe_i32 v19, v76, 0, 16
                                        ; implicit-def: $vgpr76
	s_delay_alu instid0(VALU_DEP_1) | instskip(NEXT) | instid1(VALU_DEP_1)
	v_and_b32_e32 v19, 0x80000000, v19
	v_lshl_add_u32 v17, v17, 23, v19
	s_delay_alu instid0(VALU_DEP_1) | instskip(NEXT) | instid1(VALU_DEP_1)
	v_lshl_or_b32 v17, v23, 21, v17
                                        ; implicit-def: $vgpr23
	v_add_nc_u32_e32 v19, 0x38000000, v17
.LBB4_7593:                             ;   in Loop: Header=BB4_7360 Depth=2
	s_and_not1_saveexec_b32 s41, s41
; %bb.7594:                             ;   in Loop: Header=BB4_7360 Depth=2
	v_cmp_lt_i16_e32 vcc_lo, -1, v76
	v_cndmask_b32_e32 v17, 0xff800000, v109, vcc_lo
	v_cmp_eq_u32_e32 vcc_lo, 0, v23
	s_delay_alu instid0(VALU_DEP_2)
	v_cndmask_b32_e32 v19, 0x7f800001, v17, vcc_lo
; %bb.7595:                             ;   in Loop: Header=BB4_7360 Depth=2
	s_or_b32 exec_lo, exec_lo, s41
.LBB4_7596:                             ;   in Loop: Header=BB4_7360 Depth=2
	s_delay_alu instid0(SALU_CYCLE_1)
	s_or_b32 exec_lo, exec_lo, s7
.LBB4_7597:                             ;   in Loop: Header=BB4_7360 Depth=2
	s_delay_alu instid0(SALU_CYCLE_1) | instskip(NEXT) | instid1(SALU_CYCLE_1)
	s_or_b32 exec_lo, exec_lo, s14
	s_mov_b32 s7, exec_lo
	s_wait_loadcnt_dscnt 0xc0c
	v_cmpx_ne_u16_e32 0, v74
	s_cbranch_execz .LBB4_7607
; %bb.7598:                             ;   in Loop: Header=BB4_7360 Depth=2
	v_bfrev_b32_e32 v21, 1
	s_mov_b32 s14, exec_lo
	v_cmpx_ne_u16_e32 0xff80, v74
	s_cbranch_execz .LBB4_7606
; %bb.7599:                             ;   in Loop: Header=BB4_7360 Depth=2
	v_and_b32_e32 v21, 0x7c, v74
	v_and_b32_e32 v17, 3, v74
	s_delay_alu instid0(VALU_DEP_2) | instskip(SKIP_1) | instid1(SALU_CYCLE_1)
	v_cmp_ne_u32_e32 vcc_lo, 0x7c, v21
                                        ; implicit-def: $vgpr21
	s_and_saveexec_b32 s41, vcc_lo
	s_xor_b32 s41, exec_lo, s41
	s_cbranch_execz .LBB4_7603
; %bb.7600:                             ;   in Loop: Header=BB4_7360 Depth=2
	v_and_b32_e32 v21, 0xff, v74
	s_mov_b32 s42, exec_lo
	s_delay_alu instid0(VALU_DEP_1) | instskip(NEXT) | instid1(VALU_DEP_1)
	v_bfe_u32 v21, v21, 2, 5
	v_cmpx_eq_u32_e32 0, v21
; %bb.7601:                             ;   in Loop: Header=BB4_7360 Depth=2
	v_clz_i32_u32_e32 v17, v17
	s_delay_alu instid0(VALU_DEP_1) | instskip(SKIP_1) | instid1(VALU_DEP_2)
	v_min_u32_e32 v17, 32, v17
	v_mov_b32_e32 v75, v53
	v_subrev_nc_u32_e32 v21, 29, v17
	s_delay_alu instid0(VALU_DEP_1) | instskip(NEXT) | instid1(VALU_DEP_1)
	v_lshlrev_b64_e32 v[76:77], v21, v[74:75]
	v_dual_sub_nc_u32 v21, 30, v17 :: v_dual_bitop2_b32 v17, 3, v76 bitop3:0x40
; %bb.7602:                             ;   in Loop: Header=BB4_7360 Depth=2
	s_or_b32 exec_lo, exec_lo, s42
	v_bfe_i32 v23, v74, 0, 16
                                        ; implicit-def: $vgpr74
	s_delay_alu instid0(VALU_DEP_1) | instskip(NEXT) | instid1(VALU_DEP_1)
	v_and_b32_e32 v23, 0x80000000, v23
	v_lshl_add_u32 v21, v21, 23, v23
	s_delay_alu instid0(VALU_DEP_1) | instskip(NEXT) | instid1(VALU_DEP_1)
	v_lshl_or_b32 v17, v17, 21, v21
	v_add_nc_u32_e32 v21, 0x38000000, v17
                                        ; implicit-def: $vgpr17
.LBB4_7603:                             ;   in Loop: Header=BB4_7360 Depth=2
	s_and_not1_saveexec_b32 s41, s41
; %bb.7604:                             ;   in Loop: Header=BB4_7360 Depth=2
	v_cmp_lt_i16_e32 vcc_lo, -1, v74
	v_cndmask_b32_e32 v21, 0xff800000, v109, vcc_lo
	v_cmp_eq_u32_e32 vcc_lo, 0, v17
	s_delay_alu instid0(VALU_DEP_2)
	v_cndmask_b32_e32 v21, 0x7f800001, v21, vcc_lo
; %bb.7605:                             ;   in Loop: Header=BB4_7360 Depth=2
	s_or_b32 exec_lo, exec_lo, s41
.LBB4_7606:                             ;   in Loop: Header=BB4_7360 Depth=2
	s_delay_alu instid0(SALU_CYCLE_1)
	s_or_b32 exec_lo, exec_lo, s14
.LBB4_7607:                             ;   in Loop: Header=BB4_7360 Depth=2
	s_delay_alu instid0(SALU_CYCLE_1) | instskip(NEXT) | instid1(VALU_DEP_1)
	s_or_b32 exec_lo, exec_lo, s7
	v_dual_max_num_f32 v17, v21, v21 :: v_dual_max_num_f32 v19, v19, v19
	s_delay_alu instid0(VALU_DEP_1)
	v_min_num_f32_e32 v19, v19, v17
.LBB4_7608:                             ;   in Loop: Header=BB4_7360 Depth=2
	s_wait_loadcnt_dscnt 0xc0c
	s_delay_alu instid0(VALU_DEP_1) | instskip(SKIP_2) | instid1(VALU_DEP_2)
	v_and_b32_e32 v74, 0x7f800000, v19
	v_mov_b32_e32 v75, v53
	v_and_b32_e32 v52, 0x7fffff, v19
	v_cmp_ne_u64_e32 vcc_lo, 0x7f800000, v[74:75]
                                        ; implicit-def: $vgpr75
	s_and_saveexec_b32 s7, vcc_lo
	s_delay_alu instid0(SALU_CYCLE_1)
	s_xor_b32 s14, exec_lo, s7
	s_cbranch_execz .LBB4_7626
; %bb.7609:                             ;   in Loop: Header=BB4_7360 Depth=2
	v_and_b32_e32 v74, 0x7fffffff, v19
	v_dual_mov_b32 v75, v53 :: v_dual_lshrrev_b32 v17, 24, v19
	s_delay_alu instid0(VALU_DEP_1) | instskip(NEXT) | instid1(VALU_DEP_2)
	v_cmp_gt_u64_e32 vcc_lo, 0x47600001, v[74:75]
	v_and_b32_e32 v17, 0x80, v17
                                        ; implicit-def: $vgpr75
	s_and_saveexec_b32 s7, vcc_lo
	s_delay_alu instid0(SALU_CYCLE_1)
	s_xor_b32 s41, exec_lo, s7
	s_cbranch_execz .LBB4_7623
; %bb.7610:                             ;   in Loop: Header=BB4_7360 Depth=2
	v_mov_b32_e32 v75, 0
	s_mov_b32 s42, exec_lo
	v_cmpx_ne_u32_e32 0, v19
	s_cbranch_execz .LBB4_7622
; %bb.7611:                             ;   in Loop: Header=BB4_7360 Depth=2
	v_bfe_u32 v19, v19, 23, 8
	v_or_b32_e32 v25, 0x800000, v52
	s_delay_alu instid0(VALU_DEP_2) | instskip(SKIP_1) | instid1(VALU_DEP_2)
	v_sub_nc_u32_e32 v21, 0x71, v19
	v_cmp_gt_u32_e32 vcc_lo, 0x72, v19
	v_cndmask_b32_e32 v21, 0, v21, vcc_lo
	v_cmp_eq_u32_e32 vcc_lo, 0, v19
	s_delay_alu instid0(VALU_DEP_2) | instskip(NEXT) | instid1(VALU_DEP_1)
	v_cndmask_b32_e64 v21, v21, 0x70, vcc_lo
	v_dual_cndmask_b32 v52, v25, v52 :: v_dual_add_nc_u32 v23, 21, v21
	s_delay_alu instid0(VALU_DEP_1) | instskip(SKIP_1) | instid1(VALU_DEP_1)
	v_lshlrev_b64_e64 v[74:75], v23, -1
	v_add_nc_u32_e32 v23, 20, v21
	v_lshlrev_b64_e64 v[76:77], v23, 1
	s_delay_alu instid0(VALU_DEP_3) | instskip(NEXT) | instid1(VALU_DEP_4)
	v_bfi_b32 v89, v75, 0, 0
	v_bfi_b32 v88, v74, 0, v52
	v_lshrrev_b64 v[74:75], v21, v[52:53]
	s_delay_alu instid0(VALU_DEP_2) | instskip(NEXT) | instid1(VALU_DEP_2)
	v_cmp_eq_u64_e64 s7, v[88:89], v[76:77]
	v_mov_b64_e32 v[76:77], v[74:75]
	s_and_saveexec_b32 s43, s7
; %bb.7612:                             ;   in Loop: Header=BB4_7360 Depth=2
	v_bfe_u32 v52, v74, 21, 1
	s_delay_alu instid0(VALU_DEP_1) | instskip(NEXT) | instid1(VALU_DEP_1)
	v_add_nc_u64_e32 v[76:77], v[74:75], v[52:53]
	v_add_nc_u64_e32 v[76:77], -1, v[76:77]
; %bb.7613:                             ;   in Loop: Header=BB4_7360 Depth=2
	s_or_b32 exec_lo, exec_lo, s43
	v_add_nc_u32_e32 v19, 0xffffff81, v19
	v_lshrrev_b32_e32 v23, 23, v74
	s_mov_b32 s7, exec_lo
	s_delay_alu instid0(VALU_DEP_2) | instskip(NEXT) | instid1(VALU_DEP_1)
	v_cndmask_b32_e64 v19, v19, 0xffffff82, vcc_lo
	v_add3_u32 v21, v21, v19, v23
	v_and_b32_e32 v19, 0x1fffff, v76
	s_delay_alu instid0(VALU_DEP_1) | instskip(NEXT) | instid1(VALU_DEP_1)
	v_dual_add_nc_u32 v23, 14, v21 :: v_dual_add_nc_u32 v52, v19, v74
                                        ; implicit-def: $vgpr74_vgpr75
                                        ; implicit-def: $vgpr19
	v_cmpx_ne_u32_e32 0, v23
	s_xor_b32 s7, exec_lo, s7
; %bb.7614:                             ;   in Loop: Header=BB4_7360 Depth=2
	s_delay_alu instid0(VALU_DEP_2) | instskip(SKIP_2) | instid1(VALU_DEP_2)
	v_cmp_lt_u64_e32 vcc_lo, 0xffffff, v[52:53]
	v_add_nc_u32_e32 v19, 15, v21
	v_cndmask_b32_e64 v21, 0, 1, vcc_lo
	v_cndmask_b32_e32 v19, v23, v19, vcc_lo
	s_delay_alu instid0(VALU_DEP_2)
	v_lshrrev_b64 v[74:75], v21, v[52:53]
; %bb.7615:                             ;   in Loop: Header=BB4_7360 Depth=2
	s_and_not1_saveexec_b32 s7, s7
; %bb.7616:                             ;   in Loop: Header=BB4_7360 Depth=2
	v_mov_b64_e32 v[74:75], v[52:53]
	v_bfe_u32 v19, v52, 23, 1
; %bb.7617:                             ;   in Loop: Header=BB4_7360 Depth=2
	s_or_b32 exec_lo, exec_lo, s7
	s_delay_alu instid0(VALU_DEP_2) | instskip(NEXT) | instid1(VALU_DEP_2)
	v_lshrrev_b64 v[74:75], 21, v[74:75]
	v_cmp_gt_i32_e32 vcc_lo, 32, v19
	v_cmp_ne_u32_e64 s7, 0, v19
	s_delay_alu instid0(VALU_DEP_3) | instskip(NEXT) | instid1(VALU_DEP_1)
	v_dual_cndmask_b32 v75, 0, v75 :: v_dual_cndmask_b32 v74, 3, v74
	v_cmp_ne_u64_e32 vcc_lo, 0, v[74:75]
                                        ; implicit-def: $vgpr75
	s_or_b32 s7, s7, vcc_lo
	s_delay_alu instid0(SALU_CYCLE_1) | instskip(NEXT) | instid1(SALU_CYCLE_1)
	s_and_saveexec_b32 s43, s7
	s_xor_b32 s7, exec_lo, s43
; %bb.7618:                             ;   in Loop: Header=BB4_7360 Depth=2
	v_min_i32_e32 v19, 31, v19
	s_delay_alu instid0(VALU_DEP_1) | instskip(NEXT) | instid1(VALU_DEP_1)
	v_lshl_or_b32 v17, v19, 2, v17
	v_and_or_b32 v75, v74, 3, v17
                                        ; implicit-def: $vgpr17
; %bb.7619:                             ;   in Loop: Header=BB4_7360 Depth=2
	s_and_not1_saveexec_b32 s7, s7
; %bb.7620:                             ;   in Loop: Header=BB4_7360 Depth=2
	v_mov_b32_e32 v75, v17
; %bb.7621:                             ;   in Loop: Header=BB4_7360 Depth=2
	s_or_b32 exec_lo, exec_lo, s7
.LBB4_7622:                             ;   in Loop: Header=BB4_7360 Depth=2
	s_delay_alu instid0(SALU_CYCLE_1)
	s_or_b32 exec_lo, exec_lo, s42
                                        ; implicit-def: $vgpr17
.LBB4_7623:                             ;   in Loop: Header=BB4_7360 Depth=2
	s_and_not1_saveexec_b32 s7, s41
; %bb.7624:                             ;   in Loop: Header=BB4_7360 Depth=2
	v_or_b32_e32 v75, 0x7b, v17
; %bb.7625:                             ;   in Loop: Header=BB4_7360 Depth=2
	s_or_b32 exec_lo, exec_lo, s7
                                        ; implicit-def: $vgpr19
.LBB4_7626:                             ;   in Loop: Header=BB4_7360 Depth=2
	s_and_not1_saveexec_b32 s7, s14
	s_cbranch_execz .LBB4_7632
; %bb.7627:                             ;   in Loop: Header=BB4_7360 Depth=2
	s_mov_b32 s14, exec_lo
                                        ; implicit-def: $vgpr75
	v_cmpx_ne_u64_e32 0, v[52:53]
	s_xor_b32 s14, exec_lo, s14
; %bb.7628:                             ;   in Loop: Header=BB4_7360 Depth=2
	v_lshrrev_b32_e32 v17, 24, v19
                                        ; implicit-def: $vgpr19
	s_delay_alu instid0(VALU_DEP_1)
	v_or_b32_e32 v75, 0x7f, v17
; %bb.7629:                             ;   in Loop: Header=BB4_7360 Depth=2
	s_and_not1_saveexec_b32 s14, s14
; %bb.7630:                             ;   in Loop: Header=BB4_7360 Depth=2
	v_cmp_lt_i32_e32 vcc_lo, -1, v19
	v_cndmask_b32_e64 v75, -4, 0x7c, vcc_lo
; %bb.7631:                             ;   in Loop: Header=BB4_7360 Depth=2
	s_or_b32 exec_lo, exec_lo, s14
.LBB4_7632:                             ;   in Loop: Header=BB4_7360 Depth=2
	s_delay_alu instid0(SALU_CYCLE_1)
	s_or_b32 exec_lo, exec_lo, s7
	v_and_b32_e32 v17, 0xff, v72
	v_cmp_ne_u16_e64 s7, 0, v72
	s_and_not1_b32 vcc_lo, exec_lo, s13
	s_mov_b32 s14, -1
                                        ; implicit-def: $vgpr19
	s_cbranch_vccnz .LBB4_7654
; %bb.7633:                             ;   in Loop: Header=BB4_7360 Depth=2
	v_dual_mov_b32 v21, 0 :: v_dual_mov_b32 v19, 0
	s_and_saveexec_b32 s14, s7
	s_cbranch_execz .LBB4_7643
; %bb.7634:                             ;   in Loop: Header=BB4_7360 Depth=2
	v_bfrev_b32_e32 v19, 1
	s_mov_b32 s41, exec_lo
	v_cmpx_ne_u16_e32 0xff80, v72
	s_cbranch_execz .LBB4_7642
; %bb.7635:                             ;   in Loop: Header=BB4_7360 Depth=2
	v_and_b32_e32 v19, 0x7c, v17
	v_and_b32_e32 v23, 3, v17
	s_delay_alu instid0(VALU_DEP_2) | instskip(SKIP_1) | instid1(SALU_CYCLE_1)
	v_cmp_ne_u32_e32 vcc_lo, 0x7c, v19
                                        ; implicit-def: $vgpr19
	s_and_saveexec_b32 s42, vcc_lo
	s_xor_b32 s42, exec_lo, s42
	s_cbranch_execz .LBB4_7639
; %bb.7636:                             ;   in Loop: Header=BB4_7360 Depth=2
	v_bfe_u32 v19, v17, 2, 5
	s_mov_b32 s43, exec_lo
	s_delay_alu instid0(VALU_DEP_1)
	v_cmpx_eq_u32_e32 0, v19
	s_cbranch_execz .LBB4_7638
; %bb.7637:                             ;   in Loop: Header=BB4_7360 Depth=2
	v_clz_i32_u32_e32 v19, v23
	s_delay_alu instid0(VALU_DEP_1) | instskip(SKIP_1) | instid1(VALU_DEP_2)
	v_min_u32_e32 v19, 32, v19
	v_mov_b32_e32 v73, v53
	v_subrev_nc_u32_e32 v23, 29, v19
	v_sub_nc_u32_e32 v19, 30, v19
	s_delay_alu instid0(VALU_DEP_2) | instskip(NEXT) | instid1(VALU_DEP_1)
	v_lshlrev_b64_e32 v[76:77], v23, v[72:73]
	v_and_b32_e32 v23, 3, v76
.LBB4_7638:                             ;   in Loop: Header=BB4_7360 Depth=2
	s_or_b32 exec_lo, exec_lo, s43
	v_bfe_i32 v25, v72, 0, 16
	s_delay_alu instid0(VALU_DEP_1) | instskip(NEXT) | instid1(VALU_DEP_1)
	v_and_b32_e32 v25, 0x80000000, v25
	v_lshl_add_u32 v19, v19, 23, v25
	s_delay_alu instid0(VALU_DEP_1) | instskip(NEXT) | instid1(VALU_DEP_1)
	v_lshl_or_b32 v19, v23, 21, v19
                                        ; implicit-def: $vgpr23
	v_add_nc_u32_e32 v19, 0x38000000, v19
.LBB4_7639:                             ;   in Loop: Header=BB4_7360 Depth=2
	s_and_not1_saveexec_b32 s42, s42
; %bb.7640:                             ;   in Loop: Header=BB4_7360 Depth=2
	v_cmp_lt_i16_e32 vcc_lo, -1, v72
	v_cndmask_b32_e32 v19, 0xff800000, v109, vcc_lo
	v_cmp_eq_u32_e32 vcc_lo, 0, v23
	s_delay_alu instid0(VALU_DEP_2)
	v_cndmask_b32_e32 v19, 0x7f800001, v19, vcc_lo
; %bb.7641:                             ;   in Loop: Header=BB4_7360 Depth=2
	s_or_b32 exec_lo, exec_lo, s42
.LBB4_7642:                             ;   in Loop: Header=BB4_7360 Depth=2
	s_delay_alu instid0(SALU_CYCLE_1)
	s_or_b32 exec_lo, exec_lo, s41
.LBB4_7643:                             ;   in Loop: Header=BB4_7360 Depth=2
	s_delay_alu instid0(SALU_CYCLE_1) | instskip(NEXT) | instid1(SALU_CYCLE_1)
	s_or_b32 exec_lo, exec_lo, s14
	s_mov_b32 s14, exec_lo
	s_wait_loadcnt_dscnt 0xb0b
	v_cmpx_ne_u16_e32 0, v62
	s_cbranch_execz .LBB4_7653
; %bb.7644:                             ;   in Loop: Header=BB4_7360 Depth=2
	v_bfrev_b32_e32 v21, 1
	s_mov_b32 s41, exec_lo
	v_cmpx_ne_u16_e32 0xff80, v62
	s_cbranch_execz .LBB4_7652
; %bb.7645:                             ;   in Loop: Header=BB4_7360 Depth=2
	v_and_b32_e32 v21, 0x7c, v62
	v_and_b32_e32 v23, 3, v62
	s_delay_alu instid0(VALU_DEP_2) | instskip(SKIP_1) | instid1(SALU_CYCLE_1)
	v_cmp_ne_u32_e32 vcc_lo, 0x7c, v21
                                        ; implicit-def: $vgpr21
	s_and_saveexec_b32 s42, vcc_lo
	s_xor_b32 s42, exec_lo, s42
	s_cbranch_execz .LBB4_7649
; %bb.7646:                             ;   in Loop: Header=BB4_7360 Depth=2
	v_and_b32_e32 v21, 0xff, v62
	s_mov_b32 s43, exec_lo
	s_delay_alu instid0(VALU_DEP_1) | instskip(NEXT) | instid1(VALU_DEP_1)
	v_bfe_u32 v21, v21, 2, 5
	v_cmpx_eq_u32_e32 0, v21
	s_cbranch_execz .LBB4_7648
; %bb.7647:                             ;   in Loop: Header=BB4_7360 Depth=2
	v_clz_i32_u32_e32 v21, v23
	s_delay_alu instid0(VALU_DEP_1) | instskip(SKIP_1) | instid1(VALU_DEP_2)
	v_min_u32_e32 v21, 32, v21
	v_mov_b32_e32 v63, v53
	v_subrev_nc_u32_e32 v23, 29, v21
	v_sub_nc_u32_e32 v21, 30, v21
	s_delay_alu instid0(VALU_DEP_2) | instskip(NEXT) | instid1(VALU_DEP_1)
	v_lshlrev_b64_e32 v[76:77], v23, v[62:63]
	v_and_b32_e32 v23, 3, v76
.LBB4_7648:                             ;   in Loop: Header=BB4_7360 Depth=2
	s_or_b32 exec_lo, exec_lo, s43
	v_bfe_i32 v25, v62, 0, 16
	s_delay_alu instid0(VALU_DEP_1) | instskip(NEXT) | instid1(VALU_DEP_1)
	v_and_b32_e32 v25, 0x80000000, v25
	v_lshl_add_u32 v21, v21, 23, v25
	s_delay_alu instid0(VALU_DEP_1) | instskip(NEXT) | instid1(VALU_DEP_1)
	v_lshl_or_b32 v21, v23, 21, v21
                                        ; implicit-def: $vgpr23
	v_add_nc_u32_e32 v21, 0x38000000, v21
.LBB4_7649:                             ;   in Loop: Header=BB4_7360 Depth=2
	s_and_not1_saveexec_b32 s42, s42
; %bb.7650:                             ;   in Loop: Header=BB4_7360 Depth=2
	v_cmp_lt_i16_e32 vcc_lo, -1, v62
	v_cndmask_b32_e32 v21, 0xff800000, v109, vcc_lo
	v_cmp_eq_u32_e32 vcc_lo, 0, v23
	s_delay_alu instid0(VALU_DEP_2)
	v_cndmask_b32_e32 v21, 0x7f800001, v21, vcc_lo
; %bb.7651:                             ;   in Loop: Header=BB4_7360 Depth=2
	s_or_b32 exec_lo, exec_lo, s42
.LBB4_7652:                             ;   in Loop: Header=BB4_7360 Depth=2
	s_delay_alu instid0(SALU_CYCLE_1)
	s_or_b32 exec_lo, exec_lo, s41
.LBB4_7653:                             ;   in Loop: Header=BB4_7360 Depth=2
	s_delay_alu instid0(SALU_CYCLE_1) | instskip(NEXT) | instid1(VALU_DEP_1)
	s_or_b32 exec_lo, exec_lo, s14
	v_dual_max_num_f32 v21, v21, v21 :: v_dual_max_num_f32 v19, v19, v19
	s_mov_b32 s14, 0
	s_delay_alu instid0(VALU_DEP_1)
	v_max_num_f32_e32 v19, v19, v21
.LBB4_7654:                             ;   in Loop: Header=BB4_7360 Depth=2
	s_and_b32 vcc_lo, exec_lo, s14
	s_cbranch_vccz .LBB4_7676
; %bb.7655:                             ;   in Loop: Header=BB4_7360 Depth=2
	v_dual_mov_b32 v21, 0 :: v_dual_mov_b32 v19, 0
	s_and_saveexec_b32 s14, s7
	s_cbranch_execz .LBB4_7665
; %bb.7656:                             ;   in Loop: Header=BB4_7360 Depth=2
	v_bfrev_b32_e32 v19, 1
	s_mov_b32 s7, exec_lo
	v_cmpx_ne_u16_e32 0xff80, v72
	s_cbranch_execz .LBB4_7664
; %bb.7657:                             ;   in Loop: Header=BB4_7360 Depth=2
	v_and_b32_e32 v19, 0x7c, v17
	v_and_b32_e32 v23, 3, v17
	s_delay_alu instid0(VALU_DEP_2) | instskip(SKIP_1) | instid1(SALU_CYCLE_1)
	v_cmp_ne_u32_e32 vcc_lo, 0x7c, v19
                                        ; implicit-def: $vgpr19
	s_and_saveexec_b32 s41, vcc_lo
	s_xor_b32 s41, exec_lo, s41
	s_cbranch_execz .LBB4_7661
; %bb.7658:                             ;   in Loop: Header=BB4_7360 Depth=2
	v_bfe_u32 v17, v17, 2, 5
	s_mov_b32 s42, exec_lo
	s_delay_alu instid0(VALU_DEP_1)
	v_cmpx_eq_u32_e32 0, v17
	s_cbranch_execz .LBB4_7660
; %bb.7659:                             ;   in Loop: Header=BB4_7360 Depth=2
	v_clz_i32_u32_e32 v17, v23
	s_delay_alu instid0(VALU_DEP_1) | instskip(SKIP_1) | instid1(VALU_DEP_2)
	v_min_u32_e32 v17, 32, v17
	v_mov_b32_e32 v73, v53
	v_subrev_nc_u32_e32 v19, 29, v17
	v_sub_nc_u32_e32 v17, 30, v17
	s_delay_alu instid0(VALU_DEP_2) | instskip(NEXT) | instid1(VALU_DEP_1)
	v_lshlrev_b64_e32 v[76:77], v19, v[72:73]
	v_and_b32_e32 v23, 3, v76
.LBB4_7660:                             ;   in Loop: Header=BB4_7360 Depth=2
	s_or_b32 exec_lo, exec_lo, s42
	v_bfe_i32 v19, v72, 0, 16
                                        ; implicit-def: $vgpr72
	s_delay_alu instid0(VALU_DEP_1) | instskip(NEXT) | instid1(VALU_DEP_1)
	v_and_b32_e32 v19, 0x80000000, v19
	v_lshl_add_u32 v17, v17, 23, v19
	s_delay_alu instid0(VALU_DEP_1) | instskip(NEXT) | instid1(VALU_DEP_1)
	v_lshl_or_b32 v17, v23, 21, v17
                                        ; implicit-def: $vgpr23
	v_add_nc_u32_e32 v19, 0x38000000, v17
.LBB4_7661:                             ;   in Loop: Header=BB4_7360 Depth=2
	s_and_not1_saveexec_b32 s41, s41
; %bb.7662:                             ;   in Loop: Header=BB4_7360 Depth=2
	v_cmp_lt_i16_e32 vcc_lo, -1, v72
	v_cndmask_b32_e32 v17, 0xff800000, v109, vcc_lo
	v_cmp_eq_u32_e32 vcc_lo, 0, v23
	s_delay_alu instid0(VALU_DEP_2)
	v_cndmask_b32_e32 v19, 0x7f800001, v17, vcc_lo
; %bb.7663:                             ;   in Loop: Header=BB4_7360 Depth=2
	s_or_b32 exec_lo, exec_lo, s41
.LBB4_7664:                             ;   in Loop: Header=BB4_7360 Depth=2
	s_delay_alu instid0(SALU_CYCLE_1)
	s_or_b32 exec_lo, exec_lo, s7
.LBB4_7665:                             ;   in Loop: Header=BB4_7360 Depth=2
	s_delay_alu instid0(SALU_CYCLE_1) | instskip(NEXT) | instid1(SALU_CYCLE_1)
	s_or_b32 exec_lo, exec_lo, s14
	s_mov_b32 s7, exec_lo
	s_wait_loadcnt_dscnt 0xb0b
	v_cmpx_ne_u16_e32 0, v62
	s_cbranch_execz .LBB4_7675
; %bb.7666:                             ;   in Loop: Header=BB4_7360 Depth=2
	v_bfrev_b32_e32 v21, 1
	s_mov_b32 s14, exec_lo
	v_cmpx_ne_u16_e32 0xff80, v62
	s_cbranch_execz .LBB4_7674
; %bb.7667:                             ;   in Loop: Header=BB4_7360 Depth=2
	v_and_b32_e32 v21, 0x7c, v62
	v_and_b32_e32 v17, 3, v62
	s_delay_alu instid0(VALU_DEP_2) | instskip(SKIP_1) | instid1(SALU_CYCLE_1)
	v_cmp_ne_u32_e32 vcc_lo, 0x7c, v21
                                        ; implicit-def: $vgpr21
	s_and_saveexec_b32 s41, vcc_lo
	s_xor_b32 s41, exec_lo, s41
	s_cbranch_execz .LBB4_7671
; %bb.7668:                             ;   in Loop: Header=BB4_7360 Depth=2
	v_and_b32_e32 v21, 0xff, v62
	s_mov_b32 s42, exec_lo
	s_delay_alu instid0(VALU_DEP_1) | instskip(NEXT) | instid1(VALU_DEP_1)
	v_bfe_u32 v21, v21, 2, 5
	v_cmpx_eq_u32_e32 0, v21
; %bb.7669:                             ;   in Loop: Header=BB4_7360 Depth=2
	v_clz_i32_u32_e32 v17, v17
	s_delay_alu instid0(VALU_DEP_1) | instskip(SKIP_1) | instid1(VALU_DEP_2)
	v_min_u32_e32 v17, 32, v17
	v_mov_b32_e32 v63, v53
	v_subrev_nc_u32_e32 v21, 29, v17
	s_delay_alu instid0(VALU_DEP_1) | instskip(NEXT) | instid1(VALU_DEP_1)
	v_lshlrev_b64_e32 v[72:73], v21, v[62:63]
	v_dual_sub_nc_u32 v21, 30, v17 :: v_dual_bitop2_b32 v17, 3, v72 bitop3:0x40
; %bb.7670:                             ;   in Loop: Header=BB4_7360 Depth=2
	s_or_b32 exec_lo, exec_lo, s42
	v_bfe_i32 v23, v62, 0, 16
                                        ; implicit-def: $vgpr62
	s_delay_alu instid0(VALU_DEP_1) | instskip(NEXT) | instid1(VALU_DEP_1)
	v_and_b32_e32 v23, 0x80000000, v23
	v_lshl_add_u32 v21, v21, 23, v23
	s_delay_alu instid0(VALU_DEP_1) | instskip(NEXT) | instid1(VALU_DEP_1)
	v_lshl_or_b32 v17, v17, 21, v21
	v_add_nc_u32_e32 v21, 0x38000000, v17
                                        ; implicit-def: $vgpr17
.LBB4_7671:                             ;   in Loop: Header=BB4_7360 Depth=2
	s_and_not1_saveexec_b32 s41, s41
; %bb.7672:                             ;   in Loop: Header=BB4_7360 Depth=2
	v_cmp_lt_i16_e32 vcc_lo, -1, v62
	v_cndmask_b32_e32 v21, 0xff800000, v109, vcc_lo
	v_cmp_eq_u32_e32 vcc_lo, 0, v17
	s_delay_alu instid0(VALU_DEP_2)
	v_cndmask_b32_e32 v21, 0x7f800001, v21, vcc_lo
; %bb.7673:                             ;   in Loop: Header=BB4_7360 Depth=2
	s_or_b32 exec_lo, exec_lo, s41
.LBB4_7674:                             ;   in Loop: Header=BB4_7360 Depth=2
	s_delay_alu instid0(SALU_CYCLE_1)
	s_or_b32 exec_lo, exec_lo, s14
.LBB4_7675:                             ;   in Loop: Header=BB4_7360 Depth=2
	s_delay_alu instid0(SALU_CYCLE_1) | instskip(NEXT) | instid1(VALU_DEP_1)
	s_or_b32 exec_lo, exec_lo, s7
	v_dual_max_num_f32 v17, v21, v21 :: v_dual_max_num_f32 v19, v19, v19
	s_delay_alu instid0(VALU_DEP_1)
	v_min_num_f32_e32 v19, v19, v17
.LBB4_7676:                             ;   in Loop: Header=BB4_7360 Depth=2
	s_wait_loadcnt_dscnt 0xb0b
	s_delay_alu instid0(VALU_DEP_1) | instskip(SKIP_2) | instid1(VALU_DEP_2)
	v_and_b32_e32 v62, 0x7f800000, v19
	v_mov_b32_e32 v63, v53
	v_and_b32_e32 v52, 0x7fffff, v19
	v_cmp_ne_u64_e32 vcc_lo, 0x7f800000, v[62:63]
                                        ; implicit-def: $vgpr63
	s_and_saveexec_b32 s7, vcc_lo
	s_delay_alu instid0(SALU_CYCLE_1)
	s_xor_b32 s14, exec_lo, s7
	s_cbranch_execz .LBB4_7694
; %bb.7677:                             ;   in Loop: Header=BB4_7360 Depth=2
	v_and_b32_e32 v62, 0x7fffffff, v19
	v_dual_mov_b32 v63, v53 :: v_dual_lshrrev_b32 v17, 24, v19
	s_delay_alu instid0(VALU_DEP_1) | instskip(NEXT) | instid1(VALU_DEP_2)
	v_cmp_gt_u64_e32 vcc_lo, 0x47600001, v[62:63]
	v_and_b32_e32 v17, 0x80, v17
                                        ; implicit-def: $vgpr63
	s_and_saveexec_b32 s7, vcc_lo
	s_delay_alu instid0(SALU_CYCLE_1)
	s_xor_b32 s41, exec_lo, s7
	s_cbranch_execz .LBB4_7691
; %bb.7678:                             ;   in Loop: Header=BB4_7360 Depth=2
	v_mov_b32_e32 v63, 0
	s_mov_b32 s42, exec_lo
	v_cmpx_ne_u32_e32 0, v19
	s_cbranch_execz .LBB4_7690
; %bb.7679:                             ;   in Loop: Header=BB4_7360 Depth=2
	v_bfe_u32 v19, v19, 23, 8
	v_or_b32_e32 v25, 0x800000, v52
	s_delay_alu instid0(VALU_DEP_2) | instskip(SKIP_1) | instid1(VALU_DEP_2)
	v_sub_nc_u32_e32 v21, 0x71, v19
	v_cmp_gt_u32_e32 vcc_lo, 0x72, v19
	v_cndmask_b32_e32 v21, 0, v21, vcc_lo
	v_cmp_eq_u32_e32 vcc_lo, 0, v19
	s_delay_alu instid0(VALU_DEP_2) | instskip(NEXT) | instid1(VALU_DEP_1)
	v_cndmask_b32_e64 v21, v21, 0x70, vcc_lo
	v_dual_cndmask_b32 v52, v25, v52 :: v_dual_add_nc_u32 v23, 21, v21
	s_delay_alu instid0(VALU_DEP_1) | instskip(SKIP_1) | instid1(VALU_DEP_1)
	v_lshlrev_b64_e64 v[62:63], v23, -1
	v_add_nc_u32_e32 v23, 20, v21
	v_lshlrev_b64_e64 v[72:73], v23, 1
	s_delay_alu instid0(VALU_DEP_3) | instskip(NEXT) | instid1(VALU_DEP_4)
	v_bfi_b32 v77, v63, 0, 0
	v_bfi_b32 v76, v62, 0, v52
	v_lshrrev_b64 v[62:63], v21, v[52:53]
	s_delay_alu instid0(VALU_DEP_2) | instskip(NEXT) | instid1(VALU_DEP_2)
	v_cmp_eq_u64_e64 s7, v[76:77], v[72:73]
	v_mov_b64_e32 v[72:73], v[62:63]
	s_and_saveexec_b32 s43, s7
; %bb.7680:                             ;   in Loop: Header=BB4_7360 Depth=2
	v_bfe_u32 v52, v62, 21, 1
	s_delay_alu instid0(VALU_DEP_1) | instskip(NEXT) | instid1(VALU_DEP_1)
	v_add_nc_u64_e32 v[72:73], v[62:63], v[52:53]
	v_add_nc_u64_e32 v[72:73], -1, v[72:73]
; %bb.7681:                             ;   in Loop: Header=BB4_7360 Depth=2
	s_or_b32 exec_lo, exec_lo, s43
	v_add_nc_u32_e32 v19, 0xffffff81, v19
	v_lshrrev_b32_e32 v23, 23, v62
	s_mov_b32 s7, exec_lo
	s_delay_alu instid0(VALU_DEP_2) | instskip(NEXT) | instid1(VALU_DEP_1)
	v_cndmask_b32_e64 v19, v19, 0xffffff82, vcc_lo
	v_add3_u32 v21, v21, v19, v23
	v_and_b32_e32 v19, 0x1fffff, v72
	s_delay_alu instid0(VALU_DEP_1) | instskip(NEXT) | instid1(VALU_DEP_1)
	v_dual_add_nc_u32 v23, 14, v21 :: v_dual_add_nc_u32 v52, v19, v62
                                        ; implicit-def: $vgpr62_vgpr63
                                        ; implicit-def: $vgpr19
	v_cmpx_ne_u32_e32 0, v23
	s_xor_b32 s7, exec_lo, s7
; %bb.7682:                             ;   in Loop: Header=BB4_7360 Depth=2
	s_delay_alu instid0(VALU_DEP_2) | instskip(SKIP_2) | instid1(VALU_DEP_2)
	v_cmp_lt_u64_e32 vcc_lo, 0xffffff, v[52:53]
	v_add_nc_u32_e32 v19, 15, v21
	v_cndmask_b32_e64 v21, 0, 1, vcc_lo
	v_cndmask_b32_e32 v19, v23, v19, vcc_lo
	s_delay_alu instid0(VALU_DEP_2)
	v_lshrrev_b64 v[62:63], v21, v[52:53]
; %bb.7683:                             ;   in Loop: Header=BB4_7360 Depth=2
	s_and_not1_saveexec_b32 s7, s7
; %bb.7684:                             ;   in Loop: Header=BB4_7360 Depth=2
	v_mov_b64_e32 v[62:63], v[52:53]
	v_bfe_u32 v19, v52, 23, 1
; %bb.7685:                             ;   in Loop: Header=BB4_7360 Depth=2
	s_or_b32 exec_lo, exec_lo, s7
	s_delay_alu instid0(VALU_DEP_2) | instskip(NEXT) | instid1(VALU_DEP_2)
	v_lshrrev_b64 v[62:63], 21, v[62:63]
	v_cmp_gt_i32_e32 vcc_lo, 32, v19
	v_cmp_ne_u32_e64 s7, 0, v19
	s_delay_alu instid0(VALU_DEP_3) | instskip(NEXT) | instid1(VALU_DEP_1)
	v_dual_cndmask_b32 v63, 0, v63 :: v_dual_cndmask_b32 v62, 3, v62
	v_cmp_ne_u64_e32 vcc_lo, 0, v[62:63]
                                        ; implicit-def: $vgpr63
	s_or_b32 s7, s7, vcc_lo
	s_delay_alu instid0(SALU_CYCLE_1) | instskip(NEXT) | instid1(SALU_CYCLE_1)
	s_and_saveexec_b32 s43, s7
	s_xor_b32 s7, exec_lo, s43
; %bb.7686:                             ;   in Loop: Header=BB4_7360 Depth=2
	v_min_i32_e32 v19, 31, v19
	s_delay_alu instid0(VALU_DEP_1) | instskip(NEXT) | instid1(VALU_DEP_1)
	v_lshl_or_b32 v17, v19, 2, v17
	v_and_or_b32 v63, v62, 3, v17
                                        ; implicit-def: $vgpr17
; %bb.7687:                             ;   in Loop: Header=BB4_7360 Depth=2
	s_and_not1_saveexec_b32 s7, s7
; %bb.7688:                             ;   in Loop: Header=BB4_7360 Depth=2
	v_mov_b32_e32 v63, v17
; %bb.7689:                             ;   in Loop: Header=BB4_7360 Depth=2
	s_or_b32 exec_lo, exec_lo, s7
.LBB4_7690:                             ;   in Loop: Header=BB4_7360 Depth=2
	s_delay_alu instid0(SALU_CYCLE_1)
	s_or_b32 exec_lo, exec_lo, s42
                                        ; implicit-def: $vgpr17
.LBB4_7691:                             ;   in Loop: Header=BB4_7360 Depth=2
	s_and_not1_saveexec_b32 s7, s41
; %bb.7692:                             ;   in Loop: Header=BB4_7360 Depth=2
	v_or_b32_e32 v63, 0x7b, v17
; %bb.7693:                             ;   in Loop: Header=BB4_7360 Depth=2
	s_or_b32 exec_lo, exec_lo, s7
                                        ; implicit-def: $vgpr19
.LBB4_7694:                             ;   in Loop: Header=BB4_7360 Depth=2
	s_and_not1_saveexec_b32 s7, s14
	s_cbranch_execz .LBB4_7700
; %bb.7695:                             ;   in Loop: Header=BB4_7360 Depth=2
	s_mov_b32 s14, exec_lo
                                        ; implicit-def: $vgpr63
	v_cmpx_ne_u64_e32 0, v[52:53]
	s_xor_b32 s14, exec_lo, s14
; %bb.7696:                             ;   in Loop: Header=BB4_7360 Depth=2
	v_lshrrev_b32_e32 v17, 24, v19
                                        ; implicit-def: $vgpr19
	s_delay_alu instid0(VALU_DEP_1)
	v_or_b32_e32 v63, 0x7f, v17
; %bb.7697:                             ;   in Loop: Header=BB4_7360 Depth=2
	s_and_not1_saveexec_b32 s14, s14
; %bb.7698:                             ;   in Loop: Header=BB4_7360 Depth=2
	v_cmp_lt_i32_e32 vcc_lo, -1, v19
	v_cndmask_b32_e64 v63, -4, 0x7c, vcc_lo
; %bb.7699:                             ;   in Loop: Header=BB4_7360 Depth=2
	s_or_b32 exec_lo, exec_lo, s14
.LBB4_7700:                             ;   in Loop: Header=BB4_7360 Depth=2
	s_delay_alu instid0(SALU_CYCLE_1)
	s_or_b32 exec_lo, exec_lo, s7
	v_and_b32_e32 v17, 0xff, v60
	v_cmp_ne_u16_e64 s7, 0, v60
	s_and_not1_b32 vcc_lo, exec_lo, s13
	s_mov_b32 s14, -1
                                        ; implicit-def: $vgpr19
	s_cbranch_vccnz .LBB4_7722
; %bb.7701:                             ;   in Loop: Header=BB4_7360 Depth=2
	v_dual_mov_b32 v21, 0 :: v_dual_mov_b32 v19, 0
	s_and_saveexec_b32 s14, s7
	s_cbranch_execz .LBB4_7711
; %bb.7702:                             ;   in Loop: Header=BB4_7360 Depth=2
	v_bfrev_b32_e32 v19, 1
	s_mov_b32 s41, exec_lo
	v_cmpx_ne_u16_e32 0xff80, v60
	s_cbranch_execz .LBB4_7710
; %bb.7703:                             ;   in Loop: Header=BB4_7360 Depth=2
	v_and_b32_e32 v19, 0x7c, v17
	v_and_b32_e32 v23, 3, v17
	s_delay_alu instid0(VALU_DEP_2) | instskip(SKIP_1) | instid1(SALU_CYCLE_1)
	v_cmp_ne_u32_e32 vcc_lo, 0x7c, v19
                                        ; implicit-def: $vgpr19
	s_and_saveexec_b32 s42, vcc_lo
	s_xor_b32 s42, exec_lo, s42
	s_cbranch_execz .LBB4_7707
; %bb.7704:                             ;   in Loop: Header=BB4_7360 Depth=2
	v_bfe_u32 v19, v17, 2, 5
	s_mov_b32 s43, exec_lo
	s_delay_alu instid0(VALU_DEP_1)
	v_cmpx_eq_u32_e32 0, v19
	s_cbranch_execz .LBB4_7706
; %bb.7705:                             ;   in Loop: Header=BB4_7360 Depth=2
	v_clz_i32_u32_e32 v19, v23
	s_delay_alu instid0(VALU_DEP_1) | instskip(SKIP_1) | instid1(VALU_DEP_2)
	v_min_u32_e32 v19, 32, v19
	v_mov_b32_e32 v61, v53
	v_subrev_nc_u32_e32 v23, 29, v19
	v_sub_nc_u32_e32 v19, 30, v19
	s_delay_alu instid0(VALU_DEP_2) | instskip(NEXT) | instid1(VALU_DEP_1)
	v_lshlrev_b64_e32 v[72:73], v23, v[60:61]
	v_and_b32_e32 v23, 3, v72
.LBB4_7706:                             ;   in Loop: Header=BB4_7360 Depth=2
	s_or_b32 exec_lo, exec_lo, s43
	v_bfe_i32 v25, v60, 0, 16
	s_delay_alu instid0(VALU_DEP_1) | instskip(NEXT) | instid1(VALU_DEP_1)
	v_and_b32_e32 v25, 0x80000000, v25
	v_lshl_add_u32 v19, v19, 23, v25
	s_delay_alu instid0(VALU_DEP_1) | instskip(NEXT) | instid1(VALU_DEP_1)
	v_lshl_or_b32 v19, v23, 21, v19
                                        ; implicit-def: $vgpr23
	v_add_nc_u32_e32 v19, 0x38000000, v19
.LBB4_7707:                             ;   in Loop: Header=BB4_7360 Depth=2
	s_and_not1_saveexec_b32 s42, s42
; %bb.7708:                             ;   in Loop: Header=BB4_7360 Depth=2
	v_cmp_lt_i16_e32 vcc_lo, -1, v60
	v_cndmask_b32_e32 v19, 0xff800000, v109, vcc_lo
	v_cmp_eq_u32_e32 vcc_lo, 0, v23
	s_delay_alu instid0(VALU_DEP_2)
	v_cndmask_b32_e32 v19, 0x7f800001, v19, vcc_lo
; %bb.7709:                             ;   in Loop: Header=BB4_7360 Depth=2
	s_or_b32 exec_lo, exec_lo, s42
.LBB4_7710:                             ;   in Loop: Header=BB4_7360 Depth=2
	s_delay_alu instid0(SALU_CYCLE_1)
	s_or_b32 exec_lo, exec_lo, s41
.LBB4_7711:                             ;   in Loop: Header=BB4_7360 Depth=2
	s_delay_alu instid0(SALU_CYCLE_1) | instskip(NEXT) | instid1(SALU_CYCLE_1)
	s_or_b32 exec_lo, exec_lo, s14
	s_mov_b32 s14, exec_lo
	s_wait_loadcnt_dscnt 0xa0a
	v_cmpx_ne_u16_e32 0, v58
	s_cbranch_execz .LBB4_7721
; %bb.7712:                             ;   in Loop: Header=BB4_7360 Depth=2
	v_bfrev_b32_e32 v21, 1
	s_mov_b32 s41, exec_lo
	v_cmpx_ne_u16_e32 0xff80, v58
	s_cbranch_execz .LBB4_7720
; %bb.7713:                             ;   in Loop: Header=BB4_7360 Depth=2
	v_and_b32_e32 v21, 0x7c, v58
	v_and_b32_e32 v23, 3, v58
	s_delay_alu instid0(VALU_DEP_2) | instskip(SKIP_1) | instid1(SALU_CYCLE_1)
	v_cmp_ne_u32_e32 vcc_lo, 0x7c, v21
                                        ; implicit-def: $vgpr21
	s_and_saveexec_b32 s42, vcc_lo
	s_xor_b32 s42, exec_lo, s42
	s_cbranch_execz .LBB4_7717
; %bb.7714:                             ;   in Loop: Header=BB4_7360 Depth=2
	v_and_b32_e32 v21, 0xff, v58
	s_mov_b32 s43, exec_lo
	s_delay_alu instid0(VALU_DEP_1) | instskip(NEXT) | instid1(VALU_DEP_1)
	v_bfe_u32 v21, v21, 2, 5
	v_cmpx_eq_u32_e32 0, v21
	s_cbranch_execz .LBB4_7716
; %bb.7715:                             ;   in Loop: Header=BB4_7360 Depth=2
	v_clz_i32_u32_e32 v21, v23
	s_delay_alu instid0(VALU_DEP_1) | instskip(SKIP_1) | instid1(VALU_DEP_2)
	v_min_u32_e32 v21, 32, v21
	v_mov_b32_e32 v59, v53
	v_subrev_nc_u32_e32 v23, 29, v21
	v_sub_nc_u32_e32 v21, 30, v21
	s_delay_alu instid0(VALU_DEP_2) | instskip(NEXT) | instid1(VALU_DEP_1)
	v_lshlrev_b64_e32 v[72:73], v23, v[58:59]
	v_and_b32_e32 v23, 3, v72
.LBB4_7716:                             ;   in Loop: Header=BB4_7360 Depth=2
	s_or_b32 exec_lo, exec_lo, s43
	v_bfe_i32 v25, v58, 0, 16
	s_delay_alu instid0(VALU_DEP_1) | instskip(NEXT) | instid1(VALU_DEP_1)
	v_and_b32_e32 v25, 0x80000000, v25
	v_lshl_add_u32 v21, v21, 23, v25
	s_delay_alu instid0(VALU_DEP_1) | instskip(NEXT) | instid1(VALU_DEP_1)
	v_lshl_or_b32 v21, v23, 21, v21
                                        ; implicit-def: $vgpr23
	v_add_nc_u32_e32 v21, 0x38000000, v21
.LBB4_7717:                             ;   in Loop: Header=BB4_7360 Depth=2
	s_and_not1_saveexec_b32 s42, s42
; %bb.7718:                             ;   in Loop: Header=BB4_7360 Depth=2
	v_cmp_lt_i16_e32 vcc_lo, -1, v58
	v_cndmask_b32_e32 v21, 0xff800000, v109, vcc_lo
	v_cmp_eq_u32_e32 vcc_lo, 0, v23
	s_delay_alu instid0(VALU_DEP_2)
	v_cndmask_b32_e32 v21, 0x7f800001, v21, vcc_lo
; %bb.7719:                             ;   in Loop: Header=BB4_7360 Depth=2
	s_or_b32 exec_lo, exec_lo, s42
.LBB4_7720:                             ;   in Loop: Header=BB4_7360 Depth=2
	s_delay_alu instid0(SALU_CYCLE_1)
	s_or_b32 exec_lo, exec_lo, s41
.LBB4_7721:                             ;   in Loop: Header=BB4_7360 Depth=2
	s_delay_alu instid0(SALU_CYCLE_1) | instskip(NEXT) | instid1(VALU_DEP_1)
	s_or_b32 exec_lo, exec_lo, s14
	v_dual_max_num_f32 v21, v21, v21 :: v_dual_max_num_f32 v19, v19, v19
	s_mov_b32 s14, 0
	s_delay_alu instid0(VALU_DEP_1)
	v_max_num_f32_e32 v19, v19, v21
.LBB4_7722:                             ;   in Loop: Header=BB4_7360 Depth=2
	s_and_b32 vcc_lo, exec_lo, s14
	s_cbranch_vccz .LBB4_7744
; %bb.7723:                             ;   in Loop: Header=BB4_7360 Depth=2
	v_dual_mov_b32 v21, 0 :: v_dual_mov_b32 v19, 0
	s_and_saveexec_b32 s14, s7
	s_cbranch_execz .LBB4_7733
; %bb.7724:                             ;   in Loop: Header=BB4_7360 Depth=2
	v_bfrev_b32_e32 v19, 1
	s_mov_b32 s7, exec_lo
	v_cmpx_ne_u16_e32 0xff80, v60
	s_cbranch_execz .LBB4_7732
; %bb.7725:                             ;   in Loop: Header=BB4_7360 Depth=2
	v_and_b32_e32 v19, 0x7c, v17
	v_and_b32_e32 v23, 3, v17
	s_delay_alu instid0(VALU_DEP_2) | instskip(SKIP_1) | instid1(SALU_CYCLE_1)
	v_cmp_ne_u32_e32 vcc_lo, 0x7c, v19
                                        ; implicit-def: $vgpr19
	s_and_saveexec_b32 s41, vcc_lo
	s_xor_b32 s41, exec_lo, s41
	s_cbranch_execz .LBB4_7729
; %bb.7726:                             ;   in Loop: Header=BB4_7360 Depth=2
	v_bfe_u32 v17, v17, 2, 5
	s_mov_b32 s42, exec_lo
	s_delay_alu instid0(VALU_DEP_1)
	v_cmpx_eq_u32_e32 0, v17
	s_cbranch_execz .LBB4_7728
; %bb.7727:                             ;   in Loop: Header=BB4_7360 Depth=2
	v_clz_i32_u32_e32 v17, v23
	s_delay_alu instid0(VALU_DEP_1) | instskip(SKIP_1) | instid1(VALU_DEP_2)
	v_min_u32_e32 v17, 32, v17
	v_mov_b32_e32 v61, v53
	v_subrev_nc_u32_e32 v19, 29, v17
	v_sub_nc_u32_e32 v17, 30, v17
	s_delay_alu instid0(VALU_DEP_2) | instskip(NEXT) | instid1(VALU_DEP_1)
	v_lshlrev_b64_e32 v[72:73], v19, v[60:61]
	v_and_b32_e32 v23, 3, v72
.LBB4_7728:                             ;   in Loop: Header=BB4_7360 Depth=2
	s_or_b32 exec_lo, exec_lo, s42
	v_bfe_i32 v19, v60, 0, 16
                                        ; implicit-def: $vgpr60
	s_delay_alu instid0(VALU_DEP_1) | instskip(NEXT) | instid1(VALU_DEP_1)
	v_and_b32_e32 v19, 0x80000000, v19
	v_lshl_add_u32 v17, v17, 23, v19
	s_delay_alu instid0(VALU_DEP_1) | instskip(NEXT) | instid1(VALU_DEP_1)
	v_lshl_or_b32 v17, v23, 21, v17
                                        ; implicit-def: $vgpr23
	v_add_nc_u32_e32 v19, 0x38000000, v17
.LBB4_7729:                             ;   in Loop: Header=BB4_7360 Depth=2
	s_and_not1_saveexec_b32 s41, s41
; %bb.7730:                             ;   in Loop: Header=BB4_7360 Depth=2
	v_cmp_lt_i16_e32 vcc_lo, -1, v60
	v_cndmask_b32_e32 v17, 0xff800000, v109, vcc_lo
	v_cmp_eq_u32_e32 vcc_lo, 0, v23
	s_delay_alu instid0(VALU_DEP_2)
	v_cndmask_b32_e32 v19, 0x7f800001, v17, vcc_lo
; %bb.7731:                             ;   in Loop: Header=BB4_7360 Depth=2
	s_or_b32 exec_lo, exec_lo, s41
.LBB4_7732:                             ;   in Loop: Header=BB4_7360 Depth=2
	s_delay_alu instid0(SALU_CYCLE_1)
	s_or_b32 exec_lo, exec_lo, s7
.LBB4_7733:                             ;   in Loop: Header=BB4_7360 Depth=2
	s_delay_alu instid0(SALU_CYCLE_1) | instskip(NEXT) | instid1(SALU_CYCLE_1)
	s_or_b32 exec_lo, exec_lo, s14
	s_mov_b32 s7, exec_lo
	s_wait_loadcnt_dscnt 0xa0a
	v_cmpx_ne_u16_e32 0, v58
	s_cbranch_execz .LBB4_7743
; %bb.7734:                             ;   in Loop: Header=BB4_7360 Depth=2
	v_bfrev_b32_e32 v21, 1
	s_mov_b32 s14, exec_lo
	v_cmpx_ne_u16_e32 0xff80, v58
	s_cbranch_execz .LBB4_7742
; %bb.7735:                             ;   in Loop: Header=BB4_7360 Depth=2
	v_and_b32_e32 v21, 0x7c, v58
	v_and_b32_e32 v17, 3, v58
	s_delay_alu instid0(VALU_DEP_2) | instskip(SKIP_1) | instid1(SALU_CYCLE_1)
	v_cmp_ne_u32_e32 vcc_lo, 0x7c, v21
                                        ; implicit-def: $vgpr21
	s_and_saveexec_b32 s41, vcc_lo
	s_xor_b32 s41, exec_lo, s41
	s_cbranch_execz .LBB4_7739
; %bb.7736:                             ;   in Loop: Header=BB4_7360 Depth=2
	v_and_b32_e32 v21, 0xff, v58
	s_mov_b32 s42, exec_lo
	s_delay_alu instid0(VALU_DEP_1) | instskip(NEXT) | instid1(VALU_DEP_1)
	v_bfe_u32 v21, v21, 2, 5
	v_cmpx_eq_u32_e32 0, v21
; %bb.7737:                             ;   in Loop: Header=BB4_7360 Depth=2
	v_clz_i32_u32_e32 v17, v17
	s_delay_alu instid0(VALU_DEP_1) | instskip(SKIP_1) | instid1(VALU_DEP_2)
	v_min_u32_e32 v17, 32, v17
	v_mov_b32_e32 v59, v53
	v_subrev_nc_u32_e32 v21, 29, v17
	s_delay_alu instid0(VALU_DEP_1) | instskip(NEXT) | instid1(VALU_DEP_1)
	v_lshlrev_b64_e32 v[60:61], v21, v[58:59]
	v_dual_sub_nc_u32 v21, 30, v17 :: v_dual_bitop2_b32 v17, 3, v60 bitop3:0x40
; %bb.7738:                             ;   in Loop: Header=BB4_7360 Depth=2
	s_or_b32 exec_lo, exec_lo, s42
	v_bfe_i32 v23, v58, 0, 16
                                        ; implicit-def: $vgpr58
	s_delay_alu instid0(VALU_DEP_1) | instskip(NEXT) | instid1(VALU_DEP_1)
	v_and_b32_e32 v23, 0x80000000, v23
	v_lshl_add_u32 v21, v21, 23, v23
	s_delay_alu instid0(VALU_DEP_1) | instskip(NEXT) | instid1(VALU_DEP_1)
	v_lshl_or_b32 v17, v17, 21, v21
	v_add_nc_u32_e32 v21, 0x38000000, v17
                                        ; implicit-def: $vgpr17
.LBB4_7739:                             ;   in Loop: Header=BB4_7360 Depth=2
	s_and_not1_saveexec_b32 s41, s41
; %bb.7740:                             ;   in Loop: Header=BB4_7360 Depth=2
	v_cmp_lt_i16_e32 vcc_lo, -1, v58
	v_cndmask_b32_e32 v21, 0xff800000, v109, vcc_lo
	v_cmp_eq_u32_e32 vcc_lo, 0, v17
	s_delay_alu instid0(VALU_DEP_2)
	v_cndmask_b32_e32 v21, 0x7f800001, v21, vcc_lo
; %bb.7741:                             ;   in Loop: Header=BB4_7360 Depth=2
	s_or_b32 exec_lo, exec_lo, s41
.LBB4_7742:                             ;   in Loop: Header=BB4_7360 Depth=2
	s_delay_alu instid0(SALU_CYCLE_1)
	s_or_b32 exec_lo, exec_lo, s14
.LBB4_7743:                             ;   in Loop: Header=BB4_7360 Depth=2
	s_delay_alu instid0(SALU_CYCLE_1) | instskip(NEXT) | instid1(VALU_DEP_1)
	s_or_b32 exec_lo, exec_lo, s7
	v_dual_max_num_f32 v17, v21, v21 :: v_dual_max_num_f32 v19, v19, v19
	s_delay_alu instid0(VALU_DEP_1)
	v_min_num_f32_e32 v19, v19, v17
.LBB4_7744:                             ;   in Loop: Header=BB4_7360 Depth=2
	s_wait_loadcnt_dscnt 0xa0a
	s_delay_alu instid0(VALU_DEP_1) | instskip(SKIP_2) | instid1(VALU_DEP_2)
	v_and_b32_e32 v58, 0x7f800000, v19
	v_mov_b32_e32 v59, v53
	v_and_b32_e32 v52, 0x7fffff, v19
	v_cmp_ne_u64_e32 vcc_lo, 0x7f800000, v[58:59]
                                        ; implicit-def: $vgpr59
	s_and_saveexec_b32 s7, vcc_lo
	s_delay_alu instid0(SALU_CYCLE_1)
	s_xor_b32 s14, exec_lo, s7
	s_cbranch_execz .LBB4_7762
; %bb.7745:                             ;   in Loop: Header=BB4_7360 Depth=2
	v_and_b32_e32 v58, 0x7fffffff, v19
	v_dual_mov_b32 v59, v53 :: v_dual_lshrrev_b32 v17, 24, v19
	s_delay_alu instid0(VALU_DEP_1) | instskip(NEXT) | instid1(VALU_DEP_2)
	v_cmp_gt_u64_e32 vcc_lo, 0x47600001, v[58:59]
	v_and_b32_e32 v17, 0x80, v17
                                        ; implicit-def: $vgpr59
	s_and_saveexec_b32 s7, vcc_lo
	s_delay_alu instid0(SALU_CYCLE_1)
	s_xor_b32 s41, exec_lo, s7
	s_cbranch_execz .LBB4_7759
; %bb.7746:                             ;   in Loop: Header=BB4_7360 Depth=2
	v_mov_b32_e32 v59, 0
	s_mov_b32 s42, exec_lo
	v_cmpx_ne_u32_e32 0, v19
	s_cbranch_execz .LBB4_7758
; %bb.7747:                             ;   in Loop: Header=BB4_7360 Depth=2
	v_bfe_u32 v19, v19, 23, 8
	v_or_b32_e32 v25, 0x800000, v52
	s_delay_alu instid0(VALU_DEP_2) | instskip(SKIP_1) | instid1(VALU_DEP_2)
	v_sub_nc_u32_e32 v21, 0x71, v19
	v_cmp_gt_u32_e32 vcc_lo, 0x72, v19
	v_cndmask_b32_e32 v21, 0, v21, vcc_lo
	v_cmp_eq_u32_e32 vcc_lo, 0, v19
	s_delay_alu instid0(VALU_DEP_2) | instskip(NEXT) | instid1(VALU_DEP_1)
	v_cndmask_b32_e64 v21, v21, 0x70, vcc_lo
	v_dual_cndmask_b32 v52, v25, v52 :: v_dual_add_nc_u32 v23, 21, v21
	s_delay_alu instid0(VALU_DEP_1) | instskip(SKIP_1) | instid1(VALU_DEP_1)
	v_lshlrev_b64_e64 v[58:59], v23, -1
	v_add_nc_u32_e32 v23, 20, v21
	v_lshlrev_b64_e64 v[60:61], v23, 1
	s_delay_alu instid0(VALU_DEP_3) | instskip(NEXT) | instid1(VALU_DEP_4)
	v_bfi_b32 v73, v59, 0, 0
	v_bfi_b32 v72, v58, 0, v52
	v_lshrrev_b64 v[58:59], v21, v[52:53]
	s_delay_alu instid0(VALU_DEP_2) | instskip(NEXT) | instid1(VALU_DEP_2)
	v_cmp_eq_u64_e64 s7, v[72:73], v[60:61]
	v_mov_b64_e32 v[60:61], v[58:59]
	s_and_saveexec_b32 s43, s7
; %bb.7748:                             ;   in Loop: Header=BB4_7360 Depth=2
	v_bfe_u32 v52, v58, 21, 1
	s_delay_alu instid0(VALU_DEP_1) | instskip(NEXT) | instid1(VALU_DEP_1)
	v_add_nc_u64_e32 v[60:61], v[58:59], v[52:53]
	v_add_nc_u64_e32 v[60:61], -1, v[60:61]
; %bb.7749:                             ;   in Loop: Header=BB4_7360 Depth=2
	s_or_b32 exec_lo, exec_lo, s43
	v_add_nc_u32_e32 v19, 0xffffff81, v19
	v_lshrrev_b32_e32 v23, 23, v58
	s_mov_b32 s7, exec_lo
	s_delay_alu instid0(VALU_DEP_2) | instskip(NEXT) | instid1(VALU_DEP_1)
	v_cndmask_b32_e64 v19, v19, 0xffffff82, vcc_lo
	v_add3_u32 v21, v21, v19, v23
	v_and_b32_e32 v19, 0x1fffff, v60
	s_delay_alu instid0(VALU_DEP_1) | instskip(NEXT) | instid1(VALU_DEP_1)
	v_dual_add_nc_u32 v23, 14, v21 :: v_dual_add_nc_u32 v52, v19, v58
                                        ; implicit-def: $vgpr58_vgpr59
                                        ; implicit-def: $vgpr19
	v_cmpx_ne_u32_e32 0, v23
	s_xor_b32 s7, exec_lo, s7
; %bb.7750:                             ;   in Loop: Header=BB4_7360 Depth=2
	s_delay_alu instid0(VALU_DEP_2) | instskip(SKIP_2) | instid1(VALU_DEP_2)
	v_cmp_lt_u64_e32 vcc_lo, 0xffffff, v[52:53]
	v_add_nc_u32_e32 v19, 15, v21
	v_cndmask_b32_e64 v21, 0, 1, vcc_lo
	v_cndmask_b32_e32 v19, v23, v19, vcc_lo
	s_delay_alu instid0(VALU_DEP_2)
	v_lshrrev_b64 v[58:59], v21, v[52:53]
; %bb.7751:                             ;   in Loop: Header=BB4_7360 Depth=2
	s_and_not1_saveexec_b32 s7, s7
; %bb.7752:                             ;   in Loop: Header=BB4_7360 Depth=2
	v_mov_b64_e32 v[58:59], v[52:53]
	v_bfe_u32 v19, v52, 23, 1
; %bb.7753:                             ;   in Loop: Header=BB4_7360 Depth=2
	s_or_b32 exec_lo, exec_lo, s7
	s_delay_alu instid0(VALU_DEP_2) | instskip(NEXT) | instid1(VALU_DEP_2)
	v_lshrrev_b64 v[58:59], 21, v[58:59]
	v_cmp_gt_i32_e32 vcc_lo, 32, v19
	v_cmp_ne_u32_e64 s7, 0, v19
	s_delay_alu instid0(VALU_DEP_3) | instskip(NEXT) | instid1(VALU_DEP_1)
	v_dual_cndmask_b32 v59, 0, v59 :: v_dual_cndmask_b32 v58, 3, v58
	v_cmp_ne_u64_e32 vcc_lo, 0, v[58:59]
                                        ; implicit-def: $vgpr59
	s_or_b32 s7, s7, vcc_lo
	s_delay_alu instid0(SALU_CYCLE_1) | instskip(NEXT) | instid1(SALU_CYCLE_1)
	s_and_saveexec_b32 s43, s7
	s_xor_b32 s7, exec_lo, s43
; %bb.7754:                             ;   in Loop: Header=BB4_7360 Depth=2
	v_min_i32_e32 v19, 31, v19
	s_delay_alu instid0(VALU_DEP_1) | instskip(NEXT) | instid1(VALU_DEP_1)
	v_lshl_or_b32 v17, v19, 2, v17
	v_and_or_b32 v59, v58, 3, v17
                                        ; implicit-def: $vgpr17
; %bb.7755:                             ;   in Loop: Header=BB4_7360 Depth=2
	s_and_not1_saveexec_b32 s7, s7
; %bb.7756:                             ;   in Loop: Header=BB4_7360 Depth=2
	v_mov_b32_e32 v59, v17
; %bb.7757:                             ;   in Loop: Header=BB4_7360 Depth=2
	s_or_b32 exec_lo, exec_lo, s7
.LBB4_7758:                             ;   in Loop: Header=BB4_7360 Depth=2
	s_delay_alu instid0(SALU_CYCLE_1)
	s_or_b32 exec_lo, exec_lo, s42
                                        ; implicit-def: $vgpr17
.LBB4_7759:                             ;   in Loop: Header=BB4_7360 Depth=2
	s_and_not1_saveexec_b32 s7, s41
; %bb.7760:                             ;   in Loop: Header=BB4_7360 Depth=2
	v_or_b32_e32 v59, 0x7b, v17
; %bb.7761:                             ;   in Loop: Header=BB4_7360 Depth=2
	s_or_b32 exec_lo, exec_lo, s7
                                        ; implicit-def: $vgpr19
.LBB4_7762:                             ;   in Loop: Header=BB4_7360 Depth=2
	s_and_not1_saveexec_b32 s7, s14
	s_cbranch_execz .LBB4_7768
; %bb.7763:                             ;   in Loop: Header=BB4_7360 Depth=2
	s_mov_b32 s14, exec_lo
                                        ; implicit-def: $vgpr59
	v_cmpx_ne_u64_e32 0, v[52:53]
	s_xor_b32 s14, exec_lo, s14
; %bb.7764:                             ;   in Loop: Header=BB4_7360 Depth=2
	v_lshrrev_b32_e32 v17, 24, v19
                                        ; implicit-def: $vgpr19
	s_delay_alu instid0(VALU_DEP_1)
	v_or_b32_e32 v59, 0x7f, v17
; %bb.7765:                             ;   in Loop: Header=BB4_7360 Depth=2
	s_and_not1_saveexec_b32 s14, s14
; %bb.7766:                             ;   in Loop: Header=BB4_7360 Depth=2
	v_cmp_lt_i32_e32 vcc_lo, -1, v19
	v_cndmask_b32_e64 v59, -4, 0x7c, vcc_lo
; %bb.7767:                             ;   in Loop: Header=BB4_7360 Depth=2
	s_or_b32 exec_lo, exec_lo, s14
.LBB4_7768:                             ;   in Loop: Header=BB4_7360 Depth=2
	s_delay_alu instid0(SALU_CYCLE_1)
	s_or_b32 exec_lo, exec_lo, s7
	v_and_b32_e32 v17, 0xff, v56
	v_cmp_ne_u16_e64 s7, 0, v56
	s_and_not1_b32 vcc_lo, exec_lo, s13
	s_mov_b32 s14, -1
                                        ; implicit-def: $vgpr19
	s_cbranch_vccnz .LBB4_7790
; %bb.7769:                             ;   in Loop: Header=BB4_7360 Depth=2
	v_dual_mov_b32 v21, 0 :: v_dual_mov_b32 v19, 0
	s_and_saveexec_b32 s14, s7
	s_cbranch_execz .LBB4_7779
; %bb.7770:                             ;   in Loop: Header=BB4_7360 Depth=2
	v_bfrev_b32_e32 v19, 1
	s_mov_b32 s41, exec_lo
	v_cmpx_ne_u16_e32 0xff80, v56
	s_cbranch_execz .LBB4_7778
; %bb.7771:                             ;   in Loop: Header=BB4_7360 Depth=2
	v_and_b32_e32 v19, 0x7c, v17
	v_and_b32_e32 v23, 3, v17
	s_delay_alu instid0(VALU_DEP_2) | instskip(SKIP_1) | instid1(SALU_CYCLE_1)
	v_cmp_ne_u32_e32 vcc_lo, 0x7c, v19
                                        ; implicit-def: $vgpr19
	s_and_saveexec_b32 s42, vcc_lo
	s_xor_b32 s42, exec_lo, s42
	s_cbranch_execz .LBB4_7775
; %bb.7772:                             ;   in Loop: Header=BB4_7360 Depth=2
	v_bfe_u32 v19, v17, 2, 5
	s_mov_b32 s43, exec_lo
	s_delay_alu instid0(VALU_DEP_1)
	v_cmpx_eq_u32_e32 0, v19
	s_cbranch_execz .LBB4_7774
; %bb.7773:                             ;   in Loop: Header=BB4_7360 Depth=2
	v_clz_i32_u32_e32 v19, v23
	s_delay_alu instid0(VALU_DEP_1) | instskip(SKIP_1) | instid1(VALU_DEP_2)
	v_min_u32_e32 v19, 32, v19
	v_mov_b32_e32 v57, v53
	v_subrev_nc_u32_e32 v23, 29, v19
	v_sub_nc_u32_e32 v19, 30, v19
	s_delay_alu instid0(VALU_DEP_2) | instskip(NEXT) | instid1(VALU_DEP_1)
	v_lshlrev_b64_e32 v[60:61], v23, v[56:57]
	v_and_b32_e32 v23, 3, v60
.LBB4_7774:                             ;   in Loop: Header=BB4_7360 Depth=2
	s_or_b32 exec_lo, exec_lo, s43
	v_bfe_i32 v25, v56, 0, 16
	s_delay_alu instid0(VALU_DEP_1) | instskip(NEXT) | instid1(VALU_DEP_1)
	v_and_b32_e32 v25, 0x80000000, v25
	v_lshl_add_u32 v19, v19, 23, v25
	s_delay_alu instid0(VALU_DEP_1) | instskip(NEXT) | instid1(VALU_DEP_1)
	v_lshl_or_b32 v19, v23, 21, v19
                                        ; implicit-def: $vgpr23
	v_add_nc_u32_e32 v19, 0x38000000, v19
.LBB4_7775:                             ;   in Loop: Header=BB4_7360 Depth=2
	s_and_not1_saveexec_b32 s42, s42
; %bb.7776:                             ;   in Loop: Header=BB4_7360 Depth=2
	v_cmp_lt_i16_e32 vcc_lo, -1, v56
	v_cndmask_b32_e32 v19, 0xff800000, v109, vcc_lo
	v_cmp_eq_u32_e32 vcc_lo, 0, v23
	s_delay_alu instid0(VALU_DEP_2)
	v_cndmask_b32_e32 v19, 0x7f800001, v19, vcc_lo
; %bb.7777:                             ;   in Loop: Header=BB4_7360 Depth=2
	s_or_b32 exec_lo, exec_lo, s42
.LBB4_7778:                             ;   in Loop: Header=BB4_7360 Depth=2
	s_delay_alu instid0(SALU_CYCLE_1)
	s_or_b32 exec_lo, exec_lo, s41
.LBB4_7779:                             ;   in Loop: Header=BB4_7360 Depth=2
	s_delay_alu instid0(SALU_CYCLE_1) | instskip(NEXT) | instid1(SALU_CYCLE_1)
	s_or_b32 exec_lo, exec_lo, s14
	s_mov_b32 s14, exec_lo
	s_wait_loadcnt_dscnt 0x909
	v_cmpx_ne_u16_e32 0, v46
	s_cbranch_execz .LBB4_7789
; %bb.7780:                             ;   in Loop: Header=BB4_7360 Depth=2
	v_bfrev_b32_e32 v21, 1
	s_mov_b32 s41, exec_lo
	v_cmpx_ne_u16_e32 0xff80, v46
	s_cbranch_execz .LBB4_7788
; %bb.7781:                             ;   in Loop: Header=BB4_7360 Depth=2
	v_and_b32_e32 v21, 0x7c, v46
	v_and_b32_e32 v23, 3, v46
	s_delay_alu instid0(VALU_DEP_2) | instskip(SKIP_1) | instid1(SALU_CYCLE_1)
	v_cmp_ne_u32_e32 vcc_lo, 0x7c, v21
                                        ; implicit-def: $vgpr21
	s_and_saveexec_b32 s42, vcc_lo
	s_xor_b32 s42, exec_lo, s42
	s_cbranch_execz .LBB4_7785
; %bb.7782:                             ;   in Loop: Header=BB4_7360 Depth=2
	v_and_b32_e32 v21, 0xff, v46
	s_mov_b32 s43, exec_lo
	s_delay_alu instid0(VALU_DEP_1) | instskip(NEXT) | instid1(VALU_DEP_1)
	v_bfe_u32 v21, v21, 2, 5
	v_cmpx_eq_u32_e32 0, v21
	s_cbranch_execz .LBB4_7784
; %bb.7783:                             ;   in Loop: Header=BB4_7360 Depth=2
	v_clz_i32_u32_e32 v21, v23
	s_delay_alu instid0(VALU_DEP_1) | instskip(SKIP_1) | instid1(VALU_DEP_2)
	v_min_u32_e32 v21, 32, v21
	v_mov_b32_e32 v47, v53
	v_subrev_nc_u32_e32 v23, 29, v21
	v_sub_nc_u32_e32 v21, 30, v21
	s_delay_alu instid0(VALU_DEP_2) | instskip(NEXT) | instid1(VALU_DEP_1)
	v_lshlrev_b64_e32 v[60:61], v23, v[46:47]
	v_and_b32_e32 v23, 3, v60
.LBB4_7784:                             ;   in Loop: Header=BB4_7360 Depth=2
	s_or_b32 exec_lo, exec_lo, s43
	v_bfe_i32 v25, v46, 0, 16
	s_delay_alu instid0(VALU_DEP_1) | instskip(NEXT) | instid1(VALU_DEP_1)
	v_and_b32_e32 v25, 0x80000000, v25
	v_lshl_add_u32 v21, v21, 23, v25
	s_delay_alu instid0(VALU_DEP_1) | instskip(NEXT) | instid1(VALU_DEP_1)
	v_lshl_or_b32 v21, v23, 21, v21
                                        ; implicit-def: $vgpr23
	v_add_nc_u32_e32 v21, 0x38000000, v21
.LBB4_7785:                             ;   in Loop: Header=BB4_7360 Depth=2
	s_and_not1_saveexec_b32 s42, s42
; %bb.7786:                             ;   in Loop: Header=BB4_7360 Depth=2
	v_cmp_lt_i16_e32 vcc_lo, -1, v46
	v_cndmask_b32_e32 v21, 0xff800000, v109, vcc_lo
	v_cmp_eq_u32_e32 vcc_lo, 0, v23
	s_delay_alu instid0(VALU_DEP_2)
	v_cndmask_b32_e32 v21, 0x7f800001, v21, vcc_lo
; %bb.7787:                             ;   in Loop: Header=BB4_7360 Depth=2
	s_or_b32 exec_lo, exec_lo, s42
.LBB4_7788:                             ;   in Loop: Header=BB4_7360 Depth=2
	s_delay_alu instid0(SALU_CYCLE_1)
	s_or_b32 exec_lo, exec_lo, s41
.LBB4_7789:                             ;   in Loop: Header=BB4_7360 Depth=2
	s_delay_alu instid0(SALU_CYCLE_1) | instskip(NEXT) | instid1(VALU_DEP_1)
	s_or_b32 exec_lo, exec_lo, s14
	v_dual_max_num_f32 v21, v21, v21 :: v_dual_max_num_f32 v19, v19, v19
	s_mov_b32 s14, 0
	s_delay_alu instid0(VALU_DEP_1)
	v_max_num_f32_e32 v19, v19, v21
.LBB4_7790:                             ;   in Loop: Header=BB4_7360 Depth=2
	s_and_b32 vcc_lo, exec_lo, s14
	s_cbranch_vccz .LBB4_7812
; %bb.7791:                             ;   in Loop: Header=BB4_7360 Depth=2
	v_dual_mov_b32 v21, 0 :: v_dual_mov_b32 v19, 0
	s_and_saveexec_b32 s14, s7
	s_cbranch_execz .LBB4_7801
; %bb.7792:                             ;   in Loop: Header=BB4_7360 Depth=2
	v_bfrev_b32_e32 v19, 1
	s_mov_b32 s7, exec_lo
	v_cmpx_ne_u16_e32 0xff80, v56
	s_cbranch_execz .LBB4_7800
; %bb.7793:                             ;   in Loop: Header=BB4_7360 Depth=2
	v_and_b32_e32 v19, 0x7c, v17
	v_and_b32_e32 v23, 3, v17
	s_delay_alu instid0(VALU_DEP_2) | instskip(SKIP_1) | instid1(SALU_CYCLE_1)
	v_cmp_ne_u32_e32 vcc_lo, 0x7c, v19
                                        ; implicit-def: $vgpr19
	s_and_saveexec_b32 s41, vcc_lo
	s_xor_b32 s41, exec_lo, s41
	s_cbranch_execz .LBB4_7797
; %bb.7794:                             ;   in Loop: Header=BB4_7360 Depth=2
	v_bfe_u32 v17, v17, 2, 5
	s_mov_b32 s42, exec_lo
	s_delay_alu instid0(VALU_DEP_1)
	v_cmpx_eq_u32_e32 0, v17
	s_cbranch_execz .LBB4_7796
; %bb.7795:                             ;   in Loop: Header=BB4_7360 Depth=2
	v_clz_i32_u32_e32 v17, v23
	s_delay_alu instid0(VALU_DEP_1) | instskip(SKIP_1) | instid1(VALU_DEP_2)
	v_min_u32_e32 v17, 32, v17
	v_mov_b32_e32 v57, v53
	v_subrev_nc_u32_e32 v19, 29, v17
	v_sub_nc_u32_e32 v17, 30, v17
	s_delay_alu instid0(VALU_DEP_2) | instskip(NEXT) | instid1(VALU_DEP_1)
	v_lshlrev_b64_e32 v[60:61], v19, v[56:57]
	v_and_b32_e32 v23, 3, v60
.LBB4_7796:                             ;   in Loop: Header=BB4_7360 Depth=2
	s_or_b32 exec_lo, exec_lo, s42
	v_bfe_i32 v19, v56, 0, 16
                                        ; implicit-def: $vgpr56
	s_delay_alu instid0(VALU_DEP_1) | instskip(NEXT) | instid1(VALU_DEP_1)
	v_and_b32_e32 v19, 0x80000000, v19
	v_lshl_add_u32 v17, v17, 23, v19
	s_delay_alu instid0(VALU_DEP_1) | instskip(NEXT) | instid1(VALU_DEP_1)
	v_lshl_or_b32 v17, v23, 21, v17
                                        ; implicit-def: $vgpr23
	v_add_nc_u32_e32 v19, 0x38000000, v17
.LBB4_7797:                             ;   in Loop: Header=BB4_7360 Depth=2
	s_and_not1_saveexec_b32 s41, s41
; %bb.7798:                             ;   in Loop: Header=BB4_7360 Depth=2
	v_cmp_lt_i16_e32 vcc_lo, -1, v56
	v_cndmask_b32_e32 v17, 0xff800000, v109, vcc_lo
	v_cmp_eq_u32_e32 vcc_lo, 0, v23
	s_delay_alu instid0(VALU_DEP_2)
	v_cndmask_b32_e32 v19, 0x7f800001, v17, vcc_lo
; %bb.7799:                             ;   in Loop: Header=BB4_7360 Depth=2
	s_or_b32 exec_lo, exec_lo, s41
.LBB4_7800:                             ;   in Loop: Header=BB4_7360 Depth=2
	s_delay_alu instid0(SALU_CYCLE_1)
	s_or_b32 exec_lo, exec_lo, s7
.LBB4_7801:                             ;   in Loop: Header=BB4_7360 Depth=2
	s_delay_alu instid0(SALU_CYCLE_1) | instskip(NEXT) | instid1(SALU_CYCLE_1)
	s_or_b32 exec_lo, exec_lo, s14
	s_mov_b32 s7, exec_lo
	s_wait_loadcnt_dscnt 0x909
	v_cmpx_ne_u16_e32 0, v46
	s_cbranch_execz .LBB4_7811
; %bb.7802:                             ;   in Loop: Header=BB4_7360 Depth=2
	v_bfrev_b32_e32 v21, 1
	s_mov_b32 s14, exec_lo
	v_cmpx_ne_u16_e32 0xff80, v46
	s_cbranch_execz .LBB4_7810
; %bb.7803:                             ;   in Loop: Header=BB4_7360 Depth=2
	v_and_b32_e32 v21, 0x7c, v46
	v_and_b32_e32 v17, 3, v46
	s_delay_alu instid0(VALU_DEP_2) | instskip(SKIP_1) | instid1(SALU_CYCLE_1)
	v_cmp_ne_u32_e32 vcc_lo, 0x7c, v21
                                        ; implicit-def: $vgpr21
	s_and_saveexec_b32 s41, vcc_lo
	s_xor_b32 s41, exec_lo, s41
	s_cbranch_execz .LBB4_7807
; %bb.7804:                             ;   in Loop: Header=BB4_7360 Depth=2
	v_and_b32_e32 v21, 0xff, v46
	s_mov_b32 s42, exec_lo
	s_delay_alu instid0(VALU_DEP_1) | instskip(NEXT) | instid1(VALU_DEP_1)
	v_bfe_u32 v21, v21, 2, 5
	v_cmpx_eq_u32_e32 0, v21
; %bb.7805:                             ;   in Loop: Header=BB4_7360 Depth=2
	v_clz_i32_u32_e32 v17, v17
	s_delay_alu instid0(VALU_DEP_1) | instskip(SKIP_1) | instid1(VALU_DEP_2)
	v_min_u32_e32 v17, 32, v17
	v_mov_b32_e32 v47, v53
	v_subrev_nc_u32_e32 v21, 29, v17
	s_delay_alu instid0(VALU_DEP_1) | instskip(NEXT) | instid1(VALU_DEP_1)
	v_lshlrev_b64_e32 v[56:57], v21, v[46:47]
	v_dual_sub_nc_u32 v21, 30, v17 :: v_dual_bitop2_b32 v17, 3, v56 bitop3:0x40
; %bb.7806:                             ;   in Loop: Header=BB4_7360 Depth=2
	s_or_b32 exec_lo, exec_lo, s42
	v_bfe_i32 v23, v46, 0, 16
                                        ; implicit-def: $vgpr46
	s_delay_alu instid0(VALU_DEP_1) | instskip(NEXT) | instid1(VALU_DEP_1)
	v_and_b32_e32 v23, 0x80000000, v23
	v_lshl_add_u32 v21, v21, 23, v23
	s_delay_alu instid0(VALU_DEP_1) | instskip(NEXT) | instid1(VALU_DEP_1)
	v_lshl_or_b32 v17, v17, 21, v21
	v_add_nc_u32_e32 v21, 0x38000000, v17
                                        ; implicit-def: $vgpr17
.LBB4_7807:                             ;   in Loop: Header=BB4_7360 Depth=2
	s_and_not1_saveexec_b32 s41, s41
; %bb.7808:                             ;   in Loop: Header=BB4_7360 Depth=2
	v_cmp_lt_i16_e32 vcc_lo, -1, v46
	v_cndmask_b32_e32 v21, 0xff800000, v109, vcc_lo
	v_cmp_eq_u32_e32 vcc_lo, 0, v17
	s_delay_alu instid0(VALU_DEP_2)
	v_cndmask_b32_e32 v21, 0x7f800001, v21, vcc_lo
; %bb.7809:                             ;   in Loop: Header=BB4_7360 Depth=2
	s_or_b32 exec_lo, exec_lo, s41
.LBB4_7810:                             ;   in Loop: Header=BB4_7360 Depth=2
	s_delay_alu instid0(SALU_CYCLE_1)
	s_or_b32 exec_lo, exec_lo, s14
.LBB4_7811:                             ;   in Loop: Header=BB4_7360 Depth=2
	s_delay_alu instid0(SALU_CYCLE_1) | instskip(NEXT) | instid1(VALU_DEP_1)
	s_or_b32 exec_lo, exec_lo, s7
	v_dual_max_num_f32 v17, v21, v21 :: v_dual_max_num_f32 v19, v19, v19
	s_delay_alu instid0(VALU_DEP_1)
	v_min_num_f32_e32 v19, v19, v17
.LBB4_7812:                             ;   in Loop: Header=BB4_7360 Depth=2
	s_wait_loadcnt_dscnt 0x909
	s_delay_alu instid0(VALU_DEP_1) | instskip(SKIP_2) | instid1(VALU_DEP_2)
	v_and_b32_e32 v46, 0x7f800000, v19
	v_mov_b32_e32 v47, v53
	v_and_b32_e32 v52, 0x7fffff, v19
	v_cmp_ne_u64_e32 vcc_lo, 0x7f800000, v[46:47]
                                        ; implicit-def: $vgpr47
	s_and_saveexec_b32 s7, vcc_lo
	s_delay_alu instid0(SALU_CYCLE_1)
	s_xor_b32 s14, exec_lo, s7
	s_cbranch_execz .LBB4_7830
; %bb.7813:                             ;   in Loop: Header=BB4_7360 Depth=2
	v_and_b32_e32 v46, 0x7fffffff, v19
	v_dual_mov_b32 v47, v53 :: v_dual_lshrrev_b32 v17, 24, v19
	s_delay_alu instid0(VALU_DEP_1) | instskip(NEXT) | instid1(VALU_DEP_2)
	v_cmp_gt_u64_e32 vcc_lo, 0x47600001, v[46:47]
	v_and_b32_e32 v17, 0x80, v17
                                        ; implicit-def: $vgpr47
	s_and_saveexec_b32 s7, vcc_lo
	s_delay_alu instid0(SALU_CYCLE_1)
	s_xor_b32 s41, exec_lo, s7
	s_cbranch_execz .LBB4_7827
; %bb.7814:                             ;   in Loop: Header=BB4_7360 Depth=2
	v_mov_b32_e32 v47, 0
	s_mov_b32 s42, exec_lo
	v_cmpx_ne_u32_e32 0, v19
	s_cbranch_execz .LBB4_7826
; %bb.7815:                             ;   in Loop: Header=BB4_7360 Depth=2
	v_bfe_u32 v19, v19, 23, 8
	v_or_b32_e32 v25, 0x800000, v52
	s_delay_alu instid0(VALU_DEP_2) | instskip(SKIP_1) | instid1(VALU_DEP_2)
	v_sub_nc_u32_e32 v21, 0x71, v19
	v_cmp_gt_u32_e32 vcc_lo, 0x72, v19
	v_cndmask_b32_e32 v21, 0, v21, vcc_lo
	v_cmp_eq_u32_e32 vcc_lo, 0, v19
	s_delay_alu instid0(VALU_DEP_2) | instskip(NEXT) | instid1(VALU_DEP_1)
	v_cndmask_b32_e64 v21, v21, 0x70, vcc_lo
	v_dual_cndmask_b32 v52, v25, v52 :: v_dual_add_nc_u32 v23, 21, v21
	s_delay_alu instid0(VALU_DEP_1) | instskip(SKIP_1) | instid1(VALU_DEP_1)
	v_lshlrev_b64_e64 v[46:47], v23, -1
	v_add_nc_u32_e32 v23, 20, v21
	v_lshlrev_b64_e64 v[56:57], v23, 1
	s_delay_alu instid0(VALU_DEP_3) | instskip(NEXT) | instid1(VALU_DEP_4)
	v_bfi_b32 v61, v47, 0, 0
	v_bfi_b32 v60, v46, 0, v52
	v_lshrrev_b64 v[46:47], v21, v[52:53]
	s_delay_alu instid0(VALU_DEP_2) | instskip(NEXT) | instid1(VALU_DEP_2)
	v_cmp_eq_u64_e64 s7, v[60:61], v[56:57]
	v_mov_b64_e32 v[56:57], v[46:47]
	s_and_saveexec_b32 s43, s7
; %bb.7816:                             ;   in Loop: Header=BB4_7360 Depth=2
	v_bfe_u32 v52, v46, 21, 1
	s_delay_alu instid0(VALU_DEP_1) | instskip(NEXT) | instid1(VALU_DEP_1)
	v_add_nc_u64_e32 v[56:57], v[46:47], v[52:53]
	v_add_nc_u64_e32 v[56:57], -1, v[56:57]
; %bb.7817:                             ;   in Loop: Header=BB4_7360 Depth=2
	s_or_b32 exec_lo, exec_lo, s43
	v_add_nc_u32_e32 v19, 0xffffff81, v19
	v_lshrrev_b32_e32 v23, 23, v46
	s_mov_b32 s7, exec_lo
	s_delay_alu instid0(VALU_DEP_2) | instskip(NEXT) | instid1(VALU_DEP_1)
	v_cndmask_b32_e64 v19, v19, 0xffffff82, vcc_lo
	v_add3_u32 v21, v21, v19, v23
	v_and_b32_e32 v19, 0x1fffff, v56
	s_delay_alu instid0(VALU_DEP_1) | instskip(NEXT) | instid1(VALU_DEP_1)
	v_dual_add_nc_u32 v23, 14, v21 :: v_dual_add_nc_u32 v52, v19, v46
                                        ; implicit-def: $vgpr46_vgpr47
                                        ; implicit-def: $vgpr19
	v_cmpx_ne_u32_e32 0, v23
	s_xor_b32 s7, exec_lo, s7
; %bb.7818:                             ;   in Loop: Header=BB4_7360 Depth=2
	s_delay_alu instid0(VALU_DEP_2) | instskip(SKIP_2) | instid1(VALU_DEP_2)
	v_cmp_lt_u64_e32 vcc_lo, 0xffffff, v[52:53]
	v_add_nc_u32_e32 v19, 15, v21
	v_cndmask_b32_e64 v21, 0, 1, vcc_lo
	v_cndmask_b32_e32 v19, v23, v19, vcc_lo
	s_delay_alu instid0(VALU_DEP_2)
	v_lshrrev_b64 v[46:47], v21, v[52:53]
; %bb.7819:                             ;   in Loop: Header=BB4_7360 Depth=2
	s_and_not1_saveexec_b32 s7, s7
; %bb.7820:                             ;   in Loop: Header=BB4_7360 Depth=2
	v_mov_b64_e32 v[46:47], v[52:53]
	v_bfe_u32 v19, v52, 23, 1
; %bb.7821:                             ;   in Loop: Header=BB4_7360 Depth=2
	s_or_b32 exec_lo, exec_lo, s7
	s_delay_alu instid0(VALU_DEP_2) | instskip(NEXT) | instid1(VALU_DEP_2)
	v_lshrrev_b64 v[46:47], 21, v[46:47]
	v_cmp_gt_i32_e32 vcc_lo, 32, v19
	v_cmp_ne_u32_e64 s7, 0, v19
	s_delay_alu instid0(VALU_DEP_3) | instskip(NEXT) | instid1(VALU_DEP_1)
	v_dual_cndmask_b32 v47, 0, v47 :: v_dual_cndmask_b32 v46, 3, v46
	v_cmp_ne_u64_e32 vcc_lo, 0, v[46:47]
                                        ; implicit-def: $vgpr47
	s_or_b32 s7, s7, vcc_lo
	s_delay_alu instid0(SALU_CYCLE_1) | instskip(NEXT) | instid1(SALU_CYCLE_1)
	s_and_saveexec_b32 s43, s7
	s_xor_b32 s7, exec_lo, s43
; %bb.7822:                             ;   in Loop: Header=BB4_7360 Depth=2
	v_min_i32_e32 v19, 31, v19
	s_delay_alu instid0(VALU_DEP_1) | instskip(NEXT) | instid1(VALU_DEP_1)
	v_lshl_or_b32 v17, v19, 2, v17
	v_and_or_b32 v47, v46, 3, v17
                                        ; implicit-def: $vgpr17
; %bb.7823:                             ;   in Loop: Header=BB4_7360 Depth=2
	s_and_not1_saveexec_b32 s7, s7
; %bb.7824:                             ;   in Loop: Header=BB4_7360 Depth=2
	v_mov_b32_e32 v47, v17
; %bb.7825:                             ;   in Loop: Header=BB4_7360 Depth=2
	s_or_b32 exec_lo, exec_lo, s7
.LBB4_7826:                             ;   in Loop: Header=BB4_7360 Depth=2
	s_delay_alu instid0(SALU_CYCLE_1)
	s_or_b32 exec_lo, exec_lo, s42
                                        ; implicit-def: $vgpr17
.LBB4_7827:                             ;   in Loop: Header=BB4_7360 Depth=2
	s_and_not1_saveexec_b32 s7, s41
; %bb.7828:                             ;   in Loop: Header=BB4_7360 Depth=2
	v_or_b32_e32 v47, 0x7b, v17
; %bb.7829:                             ;   in Loop: Header=BB4_7360 Depth=2
	s_or_b32 exec_lo, exec_lo, s7
                                        ; implicit-def: $vgpr19
.LBB4_7830:                             ;   in Loop: Header=BB4_7360 Depth=2
	s_and_not1_saveexec_b32 s7, s14
	s_cbranch_execz .LBB4_7836
; %bb.7831:                             ;   in Loop: Header=BB4_7360 Depth=2
	s_mov_b32 s14, exec_lo
                                        ; implicit-def: $vgpr47
	v_cmpx_ne_u64_e32 0, v[52:53]
	s_xor_b32 s14, exec_lo, s14
; %bb.7832:                             ;   in Loop: Header=BB4_7360 Depth=2
	v_lshrrev_b32_e32 v17, 24, v19
                                        ; implicit-def: $vgpr19
	s_delay_alu instid0(VALU_DEP_1)
	v_or_b32_e32 v47, 0x7f, v17
; %bb.7833:                             ;   in Loop: Header=BB4_7360 Depth=2
	s_and_not1_saveexec_b32 s14, s14
; %bb.7834:                             ;   in Loop: Header=BB4_7360 Depth=2
	v_cmp_lt_i32_e32 vcc_lo, -1, v19
	v_cndmask_b32_e64 v47, -4, 0x7c, vcc_lo
; %bb.7835:                             ;   in Loop: Header=BB4_7360 Depth=2
	s_or_b32 exec_lo, exec_lo, s14
.LBB4_7836:                             ;   in Loop: Header=BB4_7360 Depth=2
	s_delay_alu instid0(SALU_CYCLE_1)
	s_or_b32 exec_lo, exec_lo, s7
	v_and_b32_e32 v17, 0xff, v44
	v_cmp_ne_u16_e64 s7, 0, v44
	s_and_not1_b32 vcc_lo, exec_lo, s13
	s_mov_b32 s14, -1
                                        ; implicit-def: $vgpr19
	s_cbranch_vccnz .LBB4_7858
; %bb.7837:                             ;   in Loop: Header=BB4_7360 Depth=2
	v_dual_mov_b32 v21, 0 :: v_dual_mov_b32 v19, 0
	s_and_saveexec_b32 s14, s7
	s_cbranch_execz .LBB4_7847
; %bb.7838:                             ;   in Loop: Header=BB4_7360 Depth=2
	v_bfrev_b32_e32 v19, 1
	s_mov_b32 s41, exec_lo
	v_cmpx_ne_u16_e32 0xff80, v44
	s_cbranch_execz .LBB4_7846
; %bb.7839:                             ;   in Loop: Header=BB4_7360 Depth=2
	v_and_b32_e32 v19, 0x7c, v17
	v_and_b32_e32 v23, 3, v17
	s_delay_alu instid0(VALU_DEP_2) | instskip(SKIP_1) | instid1(SALU_CYCLE_1)
	v_cmp_ne_u32_e32 vcc_lo, 0x7c, v19
                                        ; implicit-def: $vgpr19
	s_and_saveexec_b32 s42, vcc_lo
	s_xor_b32 s42, exec_lo, s42
	s_cbranch_execz .LBB4_7843
; %bb.7840:                             ;   in Loop: Header=BB4_7360 Depth=2
	v_bfe_u32 v19, v17, 2, 5
	s_mov_b32 s43, exec_lo
	s_delay_alu instid0(VALU_DEP_1)
	v_cmpx_eq_u32_e32 0, v19
	s_cbranch_execz .LBB4_7842
; %bb.7841:                             ;   in Loop: Header=BB4_7360 Depth=2
	v_clz_i32_u32_e32 v19, v23
	s_delay_alu instid0(VALU_DEP_1) | instskip(SKIP_1) | instid1(VALU_DEP_2)
	v_min_u32_e32 v19, 32, v19
	v_mov_b32_e32 v45, v53
	v_subrev_nc_u32_e32 v23, 29, v19
	v_sub_nc_u32_e32 v19, 30, v19
	s_delay_alu instid0(VALU_DEP_2) | instskip(NEXT) | instid1(VALU_DEP_1)
	v_lshlrev_b64_e32 v[56:57], v23, v[44:45]
	v_and_b32_e32 v23, 3, v56
.LBB4_7842:                             ;   in Loop: Header=BB4_7360 Depth=2
	s_or_b32 exec_lo, exec_lo, s43
	v_bfe_i32 v25, v44, 0, 16
	s_delay_alu instid0(VALU_DEP_1) | instskip(NEXT) | instid1(VALU_DEP_1)
	v_and_b32_e32 v25, 0x80000000, v25
	v_lshl_add_u32 v19, v19, 23, v25
	s_delay_alu instid0(VALU_DEP_1) | instskip(NEXT) | instid1(VALU_DEP_1)
	v_lshl_or_b32 v19, v23, 21, v19
                                        ; implicit-def: $vgpr23
	v_add_nc_u32_e32 v19, 0x38000000, v19
.LBB4_7843:                             ;   in Loop: Header=BB4_7360 Depth=2
	s_and_not1_saveexec_b32 s42, s42
; %bb.7844:                             ;   in Loop: Header=BB4_7360 Depth=2
	v_cmp_lt_i16_e32 vcc_lo, -1, v44
	v_cndmask_b32_e32 v19, 0xff800000, v109, vcc_lo
	v_cmp_eq_u32_e32 vcc_lo, 0, v23
	s_delay_alu instid0(VALU_DEP_2)
	v_cndmask_b32_e32 v19, 0x7f800001, v19, vcc_lo
; %bb.7845:                             ;   in Loop: Header=BB4_7360 Depth=2
	s_or_b32 exec_lo, exec_lo, s42
.LBB4_7846:                             ;   in Loop: Header=BB4_7360 Depth=2
	s_delay_alu instid0(SALU_CYCLE_1)
	s_or_b32 exec_lo, exec_lo, s41
.LBB4_7847:                             ;   in Loop: Header=BB4_7360 Depth=2
	s_delay_alu instid0(SALU_CYCLE_1) | instskip(NEXT) | instid1(SALU_CYCLE_1)
	s_or_b32 exec_lo, exec_lo, s14
	s_mov_b32 s14, exec_lo
	s_wait_loadcnt_dscnt 0x808
	v_cmpx_ne_u16_e32 0, v42
	s_cbranch_execz .LBB4_7857
; %bb.7848:                             ;   in Loop: Header=BB4_7360 Depth=2
	v_bfrev_b32_e32 v21, 1
	s_mov_b32 s41, exec_lo
	v_cmpx_ne_u16_e32 0xff80, v42
	s_cbranch_execz .LBB4_7856
; %bb.7849:                             ;   in Loop: Header=BB4_7360 Depth=2
	v_and_b32_e32 v21, 0x7c, v42
	v_and_b32_e32 v23, 3, v42
	s_delay_alu instid0(VALU_DEP_2) | instskip(SKIP_1) | instid1(SALU_CYCLE_1)
	v_cmp_ne_u32_e32 vcc_lo, 0x7c, v21
                                        ; implicit-def: $vgpr21
	s_and_saveexec_b32 s42, vcc_lo
	s_xor_b32 s42, exec_lo, s42
	s_cbranch_execz .LBB4_7853
; %bb.7850:                             ;   in Loop: Header=BB4_7360 Depth=2
	v_and_b32_e32 v21, 0xff, v42
	s_mov_b32 s43, exec_lo
	s_delay_alu instid0(VALU_DEP_1) | instskip(NEXT) | instid1(VALU_DEP_1)
	v_bfe_u32 v21, v21, 2, 5
	v_cmpx_eq_u32_e32 0, v21
	s_cbranch_execz .LBB4_7852
; %bb.7851:                             ;   in Loop: Header=BB4_7360 Depth=2
	v_clz_i32_u32_e32 v21, v23
	s_delay_alu instid0(VALU_DEP_1) | instskip(SKIP_1) | instid1(VALU_DEP_2)
	v_min_u32_e32 v21, 32, v21
	v_mov_b32_e32 v43, v53
	v_subrev_nc_u32_e32 v23, 29, v21
	v_sub_nc_u32_e32 v21, 30, v21
	s_delay_alu instid0(VALU_DEP_2) | instskip(NEXT) | instid1(VALU_DEP_1)
	v_lshlrev_b64_e32 v[56:57], v23, v[42:43]
	v_and_b32_e32 v23, 3, v56
.LBB4_7852:                             ;   in Loop: Header=BB4_7360 Depth=2
	s_or_b32 exec_lo, exec_lo, s43
	v_bfe_i32 v25, v42, 0, 16
	s_delay_alu instid0(VALU_DEP_1) | instskip(NEXT) | instid1(VALU_DEP_1)
	v_and_b32_e32 v25, 0x80000000, v25
	v_lshl_add_u32 v21, v21, 23, v25
	s_delay_alu instid0(VALU_DEP_1) | instskip(NEXT) | instid1(VALU_DEP_1)
	v_lshl_or_b32 v21, v23, 21, v21
                                        ; implicit-def: $vgpr23
	v_add_nc_u32_e32 v21, 0x38000000, v21
.LBB4_7853:                             ;   in Loop: Header=BB4_7360 Depth=2
	s_and_not1_saveexec_b32 s42, s42
; %bb.7854:                             ;   in Loop: Header=BB4_7360 Depth=2
	v_cmp_lt_i16_e32 vcc_lo, -1, v42
	v_cndmask_b32_e32 v21, 0xff800000, v109, vcc_lo
	v_cmp_eq_u32_e32 vcc_lo, 0, v23
	s_delay_alu instid0(VALU_DEP_2)
	v_cndmask_b32_e32 v21, 0x7f800001, v21, vcc_lo
; %bb.7855:                             ;   in Loop: Header=BB4_7360 Depth=2
	s_or_b32 exec_lo, exec_lo, s42
.LBB4_7856:                             ;   in Loop: Header=BB4_7360 Depth=2
	s_delay_alu instid0(SALU_CYCLE_1)
	s_or_b32 exec_lo, exec_lo, s41
.LBB4_7857:                             ;   in Loop: Header=BB4_7360 Depth=2
	s_delay_alu instid0(SALU_CYCLE_1) | instskip(NEXT) | instid1(VALU_DEP_1)
	s_or_b32 exec_lo, exec_lo, s14
	v_dual_max_num_f32 v21, v21, v21 :: v_dual_max_num_f32 v19, v19, v19
	s_mov_b32 s14, 0
	s_delay_alu instid0(VALU_DEP_1)
	v_max_num_f32_e32 v19, v19, v21
.LBB4_7858:                             ;   in Loop: Header=BB4_7360 Depth=2
	s_and_b32 vcc_lo, exec_lo, s14
	s_cbranch_vccz .LBB4_7880
; %bb.7859:                             ;   in Loop: Header=BB4_7360 Depth=2
	v_dual_mov_b32 v21, 0 :: v_dual_mov_b32 v19, 0
	s_and_saveexec_b32 s14, s7
	s_cbranch_execz .LBB4_7869
; %bb.7860:                             ;   in Loop: Header=BB4_7360 Depth=2
	v_bfrev_b32_e32 v19, 1
	s_mov_b32 s7, exec_lo
	v_cmpx_ne_u16_e32 0xff80, v44
	s_cbranch_execz .LBB4_7868
; %bb.7861:                             ;   in Loop: Header=BB4_7360 Depth=2
	v_and_b32_e32 v19, 0x7c, v17
	v_and_b32_e32 v23, 3, v17
	s_delay_alu instid0(VALU_DEP_2) | instskip(SKIP_1) | instid1(SALU_CYCLE_1)
	v_cmp_ne_u32_e32 vcc_lo, 0x7c, v19
                                        ; implicit-def: $vgpr19
	s_and_saveexec_b32 s41, vcc_lo
	s_xor_b32 s41, exec_lo, s41
	s_cbranch_execz .LBB4_7865
; %bb.7862:                             ;   in Loop: Header=BB4_7360 Depth=2
	v_bfe_u32 v17, v17, 2, 5
	s_mov_b32 s42, exec_lo
	s_delay_alu instid0(VALU_DEP_1)
	v_cmpx_eq_u32_e32 0, v17
	s_cbranch_execz .LBB4_7864
; %bb.7863:                             ;   in Loop: Header=BB4_7360 Depth=2
	v_clz_i32_u32_e32 v17, v23
	s_delay_alu instid0(VALU_DEP_1) | instskip(SKIP_1) | instid1(VALU_DEP_2)
	v_min_u32_e32 v17, 32, v17
	v_mov_b32_e32 v45, v53
	v_subrev_nc_u32_e32 v19, 29, v17
	v_sub_nc_u32_e32 v17, 30, v17
	s_delay_alu instid0(VALU_DEP_2) | instskip(NEXT) | instid1(VALU_DEP_1)
	v_lshlrev_b64_e32 v[56:57], v19, v[44:45]
	v_and_b32_e32 v23, 3, v56
.LBB4_7864:                             ;   in Loop: Header=BB4_7360 Depth=2
	s_or_b32 exec_lo, exec_lo, s42
	v_bfe_i32 v19, v44, 0, 16
                                        ; implicit-def: $vgpr44
	s_delay_alu instid0(VALU_DEP_1) | instskip(NEXT) | instid1(VALU_DEP_1)
	v_and_b32_e32 v19, 0x80000000, v19
	v_lshl_add_u32 v17, v17, 23, v19
	s_delay_alu instid0(VALU_DEP_1) | instskip(NEXT) | instid1(VALU_DEP_1)
	v_lshl_or_b32 v17, v23, 21, v17
                                        ; implicit-def: $vgpr23
	v_add_nc_u32_e32 v19, 0x38000000, v17
.LBB4_7865:                             ;   in Loop: Header=BB4_7360 Depth=2
	s_and_not1_saveexec_b32 s41, s41
; %bb.7866:                             ;   in Loop: Header=BB4_7360 Depth=2
	v_cmp_lt_i16_e32 vcc_lo, -1, v44
	v_cndmask_b32_e32 v17, 0xff800000, v109, vcc_lo
	v_cmp_eq_u32_e32 vcc_lo, 0, v23
	s_delay_alu instid0(VALU_DEP_2)
	v_cndmask_b32_e32 v19, 0x7f800001, v17, vcc_lo
; %bb.7867:                             ;   in Loop: Header=BB4_7360 Depth=2
	s_or_b32 exec_lo, exec_lo, s41
.LBB4_7868:                             ;   in Loop: Header=BB4_7360 Depth=2
	s_delay_alu instid0(SALU_CYCLE_1)
	s_or_b32 exec_lo, exec_lo, s7
.LBB4_7869:                             ;   in Loop: Header=BB4_7360 Depth=2
	s_delay_alu instid0(SALU_CYCLE_1) | instskip(NEXT) | instid1(SALU_CYCLE_1)
	s_or_b32 exec_lo, exec_lo, s14
	s_mov_b32 s7, exec_lo
	s_wait_loadcnt_dscnt 0x808
	v_cmpx_ne_u16_e32 0, v42
	s_cbranch_execz .LBB4_7879
; %bb.7870:                             ;   in Loop: Header=BB4_7360 Depth=2
	v_bfrev_b32_e32 v21, 1
	s_mov_b32 s14, exec_lo
	v_cmpx_ne_u16_e32 0xff80, v42
	s_cbranch_execz .LBB4_7878
; %bb.7871:                             ;   in Loop: Header=BB4_7360 Depth=2
	v_and_b32_e32 v21, 0x7c, v42
	v_and_b32_e32 v17, 3, v42
	s_delay_alu instid0(VALU_DEP_2) | instskip(SKIP_1) | instid1(SALU_CYCLE_1)
	v_cmp_ne_u32_e32 vcc_lo, 0x7c, v21
                                        ; implicit-def: $vgpr21
	s_and_saveexec_b32 s41, vcc_lo
	s_xor_b32 s41, exec_lo, s41
	s_cbranch_execz .LBB4_7875
; %bb.7872:                             ;   in Loop: Header=BB4_7360 Depth=2
	v_and_b32_e32 v21, 0xff, v42
	s_mov_b32 s42, exec_lo
	s_delay_alu instid0(VALU_DEP_1) | instskip(NEXT) | instid1(VALU_DEP_1)
	v_bfe_u32 v21, v21, 2, 5
	v_cmpx_eq_u32_e32 0, v21
; %bb.7873:                             ;   in Loop: Header=BB4_7360 Depth=2
	v_clz_i32_u32_e32 v17, v17
	s_delay_alu instid0(VALU_DEP_1) | instskip(SKIP_1) | instid1(VALU_DEP_2)
	v_min_u32_e32 v17, 32, v17
	v_mov_b32_e32 v43, v53
	v_subrev_nc_u32_e32 v21, 29, v17
	s_delay_alu instid0(VALU_DEP_1) | instskip(NEXT) | instid1(VALU_DEP_1)
	v_lshlrev_b64_e32 v[44:45], v21, v[42:43]
	v_dual_sub_nc_u32 v21, 30, v17 :: v_dual_bitop2_b32 v17, 3, v44 bitop3:0x40
; %bb.7874:                             ;   in Loop: Header=BB4_7360 Depth=2
	s_or_b32 exec_lo, exec_lo, s42
	v_bfe_i32 v23, v42, 0, 16
                                        ; implicit-def: $vgpr42
	s_delay_alu instid0(VALU_DEP_1) | instskip(NEXT) | instid1(VALU_DEP_1)
	v_and_b32_e32 v23, 0x80000000, v23
	v_lshl_add_u32 v21, v21, 23, v23
	s_delay_alu instid0(VALU_DEP_1) | instskip(NEXT) | instid1(VALU_DEP_1)
	v_lshl_or_b32 v17, v17, 21, v21
	v_add_nc_u32_e32 v21, 0x38000000, v17
                                        ; implicit-def: $vgpr17
.LBB4_7875:                             ;   in Loop: Header=BB4_7360 Depth=2
	s_and_not1_saveexec_b32 s41, s41
; %bb.7876:                             ;   in Loop: Header=BB4_7360 Depth=2
	v_cmp_lt_i16_e32 vcc_lo, -1, v42
	v_cndmask_b32_e32 v21, 0xff800000, v109, vcc_lo
	v_cmp_eq_u32_e32 vcc_lo, 0, v17
	s_delay_alu instid0(VALU_DEP_2)
	v_cndmask_b32_e32 v21, 0x7f800001, v21, vcc_lo
; %bb.7877:                             ;   in Loop: Header=BB4_7360 Depth=2
	s_or_b32 exec_lo, exec_lo, s41
.LBB4_7878:                             ;   in Loop: Header=BB4_7360 Depth=2
	s_delay_alu instid0(SALU_CYCLE_1)
	s_or_b32 exec_lo, exec_lo, s14
.LBB4_7879:                             ;   in Loop: Header=BB4_7360 Depth=2
	s_delay_alu instid0(SALU_CYCLE_1) | instskip(NEXT) | instid1(VALU_DEP_1)
	s_or_b32 exec_lo, exec_lo, s7
	v_dual_max_num_f32 v17, v21, v21 :: v_dual_max_num_f32 v19, v19, v19
	s_delay_alu instid0(VALU_DEP_1)
	v_min_num_f32_e32 v19, v19, v17
.LBB4_7880:                             ;   in Loop: Header=BB4_7360 Depth=2
	s_wait_loadcnt_dscnt 0x808
	s_delay_alu instid0(VALU_DEP_1) | instskip(SKIP_2) | instid1(VALU_DEP_2)
	v_and_b32_e32 v42, 0x7f800000, v19
	v_mov_b32_e32 v43, v53
	v_and_b32_e32 v52, 0x7fffff, v19
	v_cmp_ne_u64_e32 vcc_lo, 0x7f800000, v[42:43]
                                        ; implicit-def: $vgpr43
	s_and_saveexec_b32 s7, vcc_lo
	s_delay_alu instid0(SALU_CYCLE_1)
	s_xor_b32 s14, exec_lo, s7
	s_cbranch_execz .LBB4_7898
; %bb.7881:                             ;   in Loop: Header=BB4_7360 Depth=2
	v_and_b32_e32 v42, 0x7fffffff, v19
	v_dual_mov_b32 v43, v53 :: v_dual_lshrrev_b32 v17, 24, v19
	s_delay_alu instid0(VALU_DEP_1) | instskip(NEXT) | instid1(VALU_DEP_2)
	v_cmp_gt_u64_e32 vcc_lo, 0x47600001, v[42:43]
	v_and_b32_e32 v17, 0x80, v17
                                        ; implicit-def: $vgpr43
	s_and_saveexec_b32 s7, vcc_lo
	s_delay_alu instid0(SALU_CYCLE_1)
	s_xor_b32 s41, exec_lo, s7
	s_cbranch_execz .LBB4_7895
; %bb.7882:                             ;   in Loop: Header=BB4_7360 Depth=2
	v_mov_b32_e32 v43, 0
	s_mov_b32 s42, exec_lo
	v_cmpx_ne_u32_e32 0, v19
	s_cbranch_execz .LBB4_7894
; %bb.7883:                             ;   in Loop: Header=BB4_7360 Depth=2
	v_bfe_u32 v19, v19, 23, 8
	v_or_b32_e32 v25, 0x800000, v52
	s_delay_alu instid0(VALU_DEP_2) | instskip(SKIP_1) | instid1(VALU_DEP_2)
	v_sub_nc_u32_e32 v21, 0x71, v19
	v_cmp_gt_u32_e32 vcc_lo, 0x72, v19
	v_cndmask_b32_e32 v21, 0, v21, vcc_lo
	v_cmp_eq_u32_e32 vcc_lo, 0, v19
	s_delay_alu instid0(VALU_DEP_2) | instskip(NEXT) | instid1(VALU_DEP_1)
	v_cndmask_b32_e64 v21, v21, 0x70, vcc_lo
	v_dual_cndmask_b32 v52, v25, v52 :: v_dual_add_nc_u32 v23, 21, v21
	s_delay_alu instid0(VALU_DEP_1) | instskip(SKIP_1) | instid1(VALU_DEP_1)
	v_lshlrev_b64_e64 v[42:43], v23, -1
	v_add_nc_u32_e32 v23, 20, v21
	v_lshlrev_b64_e64 v[44:45], v23, 1
	s_delay_alu instid0(VALU_DEP_3) | instskip(NEXT) | instid1(VALU_DEP_4)
	v_bfi_b32 v57, v43, 0, 0
	v_bfi_b32 v56, v42, 0, v52
	v_lshrrev_b64 v[42:43], v21, v[52:53]
	s_delay_alu instid0(VALU_DEP_2) | instskip(NEXT) | instid1(VALU_DEP_2)
	v_cmp_eq_u64_e64 s7, v[56:57], v[44:45]
	v_mov_b64_e32 v[44:45], v[42:43]
	s_and_saveexec_b32 s43, s7
; %bb.7884:                             ;   in Loop: Header=BB4_7360 Depth=2
	v_bfe_u32 v52, v42, 21, 1
	s_delay_alu instid0(VALU_DEP_1) | instskip(NEXT) | instid1(VALU_DEP_1)
	v_add_nc_u64_e32 v[44:45], v[42:43], v[52:53]
	v_add_nc_u64_e32 v[44:45], -1, v[44:45]
; %bb.7885:                             ;   in Loop: Header=BB4_7360 Depth=2
	s_or_b32 exec_lo, exec_lo, s43
	v_add_nc_u32_e32 v19, 0xffffff81, v19
	v_lshrrev_b32_e32 v23, 23, v42
	s_mov_b32 s7, exec_lo
	s_delay_alu instid0(VALU_DEP_2) | instskip(NEXT) | instid1(VALU_DEP_1)
	v_cndmask_b32_e64 v19, v19, 0xffffff82, vcc_lo
	v_add3_u32 v21, v21, v19, v23
	v_and_b32_e32 v19, 0x1fffff, v44
	s_delay_alu instid0(VALU_DEP_1) | instskip(NEXT) | instid1(VALU_DEP_1)
	v_dual_add_nc_u32 v23, 14, v21 :: v_dual_add_nc_u32 v52, v19, v42
                                        ; implicit-def: $vgpr42_vgpr43
                                        ; implicit-def: $vgpr19
	v_cmpx_ne_u32_e32 0, v23
	s_xor_b32 s7, exec_lo, s7
; %bb.7886:                             ;   in Loop: Header=BB4_7360 Depth=2
	s_delay_alu instid0(VALU_DEP_2) | instskip(SKIP_2) | instid1(VALU_DEP_2)
	v_cmp_lt_u64_e32 vcc_lo, 0xffffff, v[52:53]
	v_add_nc_u32_e32 v19, 15, v21
	v_cndmask_b32_e64 v21, 0, 1, vcc_lo
	v_cndmask_b32_e32 v19, v23, v19, vcc_lo
	s_delay_alu instid0(VALU_DEP_2)
	v_lshrrev_b64 v[42:43], v21, v[52:53]
; %bb.7887:                             ;   in Loop: Header=BB4_7360 Depth=2
	s_and_not1_saveexec_b32 s7, s7
; %bb.7888:                             ;   in Loop: Header=BB4_7360 Depth=2
	v_mov_b64_e32 v[42:43], v[52:53]
	v_bfe_u32 v19, v52, 23, 1
; %bb.7889:                             ;   in Loop: Header=BB4_7360 Depth=2
	s_or_b32 exec_lo, exec_lo, s7
	s_delay_alu instid0(VALU_DEP_2) | instskip(NEXT) | instid1(VALU_DEP_2)
	v_lshrrev_b64 v[42:43], 21, v[42:43]
	v_cmp_gt_i32_e32 vcc_lo, 32, v19
	v_cmp_ne_u32_e64 s7, 0, v19
	s_delay_alu instid0(VALU_DEP_3) | instskip(NEXT) | instid1(VALU_DEP_1)
	v_dual_cndmask_b32 v43, 0, v43 :: v_dual_cndmask_b32 v42, 3, v42
	v_cmp_ne_u64_e32 vcc_lo, 0, v[42:43]
                                        ; implicit-def: $vgpr43
	s_or_b32 s7, s7, vcc_lo
	s_delay_alu instid0(SALU_CYCLE_1) | instskip(NEXT) | instid1(SALU_CYCLE_1)
	s_and_saveexec_b32 s43, s7
	s_xor_b32 s7, exec_lo, s43
; %bb.7890:                             ;   in Loop: Header=BB4_7360 Depth=2
	v_min_i32_e32 v19, 31, v19
	s_delay_alu instid0(VALU_DEP_1) | instskip(NEXT) | instid1(VALU_DEP_1)
	v_lshl_or_b32 v17, v19, 2, v17
	v_and_or_b32 v43, v42, 3, v17
                                        ; implicit-def: $vgpr17
; %bb.7891:                             ;   in Loop: Header=BB4_7360 Depth=2
	s_and_not1_saveexec_b32 s7, s7
; %bb.7892:                             ;   in Loop: Header=BB4_7360 Depth=2
	v_mov_b32_e32 v43, v17
; %bb.7893:                             ;   in Loop: Header=BB4_7360 Depth=2
	s_or_b32 exec_lo, exec_lo, s7
.LBB4_7894:                             ;   in Loop: Header=BB4_7360 Depth=2
	s_delay_alu instid0(SALU_CYCLE_1)
	s_or_b32 exec_lo, exec_lo, s42
                                        ; implicit-def: $vgpr17
.LBB4_7895:                             ;   in Loop: Header=BB4_7360 Depth=2
	s_and_not1_saveexec_b32 s7, s41
; %bb.7896:                             ;   in Loop: Header=BB4_7360 Depth=2
	v_or_b32_e32 v43, 0x7b, v17
; %bb.7897:                             ;   in Loop: Header=BB4_7360 Depth=2
	s_or_b32 exec_lo, exec_lo, s7
                                        ; implicit-def: $vgpr19
.LBB4_7898:                             ;   in Loop: Header=BB4_7360 Depth=2
	s_and_not1_saveexec_b32 s7, s14
	s_cbranch_execz .LBB4_7904
; %bb.7899:                             ;   in Loop: Header=BB4_7360 Depth=2
	s_mov_b32 s14, exec_lo
                                        ; implicit-def: $vgpr43
	v_cmpx_ne_u64_e32 0, v[52:53]
	s_xor_b32 s14, exec_lo, s14
; %bb.7900:                             ;   in Loop: Header=BB4_7360 Depth=2
	v_lshrrev_b32_e32 v17, 24, v19
                                        ; implicit-def: $vgpr19
	s_delay_alu instid0(VALU_DEP_1)
	v_or_b32_e32 v43, 0x7f, v17
; %bb.7901:                             ;   in Loop: Header=BB4_7360 Depth=2
	s_and_not1_saveexec_b32 s14, s14
; %bb.7902:                             ;   in Loop: Header=BB4_7360 Depth=2
	v_cmp_lt_i32_e32 vcc_lo, -1, v19
	v_cndmask_b32_e64 v43, -4, 0x7c, vcc_lo
; %bb.7903:                             ;   in Loop: Header=BB4_7360 Depth=2
	s_or_b32 exec_lo, exec_lo, s14
.LBB4_7904:                             ;   in Loop: Header=BB4_7360 Depth=2
	s_delay_alu instid0(SALU_CYCLE_1)
	s_or_b32 exec_lo, exec_lo, s7
	v_and_b32_e32 v17, 0xff, v40
	v_cmp_ne_u16_e64 s7, 0, v40
	s_and_not1_b32 vcc_lo, exec_lo, s13
	s_mov_b32 s14, -1
                                        ; implicit-def: $vgpr19
	s_cbranch_vccnz .LBB4_7926
; %bb.7905:                             ;   in Loop: Header=BB4_7360 Depth=2
	v_dual_mov_b32 v21, 0 :: v_dual_mov_b32 v19, 0
	s_and_saveexec_b32 s14, s7
	s_cbranch_execz .LBB4_7915
; %bb.7906:                             ;   in Loop: Header=BB4_7360 Depth=2
	v_bfrev_b32_e32 v19, 1
	s_mov_b32 s41, exec_lo
	v_cmpx_ne_u16_e32 0xff80, v40
	s_cbranch_execz .LBB4_7914
; %bb.7907:                             ;   in Loop: Header=BB4_7360 Depth=2
	v_and_b32_e32 v19, 0x7c, v17
	v_and_b32_e32 v23, 3, v17
	s_delay_alu instid0(VALU_DEP_2) | instskip(SKIP_1) | instid1(SALU_CYCLE_1)
	v_cmp_ne_u32_e32 vcc_lo, 0x7c, v19
                                        ; implicit-def: $vgpr19
	s_and_saveexec_b32 s42, vcc_lo
	s_xor_b32 s42, exec_lo, s42
	s_cbranch_execz .LBB4_7911
; %bb.7908:                             ;   in Loop: Header=BB4_7360 Depth=2
	v_bfe_u32 v19, v17, 2, 5
	s_mov_b32 s43, exec_lo
	s_delay_alu instid0(VALU_DEP_1)
	v_cmpx_eq_u32_e32 0, v19
	s_cbranch_execz .LBB4_7910
; %bb.7909:                             ;   in Loop: Header=BB4_7360 Depth=2
	v_clz_i32_u32_e32 v19, v23
	s_delay_alu instid0(VALU_DEP_1) | instskip(SKIP_1) | instid1(VALU_DEP_2)
	v_min_u32_e32 v19, 32, v19
	v_mov_b32_e32 v41, v53
	v_subrev_nc_u32_e32 v23, 29, v19
	v_sub_nc_u32_e32 v19, 30, v19
	s_delay_alu instid0(VALU_DEP_2) | instskip(NEXT) | instid1(VALU_DEP_1)
	v_lshlrev_b64_e32 v[44:45], v23, v[40:41]
	v_and_b32_e32 v23, 3, v44
.LBB4_7910:                             ;   in Loop: Header=BB4_7360 Depth=2
	s_or_b32 exec_lo, exec_lo, s43
	v_bfe_i32 v25, v40, 0, 16
	s_delay_alu instid0(VALU_DEP_1) | instskip(NEXT) | instid1(VALU_DEP_1)
	v_and_b32_e32 v25, 0x80000000, v25
	v_lshl_add_u32 v19, v19, 23, v25
	s_delay_alu instid0(VALU_DEP_1) | instskip(NEXT) | instid1(VALU_DEP_1)
	v_lshl_or_b32 v19, v23, 21, v19
                                        ; implicit-def: $vgpr23
	v_add_nc_u32_e32 v19, 0x38000000, v19
.LBB4_7911:                             ;   in Loop: Header=BB4_7360 Depth=2
	s_and_not1_saveexec_b32 s42, s42
; %bb.7912:                             ;   in Loop: Header=BB4_7360 Depth=2
	v_cmp_lt_i16_e32 vcc_lo, -1, v40
	v_cndmask_b32_e32 v19, 0xff800000, v109, vcc_lo
	v_cmp_eq_u32_e32 vcc_lo, 0, v23
	s_delay_alu instid0(VALU_DEP_2)
	v_cndmask_b32_e32 v19, 0x7f800001, v19, vcc_lo
; %bb.7913:                             ;   in Loop: Header=BB4_7360 Depth=2
	s_or_b32 exec_lo, exec_lo, s42
.LBB4_7914:                             ;   in Loop: Header=BB4_7360 Depth=2
	s_delay_alu instid0(SALU_CYCLE_1)
	s_or_b32 exec_lo, exec_lo, s41
.LBB4_7915:                             ;   in Loop: Header=BB4_7360 Depth=2
	s_delay_alu instid0(SALU_CYCLE_1) | instskip(NEXT) | instid1(SALU_CYCLE_1)
	s_or_b32 exec_lo, exec_lo, s14
	s_mov_b32 s14, exec_lo
	s_wait_loadcnt_dscnt 0x707
	v_cmpx_ne_u16_e32 0, v118
	s_cbranch_execz .LBB4_7925
; %bb.7916:                             ;   in Loop: Header=BB4_7360 Depth=2
	v_bfrev_b32_e32 v21, 1
	s_mov_b32 s41, exec_lo
	v_cmpx_ne_u16_e32 0xff80, v118
	s_cbranch_execz .LBB4_7924
; %bb.7917:                             ;   in Loop: Header=BB4_7360 Depth=2
	v_and_b32_e32 v21, 0x7c, v118
	v_and_b32_e32 v23, 3, v118
	s_delay_alu instid0(VALU_DEP_2) | instskip(SKIP_1) | instid1(SALU_CYCLE_1)
	v_cmp_ne_u32_e32 vcc_lo, 0x7c, v21
                                        ; implicit-def: $vgpr21
	s_and_saveexec_b32 s42, vcc_lo
	s_xor_b32 s42, exec_lo, s42
	s_cbranch_execz .LBB4_7921
; %bb.7918:                             ;   in Loop: Header=BB4_7360 Depth=2
	v_and_b32_e32 v21, 0xff, v118
	s_mov_b32 s43, exec_lo
	s_delay_alu instid0(VALU_DEP_1) | instskip(NEXT) | instid1(VALU_DEP_1)
	v_bfe_u32 v21, v21, 2, 5
	v_cmpx_eq_u32_e32 0, v21
	s_cbranch_execz .LBB4_7920
; %bb.7919:                             ;   in Loop: Header=BB4_7360 Depth=2
	v_clz_i32_u32_e32 v21, v23
	s_delay_alu instid0(VALU_DEP_1) | instskip(SKIP_1) | instid1(VALU_DEP_2)
	v_min_u32_e32 v21, 32, v21
	v_mov_b32_e32 v119, v53
	v_subrev_nc_u32_e32 v23, 29, v21
	v_sub_nc_u32_e32 v21, 30, v21
	s_delay_alu instid0(VALU_DEP_2) | instskip(NEXT) | instid1(VALU_DEP_1)
	v_lshlrev_b64_e32 v[44:45], v23, v[118:119]
	v_and_b32_e32 v23, 3, v44
.LBB4_7920:                             ;   in Loop: Header=BB4_7360 Depth=2
	s_or_b32 exec_lo, exec_lo, s43
	v_bfe_i32 v25, v118, 0, 16
	s_delay_alu instid0(VALU_DEP_1) | instskip(NEXT) | instid1(VALU_DEP_1)
	v_and_b32_e32 v25, 0x80000000, v25
	v_lshl_add_u32 v21, v21, 23, v25
	s_delay_alu instid0(VALU_DEP_1) | instskip(NEXT) | instid1(VALU_DEP_1)
	v_lshl_or_b32 v21, v23, 21, v21
                                        ; implicit-def: $vgpr23
	v_add_nc_u32_e32 v21, 0x38000000, v21
.LBB4_7921:                             ;   in Loop: Header=BB4_7360 Depth=2
	s_and_not1_saveexec_b32 s42, s42
; %bb.7922:                             ;   in Loop: Header=BB4_7360 Depth=2
	v_cmp_lt_i16_e32 vcc_lo, -1, v118
	v_cndmask_b32_e32 v21, 0xff800000, v109, vcc_lo
	v_cmp_eq_u32_e32 vcc_lo, 0, v23
	s_delay_alu instid0(VALU_DEP_2)
	v_cndmask_b32_e32 v21, 0x7f800001, v21, vcc_lo
; %bb.7923:                             ;   in Loop: Header=BB4_7360 Depth=2
	s_or_b32 exec_lo, exec_lo, s42
.LBB4_7924:                             ;   in Loop: Header=BB4_7360 Depth=2
	s_delay_alu instid0(SALU_CYCLE_1)
	s_or_b32 exec_lo, exec_lo, s41
.LBB4_7925:                             ;   in Loop: Header=BB4_7360 Depth=2
	s_delay_alu instid0(SALU_CYCLE_1) | instskip(NEXT) | instid1(VALU_DEP_1)
	s_or_b32 exec_lo, exec_lo, s14
	v_dual_max_num_f32 v21, v21, v21 :: v_dual_max_num_f32 v19, v19, v19
	s_mov_b32 s14, 0
	s_delay_alu instid0(VALU_DEP_1)
	v_max_num_f32_e32 v19, v19, v21
.LBB4_7926:                             ;   in Loop: Header=BB4_7360 Depth=2
	s_and_b32 vcc_lo, exec_lo, s14
	s_cbranch_vccz .LBB4_7948
; %bb.7927:                             ;   in Loop: Header=BB4_7360 Depth=2
	v_dual_mov_b32 v21, 0 :: v_dual_mov_b32 v19, 0
	s_and_saveexec_b32 s14, s7
	s_cbranch_execz .LBB4_7937
; %bb.7928:                             ;   in Loop: Header=BB4_7360 Depth=2
	v_bfrev_b32_e32 v19, 1
	s_mov_b32 s7, exec_lo
	v_cmpx_ne_u16_e32 0xff80, v40
	s_cbranch_execz .LBB4_7936
; %bb.7929:                             ;   in Loop: Header=BB4_7360 Depth=2
	v_and_b32_e32 v19, 0x7c, v17
	v_and_b32_e32 v23, 3, v17
	s_delay_alu instid0(VALU_DEP_2) | instskip(SKIP_1) | instid1(SALU_CYCLE_1)
	v_cmp_ne_u32_e32 vcc_lo, 0x7c, v19
                                        ; implicit-def: $vgpr19
	s_and_saveexec_b32 s41, vcc_lo
	s_xor_b32 s41, exec_lo, s41
	s_cbranch_execz .LBB4_7933
; %bb.7930:                             ;   in Loop: Header=BB4_7360 Depth=2
	v_bfe_u32 v17, v17, 2, 5
	s_mov_b32 s42, exec_lo
	s_delay_alu instid0(VALU_DEP_1)
	v_cmpx_eq_u32_e32 0, v17
	s_cbranch_execz .LBB4_7932
; %bb.7931:                             ;   in Loop: Header=BB4_7360 Depth=2
	v_clz_i32_u32_e32 v17, v23
	s_delay_alu instid0(VALU_DEP_1) | instskip(SKIP_1) | instid1(VALU_DEP_2)
	v_min_u32_e32 v17, 32, v17
	v_mov_b32_e32 v41, v53
	v_subrev_nc_u32_e32 v19, 29, v17
	v_sub_nc_u32_e32 v17, 30, v17
	s_delay_alu instid0(VALU_DEP_2) | instskip(NEXT) | instid1(VALU_DEP_1)
	v_lshlrev_b64_e32 v[44:45], v19, v[40:41]
	v_and_b32_e32 v23, 3, v44
.LBB4_7932:                             ;   in Loop: Header=BB4_7360 Depth=2
	s_or_b32 exec_lo, exec_lo, s42
	v_bfe_i32 v19, v40, 0, 16
                                        ; implicit-def: $vgpr40
	s_delay_alu instid0(VALU_DEP_1) | instskip(NEXT) | instid1(VALU_DEP_1)
	v_and_b32_e32 v19, 0x80000000, v19
	v_lshl_add_u32 v17, v17, 23, v19
	s_delay_alu instid0(VALU_DEP_1) | instskip(NEXT) | instid1(VALU_DEP_1)
	v_lshl_or_b32 v17, v23, 21, v17
                                        ; implicit-def: $vgpr23
	v_add_nc_u32_e32 v19, 0x38000000, v17
.LBB4_7933:                             ;   in Loop: Header=BB4_7360 Depth=2
	s_and_not1_saveexec_b32 s41, s41
; %bb.7934:                             ;   in Loop: Header=BB4_7360 Depth=2
	v_cmp_lt_i16_e32 vcc_lo, -1, v40
	v_cndmask_b32_e32 v17, 0xff800000, v109, vcc_lo
	v_cmp_eq_u32_e32 vcc_lo, 0, v23
	s_delay_alu instid0(VALU_DEP_2)
	v_cndmask_b32_e32 v19, 0x7f800001, v17, vcc_lo
; %bb.7935:                             ;   in Loop: Header=BB4_7360 Depth=2
	s_or_b32 exec_lo, exec_lo, s41
.LBB4_7936:                             ;   in Loop: Header=BB4_7360 Depth=2
	s_delay_alu instid0(SALU_CYCLE_1)
	s_or_b32 exec_lo, exec_lo, s7
.LBB4_7937:                             ;   in Loop: Header=BB4_7360 Depth=2
	s_delay_alu instid0(SALU_CYCLE_1) | instskip(NEXT) | instid1(SALU_CYCLE_1)
	s_or_b32 exec_lo, exec_lo, s14
	s_mov_b32 s7, exec_lo
	s_wait_loadcnt_dscnt 0x707
	v_cmpx_ne_u16_e32 0, v118
	s_cbranch_execz .LBB4_7947
; %bb.7938:                             ;   in Loop: Header=BB4_7360 Depth=2
	v_bfrev_b32_e32 v21, 1
	s_mov_b32 s14, exec_lo
	v_cmpx_ne_u16_e32 0xff80, v118
	s_cbranch_execz .LBB4_7946
; %bb.7939:                             ;   in Loop: Header=BB4_7360 Depth=2
	v_and_b32_e32 v21, 0x7c, v118
	v_and_b32_e32 v17, 3, v118
	s_delay_alu instid0(VALU_DEP_2) | instskip(SKIP_1) | instid1(SALU_CYCLE_1)
	v_cmp_ne_u32_e32 vcc_lo, 0x7c, v21
                                        ; implicit-def: $vgpr21
	s_and_saveexec_b32 s41, vcc_lo
	s_xor_b32 s41, exec_lo, s41
	s_cbranch_execz .LBB4_7943
; %bb.7940:                             ;   in Loop: Header=BB4_7360 Depth=2
	v_and_b32_e32 v21, 0xff, v118
	s_mov_b32 s42, exec_lo
	s_delay_alu instid0(VALU_DEP_1) | instskip(NEXT) | instid1(VALU_DEP_1)
	v_bfe_u32 v21, v21, 2, 5
	v_cmpx_eq_u32_e32 0, v21
; %bb.7941:                             ;   in Loop: Header=BB4_7360 Depth=2
	v_clz_i32_u32_e32 v17, v17
	s_delay_alu instid0(VALU_DEP_1) | instskip(SKIP_1) | instid1(VALU_DEP_2)
	v_min_u32_e32 v17, 32, v17
	v_mov_b32_e32 v119, v53
	v_subrev_nc_u32_e32 v21, 29, v17
	s_delay_alu instid0(VALU_DEP_1) | instskip(NEXT) | instid1(VALU_DEP_1)
	v_lshlrev_b64_e32 v[40:41], v21, v[118:119]
	v_dual_sub_nc_u32 v21, 30, v17 :: v_dual_bitop2_b32 v17, 3, v40 bitop3:0x40
; %bb.7942:                             ;   in Loop: Header=BB4_7360 Depth=2
	s_or_b32 exec_lo, exec_lo, s42
	v_bfe_i32 v23, v118, 0, 16
                                        ; implicit-def: $vgpr118
	s_delay_alu instid0(VALU_DEP_1) | instskip(NEXT) | instid1(VALU_DEP_1)
	v_and_b32_e32 v23, 0x80000000, v23
	v_lshl_add_u32 v21, v21, 23, v23
	s_delay_alu instid0(VALU_DEP_1) | instskip(NEXT) | instid1(VALU_DEP_1)
	v_lshl_or_b32 v17, v17, 21, v21
	v_add_nc_u32_e32 v21, 0x38000000, v17
                                        ; implicit-def: $vgpr17
.LBB4_7943:                             ;   in Loop: Header=BB4_7360 Depth=2
	s_and_not1_saveexec_b32 s41, s41
; %bb.7944:                             ;   in Loop: Header=BB4_7360 Depth=2
	v_cmp_lt_i16_e32 vcc_lo, -1, v118
	v_cndmask_b32_e32 v21, 0xff800000, v109, vcc_lo
	v_cmp_eq_u32_e32 vcc_lo, 0, v17
	s_delay_alu instid0(VALU_DEP_2)
	v_cndmask_b32_e32 v21, 0x7f800001, v21, vcc_lo
; %bb.7945:                             ;   in Loop: Header=BB4_7360 Depth=2
	s_or_b32 exec_lo, exec_lo, s41
.LBB4_7946:                             ;   in Loop: Header=BB4_7360 Depth=2
	s_delay_alu instid0(SALU_CYCLE_1)
	s_or_b32 exec_lo, exec_lo, s14
.LBB4_7947:                             ;   in Loop: Header=BB4_7360 Depth=2
	s_delay_alu instid0(SALU_CYCLE_1) | instskip(NEXT) | instid1(VALU_DEP_1)
	s_or_b32 exec_lo, exec_lo, s7
	v_dual_max_num_f32 v17, v21, v21 :: v_dual_max_num_f32 v19, v19, v19
	s_delay_alu instid0(VALU_DEP_1)
	v_min_num_f32_e32 v19, v19, v17
.LBB4_7948:                             ;   in Loop: Header=BB4_7360 Depth=2
	s_wait_loadcnt_dscnt 0x707
	s_delay_alu instid0(VALU_DEP_1) | instskip(SKIP_2) | instid1(VALU_DEP_2)
	v_and_b32_e32 v118, 0x7f800000, v19
	v_mov_b32_e32 v119, v53
	v_and_b32_e32 v52, 0x7fffff, v19
	v_cmp_ne_u64_e32 vcc_lo, 0x7f800000, v[118:119]
                                        ; implicit-def: $vgpr119
	s_and_saveexec_b32 s7, vcc_lo
	s_delay_alu instid0(SALU_CYCLE_1)
	s_xor_b32 s14, exec_lo, s7
	s_cbranch_execz .LBB4_7966
; %bb.7949:                             ;   in Loop: Header=BB4_7360 Depth=2
	v_and_b32_e32 v118, 0x7fffffff, v19
	v_dual_mov_b32 v119, v53 :: v_dual_lshrrev_b32 v17, 24, v19
	s_delay_alu instid0(VALU_DEP_1) | instskip(NEXT) | instid1(VALU_DEP_2)
	v_cmp_gt_u64_e32 vcc_lo, 0x47600001, v[118:119]
	v_and_b32_e32 v17, 0x80, v17
                                        ; implicit-def: $vgpr119
	s_and_saveexec_b32 s7, vcc_lo
	s_delay_alu instid0(SALU_CYCLE_1)
	s_xor_b32 s41, exec_lo, s7
	s_cbranch_execz .LBB4_7963
; %bb.7950:                             ;   in Loop: Header=BB4_7360 Depth=2
	v_mov_b32_e32 v119, 0
	s_mov_b32 s42, exec_lo
	v_cmpx_ne_u32_e32 0, v19
	s_cbranch_execz .LBB4_7962
; %bb.7951:                             ;   in Loop: Header=BB4_7360 Depth=2
	v_bfe_u32 v19, v19, 23, 8
	v_or_b32_e32 v25, 0x800000, v52
	s_delay_alu instid0(VALU_DEP_2) | instskip(SKIP_1) | instid1(VALU_DEP_2)
	v_sub_nc_u32_e32 v21, 0x71, v19
	v_cmp_gt_u32_e32 vcc_lo, 0x72, v19
	v_cndmask_b32_e32 v21, 0, v21, vcc_lo
	v_cmp_eq_u32_e32 vcc_lo, 0, v19
	s_delay_alu instid0(VALU_DEP_2) | instskip(NEXT) | instid1(VALU_DEP_1)
	v_cndmask_b32_e64 v21, v21, 0x70, vcc_lo
	v_dual_cndmask_b32 v52, v25, v52 :: v_dual_add_nc_u32 v23, 21, v21
	s_delay_alu instid0(VALU_DEP_1) | instskip(SKIP_1) | instid1(VALU_DEP_1)
	v_lshlrev_b64_e64 v[118:119], v23, -1
	v_add_nc_u32_e32 v23, 20, v21
	v_lshlrev_b64_e64 v[40:41], v23, 1
	s_delay_alu instid0(VALU_DEP_3) | instskip(NEXT) | instid1(VALU_DEP_4)
	v_bfi_b32 v45, v119, 0, 0
	v_bfi_b32 v44, v118, 0, v52
	v_lshrrev_b64 v[118:119], v21, v[52:53]
	s_delay_alu instid0(VALU_DEP_2) | instskip(NEXT) | instid1(VALU_DEP_2)
	v_cmp_eq_u64_e64 s7, v[44:45], v[40:41]
	v_mov_b64_e32 v[40:41], v[118:119]
	s_and_saveexec_b32 s43, s7
; %bb.7952:                             ;   in Loop: Header=BB4_7360 Depth=2
	v_bfe_u32 v52, v118, 21, 1
	s_delay_alu instid0(VALU_DEP_1) | instskip(NEXT) | instid1(VALU_DEP_1)
	v_add_nc_u64_e32 v[40:41], v[118:119], v[52:53]
	v_add_nc_u64_e32 v[40:41], -1, v[40:41]
; %bb.7953:                             ;   in Loop: Header=BB4_7360 Depth=2
	s_or_b32 exec_lo, exec_lo, s43
	v_add_nc_u32_e32 v19, 0xffffff81, v19
	v_lshrrev_b32_e32 v23, 23, v118
	s_mov_b32 s7, exec_lo
	s_delay_alu instid0(VALU_DEP_2) | instskip(NEXT) | instid1(VALU_DEP_1)
	v_cndmask_b32_e64 v19, v19, 0xffffff82, vcc_lo
	v_add3_u32 v21, v21, v19, v23
	v_and_b32_e32 v19, 0x1fffff, v40
	s_delay_alu instid0(VALU_DEP_1) | instskip(NEXT) | instid1(VALU_DEP_1)
	v_dual_add_nc_u32 v23, 14, v21 :: v_dual_add_nc_u32 v52, v19, v118
                                        ; implicit-def: $vgpr118_vgpr119
                                        ; implicit-def: $vgpr19
	v_cmpx_ne_u32_e32 0, v23
	s_xor_b32 s7, exec_lo, s7
; %bb.7954:                             ;   in Loop: Header=BB4_7360 Depth=2
	s_delay_alu instid0(VALU_DEP_2) | instskip(SKIP_2) | instid1(VALU_DEP_2)
	v_cmp_lt_u64_e32 vcc_lo, 0xffffff, v[52:53]
	v_add_nc_u32_e32 v19, 15, v21
	v_cndmask_b32_e64 v21, 0, 1, vcc_lo
	v_cndmask_b32_e32 v19, v23, v19, vcc_lo
	s_delay_alu instid0(VALU_DEP_2)
	v_lshrrev_b64 v[118:119], v21, v[52:53]
; %bb.7955:                             ;   in Loop: Header=BB4_7360 Depth=2
	s_and_not1_saveexec_b32 s7, s7
; %bb.7956:                             ;   in Loop: Header=BB4_7360 Depth=2
	v_mov_b64_e32 v[118:119], v[52:53]
	v_bfe_u32 v19, v52, 23, 1
; %bb.7957:                             ;   in Loop: Header=BB4_7360 Depth=2
	s_or_b32 exec_lo, exec_lo, s7
	s_delay_alu instid0(VALU_DEP_2) | instskip(NEXT) | instid1(VALU_DEP_2)
	v_lshrrev_b64 v[118:119], 21, v[118:119]
	v_cmp_gt_i32_e32 vcc_lo, 32, v19
	v_cmp_ne_u32_e64 s7, 0, v19
	s_delay_alu instid0(VALU_DEP_3) | instskip(NEXT) | instid1(VALU_DEP_1)
	v_dual_cndmask_b32 v119, 0, v119 :: v_dual_cndmask_b32 v118, 3, v118
	v_cmp_ne_u64_e32 vcc_lo, 0, v[118:119]
                                        ; implicit-def: $vgpr119
	s_or_b32 s7, s7, vcc_lo
	s_delay_alu instid0(SALU_CYCLE_1) | instskip(NEXT) | instid1(SALU_CYCLE_1)
	s_and_saveexec_b32 s43, s7
	s_xor_b32 s7, exec_lo, s43
; %bb.7958:                             ;   in Loop: Header=BB4_7360 Depth=2
	v_min_i32_e32 v19, 31, v19
	s_delay_alu instid0(VALU_DEP_1) | instskip(NEXT) | instid1(VALU_DEP_1)
	v_lshl_or_b32 v17, v19, 2, v17
	v_and_or_b32 v119, v118, 3, v17
                                        ; implicit-def: $vgpr17
; %bb.7959:                             ;   in Loop: Header=BB4_7360 Depth=2
	s_and_not1_saveexec_b32 s7, s7
; %bb.7960:                             ;   in Loop: Header=BB4_7360 Depth=2
	v_mov_b32_e32 v119, v17
; %bb.7961:                             ;   in Loop: Header=BB4_7360 Depth=2
	s_or_b32 exec_lo, exec_lo, s7
.LBB4_7962:                             ;   in Loop: Header=BB4_7360 Depth=2
	s_delay_alu instid0(SALU_CYCLE_1)
	s_or_b32 exec_lo, exec_lo, s42
                                        ; implicit-def: $vgpr17
.LBB4_7963:                             ;   in Loop: Header=BB4_7360 Depth=2
	s_and_not1_saveexec_b32 s7, s41
; %bb.7964:                             ;   in Loop: Header=BB4_7360 Depth=2
	v_or_b32_e32 v119, 0x7b, v17
; %bb.7965:                             ;   in Loop: Header=BB4_7360 Depth=2
	s_or_b32 exec_lo, exec_lo, s7
                                        ; implicit-def: $vgpr19
.LBB4_7966:                             ;   in Loop: Header=BB4_7360 Depth=2
	s_and_not1_saveexec_b32 s7, s14
	s_cbranch_execz .LBB4_7972
; %bb.7967:                             ;   in Loop: Header=BB4_7360 Depth=2
	s_mov_b32 s14, exec_lo
                                        ; implicit-def: $vgpr119
	v_cmpx_ne_u64_e32 0, v[52:53]
	s_xor_b32 s14, exec_lo, s14
; %bb.7968:                             ;   in Loop: Header=BB4_7360 Depth=2
	v_lshrrev_b32_e32 v17, 24, v19
                                        ; implicit-def: $vgpr19
	s_delay_alu instid0(VALU_DEP_1)
	v_or_b32_e32 v119, 0x7f, v17
; %bb.7969:                             ;   in Loop: Header=BB4_7360 Depth=2
	s_and_not1_saveexec_b32 s14, s14
; %bb.7970:                             ;   in Loop: Header=BB4_7360 Depth=2
	v_cmp_lt_i32_e32 vcc_lo, -1, v19
	v_cndmask_b32_e64 v119, -4, 0x7c, vcc_lo
; %bb.7971:                             ;   in Loop: Header=BB4_7360 Depth=2
	s_or_b32 exec_lo, exec_lo, s14
.LBB4_7972:                             ;   in Loop: Header=BB4_7360 Depth=2
	s_delay_alu instid0(SALU_CYCLE_1)
	s_or_b32 exec_lo, exec_lo, s7
	v_and_b32_e32 v17, 0xff, v116
	v_cmp_ne_u16_e64 s7, 0, v116
	s_and_not1_b32 vcc_lo, exec_lo, s13
	s_mov_b32 s14, -1
                                        ; implicit-def: $vgpr19
	s_cbranch_vccnz .LBB4_7994
; %bb.7973:                             ;   in Loop: Header=BB4_7360 Depth=2
	v_dual_mov_b32 v21, 0 :: v_dual_mov_b32 v19, 0
	s_and_saveexec_b32 s14, s7
	s_cbranch_execz .LBB4_7983
; %bb.7974:                             ;   in Loop: Header=BB4_7360 Depth=2
	v_bfrev_b32_e32 v19, 1
	s_mov_b32 s41, exec_lo
	v_cmpx_ne_u16_e32 0xff80, v116
	s_cbranch_execz .LBB4_7982
; %bb.7975:                             ;   in Loop: Header=BB4_7360 Depth=2
	v_and_b32_e32 v19, 0x7c, v17
	v_and_b32_e32 v23, 3, v17
	s_delay_alu instid0(VALU_DEP_2) | instskip(SKIP_1) | instid1(SALU_CYCLE_1)
	v_cmp_ne_u32_e32 vcc_lo, 0x7c, v19
                                        ; implicit-def: $vgpr19
	s_and_saveexec_b32 s42, vcc_lo
	s_xor_b32 s42, exec_lo, s42
	s_cbranch_execz .LBB4_7979
; %bb.7976:                             ;   in Loop: Header=BB4_7360 Depth=2
	v_bfe_u32 v19, v17, 2, 5
	s_mov_b32 s43, exec_lo
	s_delay_alu instid0(VALU_DEP_1)
	v_cmpx_eq_u32_e32 0, v19
	s_cbranch_execz .LBB4_7978
; %bb.7977:                             ;   in Loop: Header=BB4_7360 Depth=2
	v_clz_i32_u32_e32 v19, v23
	s_delay_alu instid0(VALU_DEP_1) | instskip(SKIP_1) | instid1(VALU_DEP_2)
	v_min_u32_e32 v19, 32, v19
	v_mov_b32_e32 v117, v53
	v_subrev_nc_u32_e32 v23, 29, v19
	v_sub_nc_u32_e32 v19, 30, v19
	s_delay_alu instid0(VALU_DEP_2) | instskip(NEXT) | instid1(VALU_DEP_1)
	v_lshlrev_b64_e32 v[40:41], v23, v[116:117]
	v_and_b32_e32 v23, 3, v40
.LBB4_7978:                             ;   in Loop: Header=BB4_7360 Depth=2
	s_or_b32 exec_lo, exec_lo, s43
	v_bfe_i32 v25, v116, 0, 16
	s_delay_alu instid0(VALU_DEP_1) | instskip(NEXT) | instid1(VALU_DEP_1)
	v_and_b32_e32 v25, 0x80000000, v25
	v_lshl_add_u32 v19, v19, 23, v25
	s_delay_alu instid0(VALU_DEP_1) | instskip(NEXT) | instid1(VALU_DEP_1)
	v_lshl_or_b32 v19, v23, 21, v19
                                        ; implicit-def: $vgpr23
	v_add_nc_u32_e32 v19, 0x38000000, v19
.LBB4_7979:                             ;   in Loop: Header=BB4_7360 Depth=2
	s_and_not1_saveexec_b32 s42, s42
; %bb.7980:                             ;   in Loop: Header=BB4_7360 Depth=2
	v_cmp_lt_i16_e32 vcc_lo, -1, v116
	v_cndmask_b32_e32 v19, 0xff800000, v109, vcc_lo
	v_cmp_eq_u32_e32 vcc_lo, 0, v23
	s_delay_alu instid0(VALU_DEP_2)
	v_cndmask_b32_e32 v19, 0x7f800001, v19, vcc_lo
; %bb.7981:                             ;   in Loop: Header=BB4_7360 Depth=2
	s_or_b32 exec_lo, exec_lo, s42
.LBB4_7982:                             ;   in Loop: Header=BB4_7360 Depth=2
	s_delay_alu instid0(SALU_CYCLE_1)
	s_or_b32 exec_lo, exec_lo, s41
.LBB4_7983:                             ;   in Loop: Header=BB4_7360 Depth=2
	s_delay_alu instid0(SALU_CYCLE_1) | instskip(NEXT) | instid1(SALU_CYCLE_1)
	s_or_b32 exec_lo, exec_lo, s14
	s_mov_b32 s14, exec_lo
	s_wait_loadcnt_dscnt 0x606
	v_cmpx_ne_u16_e32 0, v114
	s_cbranch_execz .LBB4_7993
; %bb.7984:                             ;   in Loop: Header=BB4_7360 Depth=2
	v_bfrev_b32_e32 v21, 1
	s_mov_b32 s41, exec_lo
	v_cmpx_ne_u16_e32 0xff80, v114
	s_cbranch_execz .LBB4_7992
; %bb.7985:                             ;   in Loop: Header=BB4_7360 Depth=2
	v_and_b32_e32 v21, 0x7c, v114
	v_and_b32_e32 v23, 3, v114
	s_delay_alu instid0(VALU_DEP_2) | instskip(SKIP_1) | instid1(SALU_CYCLE_1)
	v_cmp_ne_u32_e32 vcc_lo, 0x7c, v21
                                        ; implicit-def: $vgpr21
	s_and_saveexec_b32 s42, vcc_lo
	s_xor_b32 s42, exec_lo, s42
	s_cbranch_execz .LBB4_7989
; %bb.7986:                             ;   in Loop: Header=BB4_7360 Depth=2
	v_and_b32_e32 v21, 0xff, v114
	s_mov_b32 s43, exec_lo
	s_delay_alu instid0(VALU_DEP_1) | instskip(NEXT) | instid1(VALU_DEP_1)
	v_bfe_u32 v21, v21, 2, 5
	v_cmpx_eq_u32_e32 0, v21
	s_cbranch_execz .LBB4_7988
; %bb.7987:                             ;   in Loop: Header=BB4_7360 Depth=2
	v_clz_i32_u32_e32 v21, v23
	s_delay_alu instid0(VALU_DEP_1) | instskip(SKIP_1) | instid1(VALU_DEP_2)
	v_min_u32_e32 v21, 32, v21
	v_mov_b32_e32 v115, v53
	v_subrev_nc_u32_e32 v23, 29, v21
	v_sub_nc_u32_e32 v21, 30, v21
	s_delay_alu instid0(VALU_DEP_2) | instskip(NEXT) | instid1(VALU_DEP_1)
	v_lshlrev_b64_e32 v[40:41], v23, v[114:115]
	v_and_b32_e32 v23, 3, v40
.LBB4_7988:                             ;   in Loop: Header=BB4_7360 Depth=2
	s_or_b32 exec_lo, exec_lo, s43
	v_bfe_i32 v25, v114, 0, 16
	s_delay_alu instid0(VALU_DEP_1) | instskip(NEXT) | instid1(VALU_DEP_1)
	v_and_b32_e32 v25, 0x80000000, v25
	v_lshl_add_u32 v21, v21, 23, v25
	s_delay_alu instid0(VALU_DEP_1) | instskip(NEXT) | instid1(VALU_DEP_1)
	v_lshl_or_b32 v21, v23, 21, v21
                                        ; implicit-def: $vgpr23
	v_add_nc_u32_e32 v21, 0x38000000, v21
.LBB4_7989:                             ;   in Loop: Header=BB4_7360 Depth=2
	s_and_not1_saveexec_b32 s42, s42
; %bb.7990:                             ;   in Loop: Header=BB4_7360 Depth=2
	v_cmp_lt_i16_e32 vcc_lo, -1, v114
	v_cndmask_b32_e32 v21, 0xff800000, v109, vcc_lo
	v_cmp_eq_u32_e32 vcc_lo, 0, v23
	s_delay_alu instid0(VALU_DEP_2)
	v_cndmask_b32_e32 v21, 0x7f800001, v21, vcc_lo
; %bb.7991:                             ;   in Loop: Header=BB4_7360 Depth=2
	s_or_b32 exec_lo, exec_lo, s42
.LBB4_7992:                             ;   in Loop: Header=BB4_7360 Depth=2
	s_delay_alu instid0(SALU_CYCLE_1)
	s_or_b32 exec_lo, exec_lo, s41
.LBB4_7993:                             ;   in Loop: Header=BB4_7360 Depth=2
	s_delay_alu instid0(SALU_CYCLE_1) | instskip(NEXT) | instid1(VALU_DEP_1)
	s_or_b32 exec_lo, exec_lo, s14
	v_dual_max_num_f32 v21, v21, v21 :: v_dual_max_num_f32 v19, v19, v19
	s_mov_b32 s14, 0
	s_delay_alu instid0(VALU_DEP_1)
	v_max_num_f32_e32 v19, v19, v21
.LBB4_7994:                             ;   in Loop: Header=BB4_7360 Depth=2
	s_and_b32 vcc_lo, exec_lo, s14
	s_cbranch_vccz .LBB4_8016
; %bb.7995:                             ;   in Loop: Header=BB4_7360 Depth=2
	v_dual_mov_b32 v21, 0 :: v_dual_mov_b32 v19, 0
	s_and_saveexec_b32 s14, s7
	s_cbranch_execz .LBB4_8005
; %bb.7996:                             ;   in Loop: Header=BB4_7360 Depth=2
	v_bfrev_b32_e32 v19, 1
	s_mov_b32 s7, exec_lo
	v_cmpx_ne_u16_e32 0xff80, v116
	s_cbranch_execz .LBB4_8004
; %bb.7997:                             ;   in Loop: Header=BB4_7360 Depth=2
	v_and_b32_e32 v19, 0x7c, v17
	v_and_b32_e32 v23, 3, v17
	s_delay_alu instid0(VALU_DEP_2) | instskip(SKIP_1) | instid1(SALU_CYCLE_1)
	v_cmp_ne_u32_e32 vcc_lo, 0x7c, v19
                                        ; implicit-def: $vgpr19
	s_and_saveexec_b32 s41, vcc_lo
	s_xor_b32 s41, exec_lo, s41
	s_cbranch_execz .LBB4_8001
; %bb.7998:                             ;   in Loop: Header=BB4_7360 Depth=2
	v_bfe_u32 v17, v17, 2, 5
	s_mov_b32 s42, exec_lo
	s_delay_alu instid0(VALU_DEP_1)
	v_cmpx_eq_u32_e32 0, v17
	s_cbranch_execz .LBB4_8000
; %bb.7999:                             ;   in Loop: Header=BB4_7360 Depth=2
	v_clz_i32_u32_e32 v17, v23
	s_delay_alu instid0(VALU_DEP_1) | instskip(SKIP_1) | instid1(VALU_DEP_2)
	v_min_u32_e32 v17, 32, v17
	v_mov_b32_e32 v117, v53
	v_subrev_nc_u32_e32 v19, 29, v17
	v_sub_nc_u32_e32 v17, 30, v17
	s_delay_alu instid0(VALU_DEP_2) | instskip(NEXT) | instid1(VALU_DEP_1)
	v_lshlrev_b64_e32 v[40:41], v19, v[116:117]
	v_and_b32_e32 v23, 3, v40
.LBB4_8000:                             ;   in Loop: Header=BB4_7360 Depth=2
	s_or_b32 exec_lo, exec_lo, s42
	v_bfe_i32 v19, v116, 0, 16
                                        ; implicit-def: $vgpr116
	s_delay_alu instid0(VALU_DEP_1) | instskip(NEXT) | instid1(VALU_DEP_1)
	v_and_b32_e32 v19, 0x80000000, v19
	v_lshl_add_u32 v17, v17, 23, v19
	s_delay_alu instid0(VALU_DEP_1) | instskip(NEXT) | instid1(VALU_DEP_1)
	v_lshl_or_b32 v17, v23, 21, v17
                                        ; implicit-def: $vgpr23
	v_add_nc_u32_e32 v19, 0x38000000, v17
.LBB4_8001:                             ;   in Loop: Header=BB4_7360 Depth=2
	s_and_not1_saveexec_b32 s41, s41
; %bb.8002:                             ;   in Loop: Header=BB4_7360 Depth=2
	v_cmp_lt_i16_e32 vcc_lo, -1, v116
	v_cndmask_b32_e32 v17, 0xff800000, v109, vcc_lo
	v_cmp_eq_u32_e32 vcc_lo, 0, v23
	s_delay_alu instid0(VALU_DEP_2)
	v_cndmask_b32_e32 v19, 0x7f800001, v17, vcc_lo
; %bb.8003:                             ;   in Loop: Header=BB4_7360 Depth=2
	s_or_b32 exec_lo, exec_lo, s41
.LBB4_8004:                             ;   in Loop: Header=BB4_7360 Depth=2
	s_delay_alu instid0(SALU_CYCLE_1)
	s_or_b32 exec_lo, exec_lo, s7
.LBB4_8005:                             ;   in Loop: Header=BB4_7360 Depth=2
	s_delay_alu instid0(SALU_CYCLE_1) | instskip(NEXT) | instid1(SALU_CYCLE_1)
	s_or_b32 exec_lo, exec_lo, s14
	s_mov_b32 s7, exec_lo
	s_wait_loadcnt_dscnt 0x606
	v_cmpx_ne_u16_e32 0, v114
	s_cbranch_execz .LBB4_8015
; %bb.8006:                             ;   in Loop: Header=BB4_7360 Depth=2
	v_bfrev_b32_e32 v21, 1
	s_mov_b32 s14, exec_lo
	v_cmpx_ne_u16_e32 0xff80, v114
	s_cbranch_execz .LBB4_8014
; %bb.8007:                             ;   in Loop: Header=BB4_7360 Depth=2
	v_and_b32_e32 v21, 0x7c, v114
	v_and_b32_e32 v17, 3, v114
	s_delay_alu instid0(VALU_DEP_2) | instskip(SKIP_1) | instid1(SALU_CYCLE_1)
	v_cmp_ne_u32_e32 vcc_lo, 0x7c, v21
                                        ; implicit-def: $vgpr21
	s_and_saveexec_b32 s41, vcc_lo
	s_xor_b32 s41, exec_lo, s41
	s_cbranch_execz .LBB4_8011
; %bb.8008:                             ;   in Loop: Header=BB4_7360 Depth=2
	v_and_b32_e32 v21, 0xff, v114
	s_mov_b32 s42, exec_lo
	s_delay_alu instid0(VALU_DEP_1) | instskip(NEXT) | instid1(VALU_DEP_1)
	v_bfe_u32 v21, v21, 2, 5
	v_cmpx_eq_u32_e32 0, v21
; %bb.8009:                             ;   in Loop: Header=BB4_7360 Depth=2
	v_clz_i32_u32_e32 v17, v17
	s_delay_alu instid0(VALU_DEP_1) | instskip(SKIP_1) | instid1(VALU_DEP_2)
	v_min_u32_e32 v17, 32, v17
	v_mov_b32_e32 v115, v53
	v_subrev_nc_u32_e32 v21, 29, v17
	s_delay_alu instid0(VALU_DEP_1) | instskip(NEXT) | instid1(VALU_DEP_1)
	v_lshlrev_b64_e32 v[116:117], v21, v[114:115]
	v_dual_sub_nc_u32 v21, 30, v17 :: v_dual_bitop2_b32 v17, 3, v116 bitop3:0x40
; %bb.8010:                             ;   in Loop: Header=BB4_7360 Depth=2
	s_or_b32 exec_lo, exec_lo, s42
	v_bfe_i32 v23, v114, 0, 16
                                        ; implicit-def: $vgpr114
	s_delay_alu instid0(VALU_DEP_1) | instskip(NEXT) | instid1(VALU_DEP_1)
	v_and_b32_e32 v23, 0x80000000, v23
	v_lshl_add_u32 v21, v21, 23, v23
	s_delay_alu instid0(VALU_DEP_1) | instskip(NEXT) | instid1(VALU_DEP_1)
	v_lshl_or_b32 v17, v17, 21, v21
	v_add_nc_u32_e32 v21, 0x38000000, v17
                                        ; implicit-def: $vgpr17
.LBB4_8011:                             ;   in Loop: Header=BB4_7360 Depth=2
	s_and_not1_saveexec_b32 s41, s41
; %bb.8012:                             ;   in Loop: Header=BB4_7360 Depth=2
	v_cmp_lt_i16_e32 vcc_lo, -1, v114
	v_cndmask_b32_e32 v21, 0xff800000, v109, vcc_lo
	v_cmp_eq_u32_e32 vcc_lo, 0, v17
	s_delay_alu instid0(VALU_DEP_2)
	v_cndmask_b32_e32 v21, 0x7f800001, v21, vcc_lo
; %bb.8013:                             ;   in Loop: Header=BB4_7360 Depth=2
	s_or_b32 exec_lo, exec_lo, s41
.LBB4_8014:                             ;   in Loop: Header=BB4_7360 Depth=2
	s_delay_alu instid0(SALU_CYCLE_1)
	s_or_b32 exec_lo, exec_lo, s14
.LBB4_8015:                             ;   in Loop: Header=BB4_7360 Depth=2
	s_delay_alu instid0(SALU_CYCLE_1) | instskip(NEXT) | instid1(VALU_DEP_1)
	s_or_b32 exec_lo, exec_lo, s7
	v_dual_max_num_f32 v17, v21, v21 :: v_dual_max_num_f32 v19, v19, v19
	s_delay_alu instid0(VALU_DEP_1)
	v_min_num_f32_e32 v19, v19, v17
.LBB4_8016:                             ;   in Loop: Header=BB4_7360 Depth=2
	s_wait_loadcnt_dscnt 0x606
	s_delay_alu instid0(VALU_DEP_1) | instskip(SKIP_2) | instid1(VALU_DEP_2)
	v_and_b32_e32 v114, 0x7f800000, v19
	v_mov_b32_e32 v115, v53
	v_and_b32_e32 v52, 0x7fffff, v19
	v_cmp_ne_u64_e32 vcc_lo, 0x7f800000, v[114:115]
                                        ; implicit-def: $vgpr115
	s_and_saveexec_b32 s7, vcc_lo
	s_delay_alu instid0(SALU_CYCLE_1)
	s_xor_b32 s14, exec_lo, s7
	s_cbranch_execz .LBB4_8034
; %bb.8017:                             ;   in Loop: Header=BB4_7360 Depth=2
	v_and_b32_e32 v114, 0x7fffffff, v19
	v_dual_mov_b32 v115, v53 :: v_dual_lshrrev_b32 v17, 24, v19
	s_delay_alu instid0(VALU_DEP_1) | instskip(NEXT) | instid1(VALU_DEP_2)
	v_cmp_gt_u64_e32 vcc_lo, 0x47600001, v[114:115]
	v_and_b32_e32 v17, 0x80, v17
                                        ; implicit-def: $vgpr115
	s_and_saveexec_b32 s7, vcc_lo
	s_delay_alu instid0(SALU_CYCLE_1)
	s_xor_b32 s41, exec_lo, s7
	s_cbranch_execz .LBB4_8031
; %bb.8018:                             ;   in Loop: Header=BB4_7360 Depth=2
	v_mov_b32_e32 v115, 0
	s_mov_b32 s42, exec_lo
	v_cmpx_ne_u32_e32 0, v19
	s_cbranch_execz .LBB4_8030
; %bb.8019:                             ;   in Loop: Header=BB4_7360 Depth=2
	v_bfe_u32 v19, v19, 23, 8
	v_or_b32_e32 v25, 0x800000, v52
	s_delay_alu instid0(VALU_DEP_2) | instskip(SKIP_1) | instid1(VALU_DEP_2)
	v_sub_nc_u32_e32 v21, 0x71, v19
	v_cmp_gt_u32_e32 vcc_lo, 0x72, v19
	v_cndmask_b32_e32 v21, 0, v21, vcc_lo
	v_cmp_eq_u32_e32 vcc_lo, 0, v19
	s_delay_alu instid0(VALU_DEP_2) | instskip(NEXT) | instid1(VALU_DEP_1)
	v_cndmask_b32_e64 v21, v21, 0x70, vcc_lo
	v_dual_cndmask_b32 v52, v25, v52 :: v_dual_add_nc_u32 v23, 21, v21
	s_delay_alu instid0(VALU_DEP_1) | instskip(SKIP_1) | instid1(VALU_DEP_1)
	v_lshlrev_b64_e64 v[114:115], v23, -1
	v_add_nc_u32_e32 v23, 20, v21
	v_lshlrev_b64_e64 v[116:117], v23, 1
	s_delay_alu instid0(VALU_DEP_3) | instskip(NEXT) | instid1(VALU_DEP_4)
	v_bfi_b32 v41, v115, 0, 0
	v_bfi_b32 v40, v114, 0, v52
	v_lshrrev_b64 v[114:115], v21, v[52:53]
	s_delay_alu instid0(VALU_DEP_2) | instskip(NEXT) | instid1(VALU_DEP_2)
	v_cmp_eq_u64_e64 s7, v[40:41], v[116:117]
	v_mov_b64_e32 v[116:117], v[114:115]
	s_and_saveexec_b32 s43, s7
; %bb.8020:                             ;   in Loop: Header=BB4_7360 Depth=2
	v_bfe_u32 v52, v114, 21, 1
	s_delay_alu instid0(VALU_DEP_1) | instskip(NEXT) | instid1(VALU_DEP_1)
	v_add_nc_u64_e32 v[116:117], v[114:115], v[52:53]
	v_add_nc_u64_e32 v[116:117], -1, v[116:117]
; %bb.8021:                             ;   in Loop: Header=BB4_7360 Depth=2
	s_or_b32 exec_lo, exec_lo, s43
	v_add_nc_u32_e32 v19, 0xffffff81, v19
	v_lshrrev_b32_e32 v23, 23, v114
	s_mov_b32 s7, exec_lo
	s_delay_alu instid0(VALU_DEP_2) | instskip(NEXT) | instid1(VALU_DEP_1)
	v_cndmask_b32_e64 v19, v19, 0xffffff82, vcc_lo
	v_add3_u32 v21, v21, v19, v23
	v_and_b32_e32 v19, 0x1fffff, v116
	s_delay_alu instid0(VALU_DEP_1) | instskip(NEXT) | instid1(VALU_DEP_1)
	v_dual_add_nc_u32 v23, 14, v21 :: v_dual_add_nc_u32 v52, v19, v114
                                        ; implicit-def: $vgpr114_vgpr115
                                        ; implicit-def: $vgpr19
	v_cmpx_ne_u32_e32 0, v23
	s_xor_b32 s7, exec_lo, s7
; %bb.8022:                             ;   in Loop: Header=BB4_7360 Depth=2
	s_delay_alu instid0(VALU_DEP_2) | instskip(SKIP_2) | instid1(VALU_DEP_2)
	v_cmp_lt_u64_e32 vcc_lo, 0xffffff, v[52:53]
	v_add_nc_u32_e32 v19, 15, v21
	v_cndmask_b32_e64 v21, 0, 1, vcc_lo
	v_cndmask_b32_e32 v19, v23, v19, vcc_lo
	s_delay_alu instid0(VALU_DEP_2)
	v_lshrrev_b64 v[114:115], v21, v[52:53]
; %bb.8023:                             ;   in Loop: Header=BB4_7360 Depth=2
	s_and_not1_saveexec_b32 s7, s7
; %bb.8024:                             ;   in Loop: Header=BB4_7360 Depth=2
	v_mov_b64_e32 v[114:115], v[52:53]
	v_bfe_u32 v19, v52, 23, 1
; %bb.8025:                             ;   in Loop: Header=BB4_7360 Depth=2
	s_or_b32 exec_lo, exec_lo, s7
	s_delay_alu instid0(VALU_DEP_2) | instskip(NEXT) | instid1(VALU_DEP_2)
	v_lshrrev_b64 v[114:115], 21, v[114:115]
	v_cmp_gt_i32_e32 vcc_lo, 32, v19
	v_cmp_ne_u32_e64 s7, 0, v19
	s_delay_alu instid0(VALU_DEP_3) | instskip(NEXT) | instid1(VALU_DEP_1)
	v_dual_cndmask_b32 v115, 0, v115 :: v_dual_cndmask_b32 v114, 3, v114
	v_cmp_ne_u64_e32 vcc_lo, 0, v[114:115]
                                        ; implicit-def: $vgpr115
	s_or_b32 s7, s7, vcc_lo
	s_delay_alu instid0(SALU_CYCLE_1) | instskip(NEXT) | instid1(SALU_CYCLE_1)
	s_and_saveexec_b32 s43, s7
	s_xor_b32 s7, exec_lo, s43
; %bb.8026:                             ;   in Loop: Header=BB4_7360 Depth=2
	v_min_i32_e32 v19, 31, v19
	s_delay_alu instid0(VALU_DEP_1) | instskip(NEXT) | instid1(VALU_DEP_1)
	v_lshl_or_b32 v17, v19, 2, v17
	v_and_or_b32 v115, v114, 3, v17
                                        ; implicit-def: $vgpr17
; %bb.8027:                             ;   in Loop: Header=BB4_7360 Depth=2
	s_and_not1_saveexec_b32 s7, s7
; %bb.8028:                             ;   in Loop: Header=BB4_7360 Depth=2
	v_mov_b32_e32 v115, v17
; %bb.8029:                             ;   in Loop: Header=BB4_7360 Depth=2
	s_or_b32 exec_lo, exec_lo, s7
.LBB4_8030:                             ;   in Loop: Header=BB4_7360 Depth=2
	s_delay_alu instid0(SALU_CYCLE_1)
	s_or_b32 exec_lo, exec_lo, s42
                                        ; implicit-def: $vgpr17
.LBB4_8031:                             ;   in Loop: Header=BB4_7360 Depth=2
	s_and_not1_saveexec_b32 s7, s41
; %bb.8032:                             ;   in Loop: Header=BB4_7360 Depth=2
	v_or_b32_e32 v115, 0x7b, v17
; %bb.8033:                             ;   in Loop: Header=BB4_7360 Depth=2
	s_or_b32 exec_lo, exec_lo, s7
                                        ; implicit-def: $vgpr19
.LBB4_8034:                             ;   in Loop: Header=BB4_7360 Depth=2
	s_and_not1_saveexec_b32 s7, s14
	s_cbranch_execz .LBB4_8040
; %bb.8035:                             ;   in Loop: Header=BB4_7360 Depth=2
	s_mov_b32 s14, exec_lo
                                        ; implicit-def: $vgpr115
	v_cmpx_ne_u64_e32 0, v[52:53]
	s_xor_b32 s14, exec_lo, s14
; %bb.8036:                             ;   in Loop: Header=BB4_7360 Depth=2
	v_lshrrev_b32_e32 v17, 24, v19
                                        ; implicit-def: $vgpr19
	s_delay_alu instid0(VALU_DEP_1)
	v_or_b32_e32 v115, 0x7f, v17
; %bb.8037:                             ;   in Loop: Header=BB4_7360 Depth=2
	s_and_not1_saveexec_b32 s14, s14
; %bb.8038:                             ;   in Loop: Header=BB4_7360 Depth=2
	v_cmp_lt_i32_e32 vcc_lo, -1, v19
	v_cndmask_b32_e64 v115, -4, 0x7c, vcc_lo
; %bb.8039:                             ;   in Loop: Header=BB4_7360 Depth=2
	s_or_b32 exec_lo, exec_lo, s14
.LBB4_8040:                             ;   in Loop: Header=BB4_7360 Depth=2
	s_delay_alu instid0(SALU_CYCLE_1)
	s_or_b32 exec_lo, exec_lo, s7
	v_and_b32_e32 v17, 0xff, v112
	v_cmp_ne_u16_e64 s7, 0, v112
	s_and_not1_b32 vcc_lo, exec_lo, s13
	s_mov_b32 s14, -1
                                        ; implicit-def: $vgpr19
	s_cbranch_vccnz .LBB4_8062
; %bb.8041:                             ;   in Loop: Header=BB4_7360 Depth=2
	v_dual_mov_b32 v21, 0 :: v_dual_mov_b32 v19, 0
	s_and_saveexec_b32 s14, s7
	s_cbranch_execz .LBB4_8051
; %bb.8042:                             ;   in Loop: Header=BB4_7360 Depth=2
	v_bfrev_b32_e32 v19, 1
	s_mov_b32 s41, exec_lo
	v_cmpx_ne_u16_e32 0xff80, v112
	s_cbranch_execz .LBB4_8050
; %bb.8043:                             ;   in Loop: Header=BB4_7360 Depth=2
	v_and_b32_e32 v19, 0x7c, v17
	v_and_b32_e32 v23, 3, v17
	s_delay_alu instid0(VALU_DEP_2) | instskip(SKIP_1) | instid1(SALU_CYCLE_1)
	v_cmp_ne_u32_e32 vcc_lo, 0x7c, v19
                                        ; implicit-def: $vgpr19
	s_and_saveexec_b32 s42, vcc_lo
	s_xor_b32 s42, exec_lo, s42
	s_cbranch_execz .LBB4_8047
; %bb.8044:                             ;   in Loop: Header=BB4_7360 Depth=2
	v_bfe_u32 v19, v17, 2, 5
	s_mov_b32 s43, exec_lo
	s_delay_alu instid0(VALU_DEP_1)
	v_cmpx_eq_u32_e32 0, v19
	s_cbranch_execz .LBB4_8046
; %bb.8045:                             ;   in Loop: Header=BB4_7360 Depth=2
	v_clz_i32_u32_e32 v19, v23
	s_delay_alu instid0(VALU_DEP_1) | instskip(SKIP_1) | instid1(VALU_DEP_2)
	v_min_u32_e32 v19, 32, v19
	v_mov_b32_e32 v113, v53
	v_subrev_nc_u32_e32 v23, 29, v19
	v_sub_nc_u32_e32 v19, 30, v19
	s_delay_alu instid0(VALU_DEP_2) | instskip(NEXT) | instid1(VALU_DEP_1)
	v_lshlrev_b64_e32 v[116:117], v23, v[112:113]
	v_and_b32_e32 v23, 3, v116
.LBB4_8046:                             ;   in Loop: Header=BB4_7360 Depth=2
	s_or_b32 exec_lo, exec_lo, s43
	v_bfe_i32 v25, v112, 0, 16
	s_delay_alu instid0(VALU_DEP_1) | instskip(NEXT) | instid1(VALU_DEP_1)
	v_and_b32_e32 v25, 0x80000000, v25
	v_lshl_add_u32 v19, v19, 23, v25
	s_delay_alu instid0(VALU_DEP_1) | instskip(NEXT) | instid1(VALU_DEP_1)
	v_lshl_or_b32 v19, v23, 21, v19
                                        ; implicit-def: $vgpr23
	v_add_nc_u32_e32 v19, 0x38000000, v19
.LBB4_8047:                             ;   in Loop: Header=BB4_7360 Depth=2
	s_and_not1_saveexec_b32 s42, s42
; %bb.8048:                             ;   in Loop: Header=BB4_7360 Depth=2
	v_cmp_lt_i16_e32 vcc_lo, -1, v112
	v_cndmask_b32_e32 v19, 0xff800000, v109, vcc_lo
	v_cmp_eq_u32_e32 vcc_lo, 0, v23
	s_delay_alu instid0(VALU_DEP_2)
	v_cndmask_b32_e32 v19, 0x7f800001, v19, vcc_lo
; %bb.8049:                             ;   in Loop: Header=BB4_7360 Depth=2
	s_or_b32 exec_lo, exec_lo, s42
.LBB4_8050:                             ;   in Loop: Header=BB4_7360 Depth=2
	s_delay_alu instid0(SALU_CYCLE_1)
	s_or_b32 exec_lo, exec_lo, s41
.LBB4_8051:                             ;   in Loop: Header=BB4_7360 Depth=2
	s_delay_alu instid0(SALU_CYCLE_1) | instskip(NEXT) | instid1(SALU_CYCLE_1)
	s_or_b32 exec_lo, exec_lo, s14
	s_mov_b32 s14, exec_lo
	s_wait_loadcnt_dscnt 0x505
	v_cmpx_ne_u16_e32 0, v102
	s_cbranch_execz .LBB4_8061
; %bb.8052:                             ;   in Loop: Header=BB4_7360 Depth=2
	v_bfrev_b32_e32 v21, 1
	s_mov_b32 s41, exec_lo
	v_cmpx_ne_u16_e32 0xff80, v102
	s_cbranch_execz .LBB4_8060
; %bb.8053:                             ;   in Loop: Header=BB4_7360 Depth=2
	v_and_b32_e32 v21, 0x7c, v102
	v_and_b32_e32 v23, 3, v102
	s_delay_alu instid0(VALU_DEP_2) | instskip(SKIP_1) | instid1(SALU_CYCLE_1)
	v_cmp_ne_u32_e32 vcc_lo, 0x7c, v21
                                        ; implicit-def: $vgpr21
	s_and_saveexec_b32 s42, vcc_lo
	s_xor_b32 s42, exec_lo, s42
	s_cbranch_execz .LBB4_8057
; %bb.8054:                             ;   in Loop: Header=BB4_7360 Depth=2
	v_and_b32_e32 v21, 0xff, v102
	s_mov_b32 s43, exec_lo
	s_delay_alu instid0(VALU_DEP_1) | instskip(NEXT) | instid1(VALU_DEP_1)
	v_bfe_u32 v21, v21, 2, 5
	v_cmpx_eq_u32_e32 0, v21
	s_cbranch_execz .LBB4_8056
; %bb.8055:                             ;   in Loop: Header=BB4_7360 Depth=2
	v_clz_i32_u32_e32 v21, v23
	s_delay_alu instid0(VALU_DEP_1) | instskip(SKIP_1) | instid1(VALU_DEP_2)
	v_min_u32_e32 v21, 32, v21
	v_mov_b32_e32 v103, v53
	v_subrev_nc_u32_e32 v23, 29, v21
	v_sub_nc_u32_e32 v21, 30, v21
	s_delay_alu instid0(VALU_DEP_2) | instskip(NEXT) | instid1(VALU_DEP_1)
	v_lshlrev_b64_e32 v[116:117], v23, v[102:103]
	v_and_b32_e32 v23, 3, v116
.LBB4_8056:                             ;   in Loop: Header=BB4_7360 Depth=2
	s_or_b32 exec_lo, exec_lo, s43
	v_bfe_i32 v25, v102, 0, 16
	s_delay_alu instid0(VALU_DEP_1) | instskip(NEXT) | instid1(VALU_DEP_1)
	v_and_b32_e32 v25, 0x80000000, v25
	v_lshl_add_u32 v21, v21, 23, v25
	s_delay_alu instid0(VALU_DEP_1) | instskip(NEXT) | instid1(VALU_DEP_1)
	v_lshl_or_b32 v21, v23, 21, v21
                                        ; implicit-def: $vgpr23
	v_add_nc_u32_e32 v21, 0x38000000, v21
.LBB4_8057:                             ;   in Loop: Header=BB4_7360 Depth=2
	s_and_not1_saveexec_b32 s42, s42
; %bb.8058:                             ;   in Loop: Header=BB4_7360 Depth=2
	v_cmp_lt_i16_e32 vcc_lo, -1, v102
	v_cndmask_b32_e32 v21, 0xff800000, v109, vcc_lo
	v_cmp_eq_u32_e32 vcc_lo, 0, v23
	s_delay_alu instid0(VALU_DEP_2)
	v_cndmask_b32_e32 v21, 0x7f800001, v21, vcc_lo
; %bb.8059:                             ;   in Loop: Header=BB4_7360 Depth=2
	s_or_b32 exec_lo, exec_lo, s42
.LBB4_8060:                             ;   in Loop: Header=BB4_7360 Depth=2
	s_delay_alu instid0(SALU_CYCLE_1)
	s_or_b32 exec_lo, exec_lo, s41
.LBB4_8061:                             ;   in Loop: Header=BB4_7360 Depth=2
	s_delay_alu instid0(SALU_CYCLE_1) | instskip(NEXT) | instid1(VALU_DEP_1)
	s_or_b32 exec_lo, exec_lo, s14
	v_dual_max_num_f32 v21, v21, v21 :: v_dual_max_num_f32 v19, v19, v19
	s_mov_b32 s14, 0
	s_delay_alu instid0(VALU_DEP_1)
	v_max_num_f32_e32 v19, v19, v21
.LBB4_8062:                             ;   in Loop: Header=BB4_7360 Depth=2
	s_and_b32 vcc_lo, exec_lo, s14
	s_cbranch_vccz .LBB4_8084
; %bb.8063:                             ;   in Loop: Header=BB4_7360 Depth=2
	v_dual_mov_b32 v21, 0 :: v_dual_mov_b32 v19, 0
	s_and_saveexec_b32 s14, s7
	s_cbranch_execz .LBB4_8073
; %bb.8064:                             ;   in Loop: Header=BB4_7360 Depth=2
	v_bfrev_b32_e32 v19, 1
	s_mov_b32 s7, exec_lo
	v_cmpx_ne_u16_e32 0xff80, v112
	s_cbranch_execz .LBB4_8072
; %bb.8065:                             ;   in Loop: Header=BB4_7360 Depth=2
	v_and_b32_e32 v19, 0x7c, v17
	v_and_b32_e32 v23, 3, v17
	s_delay_alu instid0(VALU_DEP_2) | instskip(SKIP_1) | instid1(SALU_CYCLE_1)
	v_cmp_ne_u32_e32 vcc_lo, 0x7c, v19
                                        ; implicit-def: $vgpr19
	s_and_saveexec_b32 s41, vcc_lo
	s_xor_b32 s41, exec_lo, s41
	s_cbranch_execz .LBB4_8069
; %bb.8066:                             ;   in Loop: Header=BB4_7360 Depth=2
	v_bfe_u32 v17, v17, 2, 5
	s_mov_b32 s42, exec_lo
	s_delay_alu instid0(VALU_DEP_1)
	v_cmpx_eq_u32_e32 0, v17
	s_cbranch_execz .LBB4_8068
; %bb.8067:                             ;   in Loop: Header=BB4_7360 Depth=2
	v_clz_i32_u32_e32 v17, v23
	s_delay_alu instid0(VALU_DEP_1) | instskip(SKIP_1) | instid1(VALU_DEP_2)
	v_min_u32_e32 v17, 32, v17
	v_mov_b32_e32 v113, v53
	v_subrev_nc_u32_e32 v19, 29, v17
	v_sub_nc_u32_e32 v17, 30, v17
	s_delay_alu instid0(VALU_DEP_2) | instskip(NEXT) | instid1(VALU_DEP_1)
	v_lshlrev_b64_e32 v[116:117], v19, v[112:113]
	v_and_b32_e32 v23, 3, v116
.LBB4_8068:                             ;   in Loop: Header=BB4_7360 Depth=2
	s_or_b32 exec_lo, exec_lo, s42
	v_bfe_i32 v19, v112, 0, 16
                                        ; implicit-def: $vgpr112
	s_delay_alu instid0(VALU_DEP_1) | instskip(NEXT) | instid1(VALU_DEP_1)
	v_and_b32_e32 v19, 0x80000000, v19
	v_lshl_add_u32 v17, v17, 23, v19
	s_delay_alu instid0(VALU_DEP_1) | instskip(NEXT) | instid1(VALU_DEP_1)
	v_lshl_or_b32 v17, v23, 21, v17
                                        ; implicit-def: $vgpr23
	v_add_nc_u32_e32 v19, 0x38000000, v17
.LBB4_8069:                             ;   in Loop: Header=BB4_7360 Depth=2
	s_and_not1_saveexec_b32 s41, s41
; %bb.8070:                             ;   in Loop: Header=BB4_7360 Depth=2
	v_cmp_lt_i16_e32 vcc_lo, -1, v112
	v_cndmask_b32_e32 v17, 0xff800000, v109, vcc_lo
	v_cmp_eq_u32_e32 vcc_lo, 0, v23
	s_delay_alu instid0(VALU_DEP_2)
	v_cndmask_b32_e32 v19, 0x7f800001, v17, vcc_lo
; %bb.8071:                             ;   in Loop: Header=BB4_7360 Depth=2
	s_or_b32 exec_lo, exec_lo, s41
.LBB4_8072:                             ;   in Loop: Header=BB4_7360 Depth=2
	s_delay_alu instid0(SALU_CYCLE_1)
	s_or_b32 exec_lo, exec_lo, s7
.LBB4_8073:                             ;   in Loop: Header=BB4_7360 Depth=2
	s_delay_alu instid0(SALU_CYCLE_1) | instskip(NEXT) | instid1(SALU_CYCLE_1)
	s_or_b32 exec_lo, exec_lo, s14
	s_mov_b32 s7, exec_lo
	s_wait_loadcnt_dscnt 0x505
	v_cmpx_ne_u16_e32 0, v102
	s_cbranch_execz .LBB4_8083
; %bb.8074:                             ;   in Loop: Header=BB4_7360 Depth=2
	v_bfrev_b32_e32 v21, 1
	s_mov_b32 s14, exec_lo
	v_cmpx_ne_u16_e32 0xff80, v102
	s_cbranch_execz .LBB4_8082
; %bb.8075:                             ;   in Loop: Header=BB4_7360 Depth=2
	v_and_b32_e32 v21, 0x7c, v102
	v_and_b32_e32 v17, 3, v102
	s_delay_alu instid0(VALU_DEP_2) | instskip(SKIP_1) | instid1(SALU_CYCLE_1)
	v_cmp_ne_u32_e32 vcc_lo, 0x7c, v21
                                        ; implicit-def: $vgpr21
	s_and_saveexec_b32 s41, vcc_lo
	s_xor_b32 s41, exec_lo, s41
	s_cbranch_execz .LBB4_8079
; %bb.8076:                             ;   in Loop: Header=BB4_7360 Depth=2
	v_and_b32_e32 v21, 0xff, v102
	s_mov_b32 s42, exec_lo
	s_delay_alu instid0(VALU_DEP_1) | instskip(NEXT) | instid1(VALU_DEP_1)
	v_bfe_u32 v21, v21, 2, 5
	v_cmpx_eq_u32_e32 0, v21
; %bb.8077:                             ;   in Loop: Header=BB4_7360 Depth=2
	v_clz_i32_u32_e32 v17, v17
	s_delay_alu instid0(VALU_DEP_1) | instskip(SKIP_1) | instid1(VALU_DEP_2)
	v_min_u32_e32 v17, 32, v17
	v_mov_b32_e32 v103, v53
	v_subrev_nc_u32_e32 v21, 29, v17
	s_delay_alu instid0(VALU_DEP_1) | instskip(NEXT) | instid1(VALU_DEP_1)
	v_lshlrev_b64_e32 v[112:113], v21, v[102:103]
	v_dual_sub_nc_u32 v21, 30, v17 :: v_dual_bitop2_b32 v17, 3, v112 bitop3:0x40
; %bb.8078:                             ;   in Loop: Header=BB4_7360 Depth=2
	s_or_b32 exec_lo, exec_lo, s42
	v_bfe_i32 v23, v102, 0, 16
                                        ; implicit-def: $vgpr102
	s_delay_alu instid0(VALU_DEP_1) | instskip(NEXT) | instid1(VALU_DEP_1)
	v_and_b32_e32 v23, 0x80000000, v23
	v_lshl_add_u32 v21, v21, 23, v23
	s_delay_alu instid0(VALU_DEP_1) | instskip(NEXT) | instid1(VALU_DEP_1)
	v_lshl_or_b32 v17, v17, 21, v21
	v_add_nc_u32_e32 v21, 0x38000000, v17
                                        ; implicit-def: $vgpr17
.LBB4_8079:                             ;   in Loop: Header=BB4_7360 Depth=2
	s_and_not1_saveexec_b32 s41, s41
; %bb.8080:                             ;   in Loop: Header=BB4_7360 Depth=2
	v_cmp_lt_i16_e32 vcc_lo, -1, v102
	v_cndmask_b32_e32 v21, 0xff800000, v109, vcc_lo
	v_cmp_eq_u32_e32 vcc_lo, 0, v17
	s_delay_alu instid0(VALU_DEP_2)
	v_cndmask_b32_e32 v21, 0x7f800001, v21, vcc_lo
; %bb.8081:                             ;   in Loop: Header=BB4_7360 Depth=2
	s_or_b32 exec_lo, exec_lo, s41
.LBB4_8082:                             ;   in Loop: Header=BB4_7360 Depth=2
	s_delay_alu instid0(SALU_CYCLE_1)
	s_or_b32 exec_lo, exec_lo, s14
.LBB4_8083:                             ;   in Loop: Header=BB4_7360 Depth=2
	s_delay_alu instid0(SALU_CYCLE_1) | instskip(NEXT) | instid1(VALU_DEP_1)
	s_or_b32 exec_lo, exec_lo, s7
	v_dual_max_num_f32 v17, v21, v21 :: v_dual_max_num_f32 v19, v19, v19
	s_delay_alu instid0(VALU_DEP_1)
	v_min_num_f32_e32 v19, v19, v17
.LBB4_8084:                             ;   in Loop: Header=BB4_7360 Depth=2
	s_wait_loadcnt_dscnt 0x505
	s_delay_alu instid0(VALU_DEP_1) | instskip(SKIP_2) | instid1(VALU_DEP_2)
	v_and_b32_e32 v102, 0x7f800000, v19
	v_mov_b32_e32 v103, v53
	v_and_b32_e32 v52, 0x7fffff, v19
	v_cmp_ne_u64_e32 vcc_lo, 0x7f800000, v[102:103]
                                        ; implicit-def: $vgpr103
	s_and_saveexec_b32 s7, vcc_lo
	s_delay_alu instid0(SALU_CYCLE_1)
	s_xor_b32 s14, exec_lo, s7
	s_cbranch_execz .LBB4_8102
; %bb.8085:                             ;   in Loop: Header=BB4_7360 Depth=2
	v_and_b32_e32 v102, 0x7fffffff, v19
	v_dual_mov_b32 v103, v53 :: v_dual_lshrrev_b32 v17, 24, v19
	s_delay_alu instid0(VALU_DEP_1) | instskip(NEXT) | instid1(VALU_DEP_2)
	v_cmp_gt_u64_e32 vcc_lo, 0x47600001, v[102:103]
	v_and_b32_e32 v17, 0x80, v17
                                        ; implicit-def: $vgpr103
	s_and_saveexec_b32 s7, vcc_lo
	s_delay_alu instid0(SALU_CYCLE_1)
	s_xor_b32 s41, exec_lo, s7
	s_cbranch_execz .LBB4_8099
; %bb.8086:                             ;   in Loop: Header=BB4_7360 Depth=2
	v_mov_b32_e32 v103, 0
	s_mov_b32 s42, exec_lo
	v_cmpx_ne_u32_e32 0, v19
	s_cbranch_execz .LBB4_8098
; %bb.8087:                             ;   in Loop: Header=BB4_7360 Depth=2
	v_bfe_u32 v19, v19, 23, 8
	v_or_b32_e32 v25, 0x800000, v52
	s_delay_alu instid0(VALU_DEP_2) | instskip(SKIP_1) | instid1(VALU_DEP_2)
	v_sub_nc_u32_e32 v21, 0x71, v19
	v_cmp_gt_u32_e32 vcc_lo, 0x72, v19
	v_cndmask_b32_e32 v21, 0, v21, vcc_lo
	v_cmp_eq_u32_e32 vcc_lo, 0, v19
	s_delay_alu instid0(VALU_DEP_2) | instskip(NEXT) | instid1(VALU_DEP_1)
	v_cndmask_b32_e64 v21, v21, 0x70, vcc_lo
	v_dual_cndmask_b32 v52, v25, v52 :: v_dual_add_nc_u32 v23, 21, v21
	s_delay_alu instid0(VALU_DEP_1) | instskip(SKIP_1) | instid1(VALU_DEP_1)
	v_lshlrev_b64_e64 v[102:103], v23, -1
	v_add_nc_u32_e32 v23, 20, v21
	v_lshlrev_b64_e64 v[112:113], v23, 1
	s_delay_alu instid0(VALU_DEP_3) | instskip(NEXT) | instid1(VALU_DEP_4)
	v_bfi_b32 v117, v103, 0, 0
	v_bfi_b32 v116, v102, 0, v52
	v_lshrrev_b64 v[102:103], v21, v[52:53]
	s_delay_alu instid0(VALU_DEP_2) | instskip(NEXT) | instid1(VALU_DEP_2)
	v_cmp_eq_u64_e64 s7, v[116:117], v[112:113]
	v_mov_b64_e32 v[112:113], v[102:103]
	s_and_saveexec_b32 s43, s7
; %bb.8088:                             ;   in Loop: Header=BB4_7360 Depth=2
	v_bfe_u32 v52, v102, 21, 1
	s_delay_alu instid0(VALU_DEP_1) | instskip(NEXT) | instid1(VALU_DEP_1)
	v_add_nc_u64_e32 v[112:113], v[102:103], v[52:53]
	v_add_nc_u64_e32 v[112:113], -1, v[112:113]
; %bb.8089:                             ;   in Loop: Header=BB4_7360 Depth=2
	s_or_b32 exec_lo, exec_lo, s43
	v_add_nc_u32_e32 v19, 0xffffff81, v19
	v_lshrrev_b32_e32 v23, 23, v102
	s_mov_b32 s7, exec_lo
	s_delay_alu instid0(VALU_DEP_2) | instskip(NEXT) | instid1(VALU_DEP_1)
	v_cndmask_b32_e64 v19, v19, 0xffffff82, vcc_lo
	v_add3_u32 v21, v21, v19, v23
	v_and_b32_e32 v19, 0x1fffff, v112
	s_delay_alu instid0(VALU_DEP_1) | instskip(NEXT) | instid1(VALU_DEP_1)
	v_dual_add_nc_u32 v23, 14, v21 :: v_dual_add_nc_u32 v52, v19, v102
                                        ; implicit-def: $vgpr102_vgpr103
                                        ; implicit-def: $vgpr19
	v_cmpx_ne_u32_e32 0, v23
	s_xor_b32 s7, exec_lo, s7
; %bb.8090:                             ;   in Loop: Header=BB4_7360 Depth=2
	s_delay_alu instid0(VALU_DEP_2) | instskip(SKIP_2) | instid1(VALU_DEP_2)
	v_cmp_lt_u64_e32 vcc_lo, 0xffffff, v[52:53]
	v_add_nc_u32_e32 v19, 15, v21
	v_cndmask_b32_e64 v21, 0, 1, vcc_lo
	v_cndmask_b32_e32 v19, v23, v19, vcc_lo
	s_delay_alu instid0(VALU_DEP_2)
	v_lshrrev_b64 v[102:103], v21, v[52:53]
; %bb.8091:                             ;   in Loop: Header=BB4_7360 Depth=2
	s_and_not1_saveexec_b32 s7, s7
; %bb.8092:                             ;   in Loop: Header=BB4_7360 Depth=2
	v_mov_b64_e32 v[102:103], v[52:53]
	v_bfe_u32 v19, v52, 23, 1
; %bb.8093:                             ;   in Loop: Header=BB4_7360 Depth=2
	s_or_b32 exec_lo, exec_lo, s7
	s_delay_alu instid0(VALU_DEP_2) | instskip(NEXT) | instid1(VALU_DEP_2)
	v_lshrrev_b64 v[102:103], 21, v[102:103]
	v_cmp_gt_i32_e32 vcc_lo, 32, v19
	v_cmp_ne_u32_e64 s7, 0, v19
	s_delay_alu instid0(VALU_DEP_3) | instskip(NEXT) | instid1(VALU_DEP_1)
	v_dual_cndmask_b32 v103, 0, v103 :: v_dual_cndmask_b32 v102, 3, v102
	v_cmp_ne_u64_e32 vcc_lo, 0, v[102:103]
                                        ; implicit-def: $vgpr103
	s_or_b32 s7, s7, vcc_lo
	s_delay_alu instid0(SALU_CYCLE_1) | instskip(NEXT) | instid1(SALU_CYCLE_1)
	s_and_saveexec_b32 s43, s7
	s_xor_b32 s7, exec_lo, s43
; %bb.8094:                             ;   in Loop: Header=BB4_7360 Depth=2
	v_min_i32_e32 v19, 31, v19
	s_delay_alu instid0(VALU_DEP_1) | instskip(NEXT) | instid1(VALU_DEP_1)
	v_lshl_or_b32 v17, v19, 2, v17
	v_and_or_b32 v103, v102, 3, v17
                                        ; implicit-def: $vgpr17
; %bb.8095:                             ;   in Loop: Header=BB4_7360 Depth=2
	s_and_not1_saveexec_b32 s7, s7
; %bb.8096:                             ;   in Loop: Header=BB4_7360 Depth=2
	v_mov_b32_e32 v103, v17
; %bb.8097:                             ;   in Loop: Header=BB4_7360 Depth=2
	s_or_b32 exec_lo, exec_lo, s7
.LBB4_8098:                             ;   in Loop: Header=BB4_7360 Depth=2
	s_delay_alu instid0(SALU_CYCLE_1)
	s_or_b32 exec_lo, exec_lo, s42
                                        ; implicit-def: $vgpr17
.LBB4_8099:                             ;   in Loop: Header=BB4_7360 Depth=2
	s_and_not1_saveexec_b32 s7, s41
; %bb.8100:                             ;   in Loop: Header=BB4_7360 Depth=2
	v_or_b32_e32 v103, 0x7b, v17
; %bb.8101:                             ;   in Loop: Header=BB4_7360 Depth=2
	s_or_b32 exec_lo, exec_lo, s7
                                        ; implicit-def: $vgpr19
.LBB4_8102:                             ;   in Loop: Header=BB4_7360 Depth=2
	s_and_not1_saveexec_b32 s7, s14
	s_cbranch_execz .LBB4_8108
; %bb.8103:                             ;   in Loop: Header=BB4_7360 Depth=2
	s_mov_b32 s14, exec_lo
                                        ; implicit-def: $vgpr103
	v_cmpx_ne_u64_e32 0, v[52:53]
	s_xor_b32 s14, exec_lo, s14
; %bb.8104:                             ;   in Loop: Header=BB4_7360 Depth=2
	v_lshrrev_b32_e32 v17, 24, v19
                                        ; implicit-def: $vgpr19
	s_delay_alu instid0(VALU_DEP_1)
	v_or_b32_e32 v103, 0x7f, v17
; %bb.8105:                             ;   in Loop: Header=BB4_7360 Depth=2
	s_and_not1_saveexec_b32 s14, s14
; %bb.8106:                             ;   in Loop: Header=BB4_7360 Depth=2
	v_cmp_lt_i32_e32 vcc_lo, -1, v19
	v_cndmask_b32_e64 v103, -4, 0x7c, vcc_lo
; %bb.8107:                             ;   in Loop: Header=BB4_7360 Depth=2
	s_or_b32 exec_lo, exec_lo, s14
.LBB4_8108:                             ;   in Loop: Header=BB4_7360 Depth=2
	s_delay_alu instid0(SALU_CYCLE_1)
	s_or_b32 exec_lo, exec_lo, s7
	v_and_b32_e32 v17, 0xff, v100
	v_cmp_ne_u16_e64 s7, 0, v100
	s_and_not1_b32 vcc_lo, exec_lo, s13
	s_mov_b32 s14, -1
                                        ; implicit-def: $vgpr19
	s_cbranch_vccnz .LBB4_8130
; %bb.8109:                             ;   in Loop: Header=BB4_7360 Depth=2
	v_dual_mov_b32 v21, 0 :: v_dual_mov_b32 v19, 0
	s_and_saveexec_b32 s14, s7
	s_cbranch_execz .LBB4_8119
; %bb.8110:                             ;   in Loop: Header=BB4_7360 Depth=2
	v_bfrev_b32_e32 v19, 1
	s_mov_b32 s41, exec_lo
	v_cmpx_ne_u16_e32 0xff80, v100
	s_cbranch_execz .LBB4_8118
; %bb.8111:                             ;   in Loop: Header=BB4_7360 Depth=2
	v_and_b32_e32 v19, 0x7c, v17
	v_and_b32_e32 v23, 3, v17
	s_delay_alu instid0(VALU_DEP_2) | instskip(SKIP_1) | instid1(SALU_CYCLE_1)
	v_cmp_ne_u32_e32 vcc_lo, 0x7c, v19
                                        ; implicit-def: $vgpr19
	s_and_saveexec_b32 s42, vcc_lo
	s_xor_b32 s42, exec_lo, s42
	s_cbranch_execz .LBB4_8115
; %bb.8112:                             ;   in Loop: Header=BB4_7360 Depth=2
	v_bfe_u32 v19, v17, 2, 5
	s_mov_b32 s43, exec_lo
	s_delay_alu instid0(VALU_DEP_1)
	v_cmpx_eq_u32_e32 0, v19
	s_cbranch_execz .LBB4_8114
; %bb.8113:                             ;   in Loop: Header=BB4_7360 Depth=2
	v_clz_i32_u32_e32 v19, v23
	s_delay_alu instid0(VALU_DEP_1) | instskip(SKIP_1) | instid1(VALU_DEP_2)
	v_min_u32_e32 v19, 32, v19
	v_mov_b32_e32 v101, v53
	v_subrev_nc_u32_e32 v23, 29, v19
	v_sub_nc_u32_e32 v19, 30, v19
	s_delay_alu instid0(VALU_DEP_2) | instskip(NEXT) | instid1(VALU_DEP_1)
	v_lshlrev_b64_e32 v[112:113], v23, v[100:101]
	v_and_b32_e32 v23, 3, v112
.LBB4_8114:                             ;   in Loop: Header=BB4_7360 Depth=2
	s_or_b32 exec_lo, exec_lo, s43
	v_bfe_i32 v25, v100, 0, 16
	s_delay_alu instid0(VALU_DEP_1) | instskip(NEXT) | instid1(VALU_DEP_1)
	v_and_b32_e32 v25, 0x80000000, v25
	v_lshl_add_u32 v19, v19, 23, v25
	s_delay_alu instid0(VALU_DEP_1) | instskip(NEXT) | instid1(VALU_DEP_1)
	v_lshl_or_b32 v19, v23, 21, v19
                                        ; implicit-def: $vgpr23
	v_add_nc_u32_e32 v19, 0x38000000, v19
.LBB4_8115:                             ;   in Loop: Header=BB4_7360 Depth=2
	s_and_not1_saveexec_b32 s42, s42
; %bb.8116:                             ;   in Loop: Header=BB4_7360 Depth=2
	v_cmp_lt_i16_e32 vcc_lo, -1, v100
	v_cndmask_b32_e32 v19, 0xff800000, v109, vcc_lo
	v_cmp_eq_u32_e32 vcc_lo, 0, v23
	s_delay_alu instid0(VALU_DEP_2)
	v_cndmask_b32_e32 v19, 0x7f800001, v19, vcc_lo
; %bb.8117:                             ;   in Loop: Header=BB4_7360 Depth=2
	s_or_b32 exec_lo, exec_lo, s42
.LBB4_8118:                             ;   in Loop: Header=BB4_7360 Depth=2
	s_delay_alu instid0(SALU_CYCLE_1)
	s_or_b32 exec_lo, exec_lo, s41
.LBB4_8119:                             ;   in Loop: Header=BB4_7360 Depth=2
	s_delay_alu instid0(SALU_CYCLE_1) | instskip(NEXT) | instid1(SALU_CYCLE_1)
	s_or_b32 exec_lo, exec_lo, s14
	s_mov_b32 s14, exec_lo
	s_wait_loadcnt_dscnt 0x404
	v_cmpx_ne_u16_e32 0, v98
	s_cbranch_execz .LBB4_8129
; %bb.8120:                             ;   in Loop: Header=BB4_7360 Depth=2
	v_bfrev_b32_e32 v21, 1
	s_mov_b32 s41, exec_lo
	v_cmpx_ne_u16_e32 0xff80, v98
	s_cbranch_execz .LBB4_8128
; %bb.8121:                             ;   in Loop: Header=BB4_7360 Depth=2
	v_and_b32_e32 v21, 0x7c, v98
	v_and_b32_e32 v23, 3, v98
	s_delay_alu instid0(VALU_DEP_2) | instskip(SKIP_1) | instid1(SALU_CYCLE_1)
	v_cmp_ne_u32_e32 vcc_lo, 0x7c, v21
                                        ; implicit-def: $vgpr21
	s_and_saveexec_b32 s42, vcc_lo
	s_xor_b32 s42, exec_lo, s42
	s_cbranch_execz .LBB4_8125
; %bb.8122:                             ;   in Loop: Header=BB4_7360 Depth=2
	v_and_b32_e32 v21, 0xff, v98
	s_mov_b32 s43, exec_lo
	s_delay_alu instid0(VALU_DEP_1) | instskip(NEXT) | instid1(VALU_DEP_1)
	v_bfe_u32 v21, v21, 2, 5
	v_cmpx_eq_u32_e32 0, v21
	s_cbranch_execz .LBB4_8124
; %bb.8123:                             ;   in Loop: Header=BB4_7360 Depth=2
	v_clz_i32_u32_e32 v21, v23
	s_delay_alu instid0(VALU_DEP_1) | instskip(SKIP_1) | instid1(VALU_DEP_2)
	v_min_u32_e32 v21, 32, v21
	v_mov_b32_e32 v99, v53
	v_subrev_nc_u32_e32 v23, 29, v21
	v_sub_nc_u32_e32 v21, 30, v21
	s_delay_alu instid0(VALU_DEP_2) | instskip(NEXT) | instid1(VALU_DEP_1)
	v_lshlrev_b64_e32 v[112:113], v23, v[98:99]
	v_and_b32_e32 v23, 3, v112
.LBB4_8124:                             ;   in Loop: Header=BB4_7360 Depth=2
	s_or_b32 exec_lo, exec_lo, s43
	v_bfe_i32 v25, v98, 0, 16
	s_delay_alu instid0(VALU_DEP_1) | instskip(NEXT) | instid1(VALU_DEP_1)
	v_and_b32_e32 v25, 0x80000000, v25
	v_lshl_add_u32 v21, v21, 23, v25
	s_delay_alu instid0(VALU_DEP_1) | instskip(NEXT) | instid1(VALU_DEP_1)
	v_lshl_or_b32 v21, v23, 21, v21
                                        ; implicit-def: $vgpr23
	v_add_nc_u32_e32 v21, 0x38000000, v21
.LBB4_8125:                             ;   in Loop: Header=BB4_7360 Depth=2
	s_and_not1_saveexec_b32 s42, s42
; %bb.8126:                             ;   in Loop: Header=BB4_7360 Depth=2
	v_cmp_lt_i16_e32 vcc_lo, -1, v98
	v_cndmask_b32_e32 v21, 0xff800000, v109, vcc_lo
	v_cmp_eq_u32_e32 vcc_lo, 0, v23
	s_delay_alu instid0(VALU_DEP_2)
	v_cndmask_b32_e32 v21, 0x7f800001, v21, vcc_lo
; %bb.8127:                             ;   in Loop: Header=BB4_7360 Depth=2
	s_or_b32 exec_lo, exec_lo, s42
.LBB4_8128:                             ;   in Loop: Header=BB4_7360 Depth=2
	s_delay_alu instid0(SALU_CYCLE_1)
	s_or_b32 exec_lo, exec_lo, s41
.LBB4_8129:                             ;   in Loop: Header=BB4_7360 Depth=2
	s_delay_alu instid0(SALU_CYCLE_1) | instskip(NEXT) | instid1(VALU_DEP_1)
	s_or_b32 exec_lo, exec_lo, s14
	v_dual_max_num_f32 v21, v21, v21 :: v_dual_max_num_f32 v19, v19, v19
	s_mov_b32 s14, 0
	s_delay_alu instid0(VALU_DEP_1)
	v_max_num_f32_e32 v19, v19, v21
.LBB4_8130:                             ;   in Loop: Header=BB4_7360 Depth=2
	s_and_b32 vcc_lo, exec_lo, s14
	s_cbranch_vccz .LBB4_8152
; %bb.8131:                             ;   in Loop: Header=BB4_7360 Depth=2
	v_dual_mov_b32 v21, 0 :: v_dual_mov_b32 v19, 0
	s_and_saveexec_b32 s14, s7
	s_cbranch_execz .LBB4_8141
; %bb.8132:                             ;   in Loop: Header=BB4_7360 Depth=2
	v_bfrev_b32_e32 v19, 1
	s_mov_b32 s7, exec_lo
	v_cmpx_ne_u16_e32 0xff80, v100
	s_cbranch_execz .LBB4_8140
; %bb.8133:                             ;   in Loop: Header=BB4_7360 Depth=2
	v_and_b32_e32 v19, 0x7c, v17
	v_and_b32_e32 v23, 3, v17
	s_delay_alu instid0(VALU_DEP_2) | instskip(SKIP_1) | instid1(SALU_CYCLE_1)
	v_cmp_ne_u32_e32 vcc_lo, 0x7c, v19
                                        ; implicit-def: $vgpr19
	s_and_saveexec_b32 s41, vcc_lo
	s_xor_b32 s41, exec_lo, s41
	s_cbranch_execz .LBB4_8137
; %bb.8134:                             ;   in Loop: Header=BB4_7360 Depth=2
	v_bfe_u32 v17, v17, 2, 5
	s_mov_b32 s42, exec_lo
	s_delay_alu instid0(VALU_DEP_1)
	v_cmpx_eq_u32_e32 0, v17
	s_cbranch_execz .LBB4_8136
; %bb.8135:                             ;   in Loop: Header=BB4_7360 Depth=2
	v_clz_i32_u32_e32 v17, v23
	s_delay_alu instid0(VALU_DEP_1) | instskip(SKIP_1) | instid1(VALU_DEP_2)
	v_min_u32_e32 v17, 32, v17
	v_mov_b32_e32 v101, v53
	v_subrev_nc_u32_e32 v19, 29, v17
	v_sub_nc_u32_e32 v17, 30, v17
	s_delay_alu instid0(VALU_DEP_2) | instskip(NEXT) | instid1(VALU_DEP_1)
	v_lshlrev_b64_e32 v[112:113], v19, v[100:101]
	v_and_b32_e32 v23, 3, v112
.LBB4_8136:                             ;   in Loop: Header=BB4_7360 Depth=2
	s_or_b32 exec_lo, exec_lo, s42
	v_bfe_i32 v19, v100, 0, 16
                                        ; implicit-def: $vgpr100
	s_delay_alu instid0(VALU_DEP_1) | instskip(NEXT) | instid1(VALU_DEP_1)
	v_and_b32_e32 v19, 0x80000000, v19
	v_lshl_add_u32 v17, v17, 23, v19
	s_delay_alu instid0(VALU_DEP_1) | instskip(NEXT) | instid1(VALU_DEP_1)
	v_lshl_or_b32 v17, v23, 21, v17
                                        ; implicit-def: $vgpr23
	v_add_nc_u32_e32 v19, 0x38000000, v17
.LBB4_8137:                             ;   in Loop: Header=BB4_7360 Depth=2
	s_and_not1_saveexec_b32 s41, s41
; %bb.8138:                             ;   in Loop: Header=BB4_7360 Depth=2
	v_cmp_lt_i16_e32 vcc_lo, -1, v100
	v_cndmask_b32_e32 v17, 0xff800000, v109, vcc_lo
	v_cmp_eq_u32_e32 vcc_lo, 0, v23
	s_delay_alu instid0(VALU_DEP_2)
	v_cndmask_b32_e32 v19, 0x7f800001, v17, vcc_lo
; %bb.8139:                             ;   in Loop: Header=BB4_7360 Depth=2
	s_or_b32 exec_lo, exec_lo, s41
.LBB4_8140:                             ;   in Loop: Header=BB4_7360 Depth=2
	s_delay_alu instid0(SALU_CYCLE_1)
	s_or_b32 exec_lo, exec_lo, s7
.LBB4_8141:                             ;   in Loop: Header=BB4_7360 Depth=2
	s_delay_alu instid0(SALU_CYCLE_1) | instskip(NEXT) | instid1(SALU_CYCLE_1)
	s_or_b32 exec_lo, exec_lo, s14
	s_mov_b32 s7, exec_lo
	s_wait_loadcnt_dscnt 0x404
	v_cmpx_ne_u16_e32 0, v98
	s_cbranch_execz .LBB4_8151
; %bb.8142:                             ;   in Loop: Header=BB4_7360 Depth=2
	v_bfrev_b32_e32 v21, 1
	s_mov_b32 s14, exec_lo
	v_cmpx_ne_u16_e32 0xff80, v98
	s_cbranch_execz .LBB4_8150
; %bb.8143:                             ;   in Loop: Header=BB4_7360 Depth=2
	v_and_b32_e32 v21, 0x7c, v98
	v_and_b32_e32 v17, 3, v98
	s_delay_alu instid0(VALU_DEP_2) | instskip(SKIP_1) | instid1(SALU_CYCLE_1)
	v_cmp_ne_u32_e32 vcc_lo, 0x7c, v21
                                        ; implicit-def: $vgpr21
	s_and_saveexec_b32 s41, vcc_lo
	s_xor_b32 s41, exec_lo, s41
	s_cbranch_execz .LBB4_8147
; %bb.8144:                             ;   in Loop: Header=BB4_7360 Depth=2
	v_and_b32_e32 v21, 0xff, v98
	s_mov_b32 s42, exec_lo
	s_delay_alu instid0(VALU_DEP_1) | instskip(NEXT) | instid1(VALU_DEP_1)
	v_bfe_u32 v21, v21, 2, 5
	v_cmpx_eq_u32_e32 0, v21
; %bb.8145:                             ;   in Loop: Header=BB4_7360 Depth=2
	v_clz_i32_u32_e32 v17, v17
	s_delay_alu instid0(VALU_DEP_1) | instskip(SKIP_1) | instid1(VALU_DEP_2)
	v_min_u32_e32 v17, 32, v17
	v_mov_b32_e32 v99, v53
	v_subrev_nc_u32_e32 v21, 29, v17
	s_delay_alu instid0(VALU_DEP_1) | instskip(NEXT) | instid1(VALU_DEP_1)
	v_lshlrev_b64_e32 v[100:101], v21, v[98:99]
	v_dual_sub_nc_u32 v21, 30, v17 :: v_dual_bitop2_b32 v17, 3, v100 bitop3:0x40
; %bb.8146:                             ;   in Loop: Header=BB4_7360 Depth=2
	s_or_b32 exec_lo, exec_lo, s42
	v_bfe_i32 v23, v98, 0, 16
                                        ; implicit-def: $vgpr98
	s_delay_alu instid0(VALU_DEP_1) | instskip(NEXT) | instid1(VALU_DEP_1)
	v_and_b32_e32 v23, 0x80000000, v23
	v_lshl_add_u32 v21, v21, 23, v23
	s_delay_alu instid0(VALU_DEP_1) | instskip(NEXT) | instid1(VALU_DEP_1)
	v_lshl_or_b32 v17, v17, 21, v21
	v_add_nc_u32_e32 v21, 0x38000000, v17
                                        ; implicit-def: $vgpr17
.LBB4_8147:                             ;   in Loop: Header=BB4_7360 Depth=2
	s_and_not1_saveexec_b32 s41, s41
; %bb.8148:                             ;   in Loop: Header=BB4_7360 Depth=2
	v_cmp_lt_i16_e32 vcc_lo, -1, v98
	v_cndmask_b32_e32 v21, 0xff800000, v109, vcc_lo
	v_cmp_eq_u32_e32 vcc_lo, 0, v17
	s_delay_alu instid0(VALU_DEP_2)
	v_cndmask_b32_e32 v21, 0x7f800001, v21, vcc_lo
; %bb.8149:                             ;   in Loop: Header=BB4_7360 Depth=2
	s_or_b32 exec_lo, exec_lo, s41
.LBB4_8150:                             ;   in Loop: Header=BB4_7360 Depth=2
	s_delay_alu instid0(SALU_CYCLE_1)
	s_or_b32 exec_lo, exec_lo, s14
.LBB4_8151:                             ;   in Loop: Header=BB4_7360 Depth=2
	s_delay_alu instid0(SALU_CYCLE_1) | instskip(NEXT) | instid1(VALU_DEP_1)
	s_or_b32 exec_lo, exec_lo, s7
	v_dual_max_num_f32 v17, v21, v21 :: v_dual_max_num_f32 v19, v19, v19
	s_delay_alu instid0(VALU_DEP_1)
	v_min_num_f32_e32 v19, v19, v17
.LBB4_8152:                             ;   in Loop: Header=BB4_7360 Depth=2
	s_wait_loadcnt_dscnt 0x404
	s_delay_alu instid0(VALU_DEP_1) | instskip(SKIP_2) | instid1(VALU_DEP_2)
	v_and_b32_e32 v98, 0x7f800000, v19
	v_mov_b32_e32 v99, v53
	v_and_b32_e32 v52, 0x7fffff, v19
	v_cmp_ne_u64_e32 vcc_lo, 0x7f800000, v[98:99]
                                        ; implicit-def: $vgpr99
	s_and_saveexec_b32 s7, vcc_lo
	s_delay_alu instid0(SALU_CYCLE_1)
	s_xor_b32 s14, exec_lo, s7
	s_cbranch_execz .LBB4_8170
; %bb.8153:                             ;   in Loop: Header=BB4_7360 Depth=2
	v_and_b32_e32 v98, 0x7fffffff, v19
	v_dual_mov_b32 v99, v53 :: v_dual_lshrrev_b32 v17, 24, v19
	s_delay_alu instid0(VALU_DEP_1) | instskip(NEXT) | instid1(VALU_DEP_2)
	v_cmp_gt_u64_e32 vcc_lo, 0x47600001, v[98:99]
	v_and_b32_e32 v17, 0x80, v17
                                        ; implicit-def: $vgpr99
	s_and_saveexec_b32 s7, vcc_lo
	s_delay_alu instid0(SALU_CYCLE_1)
	s_xor_b32 s41, exec_lo, s7
	s_cbranch_execz .LBB4_8167
; %bb.8154:                             ;   in Loop: Header=BB4_7360 Depth=2
	v_mov_b32_e32 v99, 0
	s_mov_b32 s42, exec_lo
	v_cmpx_ne_u32_e32 0, v19
	s_cbranch_execz .LBB4_8166
; %bb.8155:                             ;   in Loop: Header=BB4_7360 Depth=2
	v_bfe_u32 v19, v19, 23, 8
	v_or_b32_e32 v25, 0x800000, v52
	s_delay_alu instid0(VALU_DEP_2) | instskip(SKIP_1) | instid1(VALU_DEP_2)
	v_sub_nc_u32_e32 v21, 0x71, v19
	v_cmp_gt_u32_e32 vcc_lo, 0x72, v19
	v_cndmask_b32_e32 v21, 0, v21, vcc_lo
	v_cmp_eq_u32_e32 vcc_lo, 0, v19
	s_delay_alu instid0(VALU_DEP_2) | instskip(NEXT) | instid1(VALU_DEP_1)
	v_cndmask_b32_e64 v21, v21, 0x70, vcc_lo
	v_dual_cndmask_b32 v52, v25, v52 :: v_dual_add_nc_u32 v23, 21, v21
	s_delay_alu instid0(VALU_DEP_1) | instskip(SKIP_1) | instid1(VALU_DEP_1)
	v_lshlrev_b64_e64 v[98:99], v23, -1
	v_add_nc_u32_e32 v23, 20, v21
	v_lshlrev_b64_e64 v[100:101], v23, 1
	s_delay_alu instid0(VALU_DEP_3) | instskip(NEXT) | instid1(VALU_DEP_4)
	v_bfi_b32 v113, v99, 0, 0
	v_bfi_b32 v112, v98, 0, v52
	v_lshrrev_b64 v[98:99], v21, v[52:53]
	s_delay_alu instid0(VALU_DEP_2) | instskip(NEXT) | instid1(VALU_DEP_2)
	v_cmp_eq_u64_e64 s7, v[112:113], v[100:101]
	v_mov_b64_e32 v[100:101], v[98:99]
	s_and_saveexec_b32 s43, s7
; %bb.8156:                             ;   in Loop: Header=BB4_7360 Depth=2
	v_bfe_u32 v52, v98, 21, 1
	s_delay_alu instid0(VALU_DEP_1) | instskip(NEXT) | instid1(VALU_DEP_1)
	v_add_nc_u64_e32 v[100:101], v[98:99], v[52:53]
	v_add_nc_u64_e32 v[100:101], -1, v[100:101]
; %bb.8157:                             ;   in Loop: Header=BB4_7360 Depth=2
	s_or_b32 exec_lo, exec_lo, s43
	v_add_nc_u32_e32 v19, 0xffffff81, v19
	v_lshrrev_b32_e32 v23, 23, v98
	s_mov_b32 s7, exec_lo
	s_delay_alu instid0(VALU_DEP_2) | instskip(NEXT) | instid1(VALU_DEP_1)
	v_cndmask_b32_e64 v19, v19, 0xffffff82, vcc_lo
	v_add3_u32 v21, v21, v19, v23
	v_and_b32_e32 v19, 0x1fffff, v100
	s_delay_alu instid0(VALU_DEP_1) | instskip(NEXT) | instid1(VALU_DEP_1)
	v_dual_add_nc_u32 v23, 14, v21 :: v_dual_add_nc_u32 v52, v19, v98
                                        ; implicit-def: $vgpr98_vgpr99
                                        ; implicit-def: $vgpr19
	v_cmpx_ne_u32_e32 0, v23
	s_xor_b32 s7, exec_lo, s7
; %bb.8158:                             ;   in Loop: Header=BB4_7360 Depth=2
	s_delay_alu instid0(VALU_DEP_2) | instskip(SKIP_2) | instid1(VALU_DEP_2)
	v_cmp_lt_u64_e32 vcc_lo, 0xffffff, v[52:53]
	v_add_nc_u32_e32 v19, 15, v21
	v_cndmask_b32_e64 v21, 0, 1, vcc_lo
	v_cndmask_b32_e32 v19, v23, v19, vcc_lo
	s_delay_alu instid0(VALU_DEP_2)
	v_lshrrev_b64 v[98:99], v21, v[52:53]
; %bb.8159:                             ;   in Loop: Header=BB4_7360 Depth=2
	s_and_not1_saveexec_b32 s7, s7
; %bb.8160:                             ;   in Loop: Header=BB4_7360 Depth=2
	v_mov_b64_e32 v[98:99], v[52:53]
	v_bfe_u32 v19, v52, 23, 1
; %bb.8161:                             ;   in Loop: Header=BB4_7360 Depth=2
	s_or_b32 exec_lo, exec_lo, s7
	s_delay_alu instid0(VALU_DEP_2) | instskip(NEXT) | instid1(VALU_DEP_2)
	v_lshrrev_b64 v[98:99], 21, v[98:99]
	v_cmp_gt_i32_e32 vcc_lo, 32, v19
	v_cmp_ne_u32_e64 s7, 0, v19
	s_delay_alu instid0(VALU_DEP_3) | instskip(NEXT) | instid1(VALU_DEP_1)
	v_dual_cndmask_b32 v99, 0, v99 :: v_dual_cndmask_b32 v98, 3, v98
	v_cmp_ne_u64_e32 vcc_lo, 0, v[98:99]
                                        ; implicit-def: $vgpr99
	s_or_b32 s7, s7, vcc_lo
	s_delay_alu instid0(SALU_CYCLE_1) | instskip(NEXT) | instid1(SALU_CYCLE_1)
	s_and_saveexec_b32 s43, s7
	s_xor_b32 s7, exec_lo, s43
; %bb.8162:                             ;   in Loop: Header=BB4_7360 Depth=2
	v_min_i32_e32 v19, 31, v19
	s_delay_alu instid0(VALU_DEP_1) | instskip(NEXT) | instid1(VALU_DEP_1)
	v_lshl_or_b32 v17, v19, 2, v17
	v_and_or_b32 v99, v98, 3, v17
                                        ; implicit-def: $vgpr17
; %bb.8163:                             ;   in Loop: Header=BB4_7360 Depth=2
	s_and_not1_saveexec_b32 s7, s7
; %bb.8164:                             ;   in Loop: Header=BB4_7360 Depth=2
	v_mov_b32_e32 v99, v17
; %bb.8165:                             ;   in Loop: Header=BB4_7360 Depth=2
	s_or_b32 exec_lo, exec_lo, s7
.LBB4_8166:                             ;   in Loop: Header=BB4_7360 Depth=2
	s_delay_alu instid0(SALU_CYCLE_1)
	s_or_b32 exec_lo, exec_lo, s42
                                        ; implicit-def: $vgpr17
.LBB4_8167:                             ;   in Loop: Header=BB4_7360 Depth=2
	s_and_not1_saveexec_b32 s7, s41
; %bb.8168:                             ;   in Loop: Header=BB4_7360 Depth=2
	v_or_b32_e32 v99, 0x7b, v17
; %bb.8169:                             ;   in Loop: Header=BB4_7360 Depth=2
	s_or_b32 exec_lo, exec_lo, s7
                                        ; implicit-def: $vgpr19
.LBB4_8170:                             ;   in Loop: Header=BB4_7360 Depth=2
	s_and_not1_saveexec_b32 s7, s14
	s_cbranch_execz .LBB4_8176
; %bb.8171:                             ;   in Loop: Header=BB4_7360 Depth=2
	s_mov_b32 s14, exec_lo
                                        ; implicit-def: $vgpr99
	v_cmpx_ne_u64_e32 0, v[52:53]
	s_xor_b32 s14, exec_lo, s14
; %bb.8172:                             ;   in Loop: Header=BB4_7360 Depth=2
	v_lshrrev_b32_e32 v17, 24, v19
                                        ; implicit-def: $vgpr19
	s_delay_alu instid0(VALU_DEP_1)
	v_or_b32_e32 v99, 0x7f, v17
; %bb.8173:                             ;   in Loop: Header=BB4_7360 Depth=2
	s_and_not1_saveexec_b32 s14, s14
; %bb.8174:                             ;   in Loop: Header=BB4_7360 Depth=2
	v_cmp_lt_i32_e32 vcc_lo, -1, v19
	v_cndmask_b32_e64 v99, -4, 0x7c, vcc_lo
; %bb.8175:                             ;   in Loop: Header=BB4_7360 Depth=2
	s_or_b32 exec_lo, exec_lo, s14
.LBB4_8176:                             ;   in Loop: Header=BB4_7360 Depth=2
	s_delay_alu instid0(SALU_CYCLE_1)
	s_or_b32 exec_lo, exec_lo, s7
	v_and_b32_e32 v17, 0xff, v96
	v_cmp_ne_u16_e64 s7, 0, v96
	s_and_not1_b32 vcc_lo, exec_lo, s13
	s_mov_b32 s14, -1
                                        ; implicit-def: $vgpr19
	s_cbranch_vccnz .LBB4_8198
; %bb.8177:                             ;   in Loop: Header=BB4_7360 Depth=2
	v_dual_mov_b32 v21, 0 :: v_dual_mov_b32 v19, 0
	s_and_saveexec_b32 s14, s7
	s_cbranch_execz .LBB4_8187
; %bb.8178:                             ;   in Loop: Header=BB4_7360 Depth=2
	v_bfrev_b32_e32 v19, 1
	s_mov_b32 s41, exec_lo
	v_cmpx_ne_u16_e32 0xff80, v96
	s_cbranch_execz .LBB4_8186
; %bb.8179:                             ;   in Loop: Header=BB4_7360 Depth=2
	v_and_b32_e32 v19, 0x7c, v17
	v_and_b32_e32 v23, 3, v17
	s_delay_alu instid0(VALU_DEP_2) | instskip(SKIP_1) | instid1(SALU_CYCLE_1)
	v_cmp_ne_u32_e32 vcc_lo, 0x7c, v19
                                        ; implicit-def: $vgpr19
	s_and_saveexec_b32 s42, vcc_lo
	s_xor_b32 s42, exec_lo, s42
	s_cbranch_execz .LBB4_8183
; %bb.8180:                             ;   in Loop: Header=BB4_7360 Depth=2
	v_bfe_u32 v19, v17, 2, 5
	s_mov_b32 s43, exec_lo
	s_delay_alu instid0(VALU_DEP_1)
	v_cmpx_eq_u32_e32 0, v19
	s_cbranch_execz .LBB4_8182
; %bb.8181:                             ;   in Loop: Header=BB4_7360 Depth=2
	v_clz_i32_u32_e32 v19, v23
	s_delay_alu instid0(VALU_DEP_1) | instskip(SKIP_1) | instid1(VALU_DEP_2)
	v_min_u32_e32 v19, 32, v19
	v_mov_b32_e32 v97, v53
	v_subrev_nc_u32_e32 v23, 29, v19
	v_sub_nc_u32_e32 v19, 30, v19
	s_delay_alu instid0(VALU_DEP_2) | instskip(NEXT) | instid1(VALU_DEP_1)
	v_lshlrev_b64_e32 v[100:101], v23, v[96:97]
	v_and_b32_e32 v23, 3, v100
.LBB4_8182:                             ;   in Loop: Header=BB4_7360 Depth=2
	s_or_b32 exec_lo, exec_lo, s43
	v_bfe_i32 v25, v96, 0, 16
	s_delay_alu instid0(VALU_DEP_1) | instskip(NEXT) | instid1(VALU_DEP_1)
	v_and_b32_e32 v25, 0x80000000, v25
	v_lshl_add_u32 v19, v19, 23, v25
	s_delay_alu instid0(VALU_DEP_1) | instskip(NEXT) | instid1(VALU_DEP_1)
	v_lshl_or_b32 v19, v23, 21, v19
                                        ; implicit-def: $vgpr23
	v_add_nc_u32_e32 v19, 0x38000000, v19
.LBB4_8183:                             ;   in Loop: Header=BB4_7360 Depth=2
	s_and_not1_saveexec_b32 s42, s42
; %bb.8184:                             ;   in Loop: Header=BB4_7360 Depth=2
	v_cmp_lt_i16_e32 vcc_lo, -1, v96
	v_cndmask_b32_e32 v19, 0xff800000, v109, vcc_lo
	v_cmp_eq_u32_e32 vcc_lo, 0, v23
	s_delay_alu instid0(VALU_DEP_2)
	v_cndmask_b32_e32 v19, 0x7f800001, v19, vcc_lo
; %bb.8185:                             ;   in Loop: Header=BB4_7360 Depth=2
	s_or_b32 exec_lo, exec_lo, s42
.LBB4_8186:                             ;   in Loop: Header=BB4_7360 Depth=2
	s_delay_alu instid0(SALU_CYCLE_1)
	s_or_b32 exec_lo, exec_lo, s41
.LBB4_8187:                             ;   in Loop: Header=BB4_7360 Depth=2
	s_delay_alu instid0(SALU_CYCLE_1) | instskip(NEXT) | instid1(SALU_CYCLE_1)
	s_or_b32 exec_lo, exec_lo, s14
	s_mov_b32 s14, exec_lo
	s_wait_loadcnt_dscnt 0x303
	v_cmpx_ne_u16_e32 0, v86
	s_cbranch_execz .LBB4_8197
; %bb.8188:                             ;   in Loop: Header=BB4_7360 Depth=2
	v_bfrev_b32_e32 v21, 1
	s_mov_b32 s41, exec_lo
	v_cmpx_ne_u16_e32 0xff80, v86
	s_cbranch_execz .LBB4_8196
; %bb.8189:                             ;   in Loop: Header=BB4_7360 Depth=2
	v_and_b32_e32 v21, 0x7c, v86
	v_and_b32_e32 v23, 3, v86
	s_delay_alu instid0(VALU_DEP_2) | instskip(SKIP_1) | instid1(SALU_CYCLE_1)
	v_cmp_ne_u32_e32 vcc_lo, 0x7c, v21
                                        ; implicit-def: $vgpr21
	s_and_saveexec_b32 s42, vcc_lo
	s_xor_b32 s42, exec_lo, s42
	s_cbranch_execz .LBB4_8193
; %bb.8190:                             ;   in Loop: Header=BB4_7360 Depth=2
	v_and_b32_e32 v21, 0xff, v86
	s_mov_b32 s43, exec_lo
	s_delay_alu instid0(VALU_DEP_1) | instskip(NEXT) | instid1(VALU_DEP_1)
	v_bfe_u32 v21, v21, 2, 5
	v_cmpx_eq_u32_e32 0, v21
	s_cbranch_execz .LBB4_8192
; %bb.8191:                             ;   in Loop: Header=BB4_7360 Depth=2
	v_clz_i32_u32_e32 v21, v23
	s_delay_alu instid0(VALU_DEP_1) | instskip(SKIP_1) | instid1(VALU_DEP_2)
	v_min_u32_e32 v21, 32, v21
	v_mov_b32_e32 v87, v53
	v_subrev_nc_u32_e32 v23, 29, v21
	v_sub_nc_u32_e32 v21, 30, v21
	s_delay_alu instid0(VALU_DEP_2) | instskip(NEXT) | instid1(VALU_DEP_1)
	v_lshlrev_b64_e32 v[100:101], v23, v[86:87]
	v_and_b32_e32 v23, 3, v100
.LBB4_8192:                             ;   in Loop: Header=BB4_7360 Depth=2
	s_or_b32 exec_lo, exec_lo, s43
	v_bfe_i32 v25, v86, 0, 16
	s_delay_alu instid0(VALU_DEP_1) | instskip(NEXT) | instid1(VALU_DEP_1)
	v_and_b32_e32 v25, 0x80000000, v25
	v_lshl_add_u32 v21, v21, 23, v25
	s_delay_alu instid0(VALU_DEP_1) | instskip(NEXT) | instid1(VALU_DEP_1)
	v_lshl_or_b32 v21, v23, 21, v21
                                        ; implicit-def: $vgpr23
	v_add_nc_u32_e32 v21, 0x38000000, v21
.LBB4_8193:                             ;   in Loop: Header=BB4_7360 Depth=2
	s_and_not1_saveexec_b32 s42, s42
; %bb.8194:                             ;   in Loop: Header=BB4_7360 Depth=2
	v_cmp_lt_i16_e32 vcc_lo, -1, v86
	v_cndmask_b32_e32 v21, 0xff800000, v109, vcc_lo
	v_cmp_eq_u32_e32 vcc_lo, 0, v23
	s_delay_alu instid0(VALU_DEP_2)
	v_cndmask_b32_e32 v21, 0x7f800001, v21, vcc_lo
; %bb.8195:                             ;   in Loop: Header=BB4_7360 Depth=2
	s_or_b32 exec_lo, exec_lo, s42
.LBB4_8196:                             ;   in Loop: Header=BB4_7360 Depth=2
	s_delay_alu instid0(SALU_CYCLE_1)
	s_or_b32 exec_lo, exec_lo, s41
.LBB4_8197:                             ;   in Loop: Header=BB4_7360 Depth=2
	s_delay_alu instid0(SALU_CYCLE_1) | instskip(NEXT) | instid1(VALU_DEP_1)
	s_or_b32 exec_lo, exec_lo, s14
	v_dual_max_num_f32 v21, v21, v21 :: v_dual_max_num_f32 v19, v19, v19
	s_mov_b32 s14, 0
	s_delay_alu instid0(VALU_DEP_1)
	v_max_num_f32_e32 v19, v19, v21
.LBB4_8198:                             ;   in Loop: Header=BB4_7360 Depth=2
	s_and_b32 vcc_lo, exec_lo, s14
	s_cbranch_vccz .LBB4_8220
; %bb.8199:                             ;   in Loop: Header=BB4_7360 Depth=2
	v_dual_mov_b32 v21, 0 :: v_dual_mov_b32 v19, 0
	s_and_saveexec_b32 s14, s7
	s_cbranch_execz .LBB4_8209
; %bb.8200:                             ;   in Loop: Header=BB4_7360 Depth=2
	v_bfrev_b32_e32 v19, 1
	s_mov_b32 s7, exec_lo
	v_cmpx_ne_u16_e32 0xff80, v96
	s_cbranch_execz .LBB4_8208
; %bb.8201:                             ;   in Loop: Header=BB4_7360 Depth=2
	v_and_b32_e32 v19, 0x7c, v17
	v_and_b32_e32 v23, 3, v17
	s_delay_alu instid0(VALU_DEP_2) | instskip(SKIP_1) | instid1(SALU_CYCLE_1)
	v_cmp_ne_u32_e32 vcc_lo, 0x7c, v19
                                        ; implicit-def: $vgpr19
	s_and_saveexec_b32 s41, vcc_lo
	s_xor_b32 s41, exec_lo, s41
	s_cbranch_execz .LBB4_8205
; %bb.8202:                             ;   in Loop: Header=BB4_7360 Depth=2
	v_bfe_u32 v17, v17, 2, 5
	s_mov_b32 s42, exec_lo
	s_delay_alu instid0(VALU_DEP_1)
	v_cmpx_eq_u32_e32 0, v17
	s_cbranch_execz .LBB4_8204
; %bb.8203:                             ;   in Loop: Header=BB4_7360 Depth=2
	v_clz_i32_u32_e32 v17, v23
	s_delay_alu instid0(VALU_DEP_1) | instskip(SKIP_1) | instid1(VALU_DEP_2)
	v_min_u32_e32 v17, 32, v17
	v_mov_b32_e32 v97, v53
	v_subrev_nc_u32_e32 v19, 29, v17
	v_sub_nc_u32_e32 v17, 30, v17
	s_delay_alu instid0(VALU_DEP_2) | instskip(NEXT) | instid1(VALU_DEP_1)
	v_lshlrev_b64_e32 v[100:101], v19, v[96:97]
	v_and_b32_e32 v23, 3, v100
.LBB4_8204:                             ;   in Loop: Header=BB4_7360 Depth=2
	s_or_b32 exec_lo, exec_lo, s42
	v_bfe_i32 v19, v96, 0, 16
                                        ; implicit-def: $vgpr96
	s_delay_alu instid0(VALU_DEP_1) | instskip(NEXT) | instid1(VALU_DEP_1)
	v_and_b32_e32 v19, 0x80000000, v19
	v_lshl_add_u32 v17, v17, 23, v19
	s_delay_alu instid0(VALU_DEP_1) | instskip(NEXT) | instid1(VALU_DEP_1)
	v_lshl_or_b32 v17, v23, 21, v17
                                        ; implicit-def: $vgpr23
	v_add_nc_u32_e32 v19, 0x38000000, v17
.LBB4_8205:                             ;   in Loop: Header=BB4_7360 Depth=2
	s_and_not1_saveexec_b32 s41, s41
; %bb.8206:                             ;   in Loop: Header=BB4_7360 Depth=2
	v_cmp_lt_i16_e32 vcc_lo, -1, v96
	v_cndmask_b32_e32 v17, 0xff800000, v109, vcc_lo
	v_cmp_eq_u32_e32 vcc_lo, 0, v23
	s_delay_alu instid0(VALU_DEP_2)
	v_cndmask_b32_e32 v19, 0x7f800001, v17, vcc_lo
; %bb.8207:                             ;   in Loop: Header=BB4_7360 Depth=2
	s_or_b32 exec_lo, exec_lo, s41
.LBB4_8208:                             ;   in Loop: Header=BB4_7360 Depth=2
	s_delay_alu instid0(SALU_CYCLE_1)
	s_or_b32 exec_lo, exec_lo, s7
.LBB4_8209:                             ;   in Loop: Header=BB4_7360 Depth=2
	s_delay_alu instid0(SALU_CYCLE_1) | instskip(NEXT) | instid1(SALU_CYCLE_1)
	s_or_b32 exec_lo, exec_lo, s14
	s_mov_b32 s7, exec_lo
	s_wait_loadcnt_dscnt 0x303
	v_cmpx_ne_u16_e32 0, v86
	s_cbranch_execz .LBB4_8219
; %bb.8210:                             ;   in Loop: Header=BB4_7360 Depth=2
	v_bfrev_b32_e32 v21, 1
	s_mov_b32 s14, exec_lo
	v_cmpx_ne_u16_e32 0xff80, v86
	s_cbranch_execz .LBB4_8218
; %bb.8211:                             ;   in Loop: Header=BB4_7360 Depth=2
	v_and_b32_e32 v21, 0x7c, v86
	v_and_b32_e32 v17, 3, v86
	s_delay_alu instid0(VALU_DEP_2) | instskip(SKIP_1) | instid1(SALU_CYCLE_1)
	v_cmp_ne_u32_e32 vcc_lo, 0x7c, v21
                                        ; implicit-def: $vgpr21
	s_and_saveexec_b32 s41, vcc_lo
	s_xor_b32 s41, exec_lo, s41
	s_cbranch_execz .LBB4_8215
; %bb.8212:                             ;   in Loop: Header=BB4_7360 Depth=2
	v_and_b32_e32 v21, 0xff, v86
	s_mov_b32 s42, exec_lo
	s_delay_alu instid0(VALU_DEP_1) | instskip(NEXT) | instid1(VALU_DEP_1)
	v_bfe_u32 v21, v21, 2, 5
	v_cmpx_eq_u32_e32 0, v21
; %bb.8213:                             ;   in Loop: Header=BB4_7360 Depth=2
	v_clz_i32_u32_e32 v17, v17
	s_delay_alu instid0(VALU_DEP_1) | instskip(SKIP_1) | instid1(VALU_DEP_2)
	v_min_u32_e32 v17, 32, v17
	v_mov_b32_e32 v87, v53
	v_subrev_nc_u32_e32 v21, 29, v17
	s_delay_alu instid0(VALU_DEP_1) | instskip(NEXT) | instid1(VALU_DEP_1)
	v_lshlrev_b64_e32 v[96:97], v21, v[86:87]
	v_dual_sub_nc_u32 v21, 30, v17 :: v_dual_bitop2_b32 v17, 3, v96 bitop3:0x40
; %bb.8214:                             ;   in Loop: Header=BB4_7360 Depth=2
	s_or_b32 exec_lo, exec_lo, s42
	v_bfe_i32 v23, v86, 0, 16
                                        ; implicit-def: $vgpr86
	s_delay_alu instid0(VALU_DEP_1) | instskip(NEXT) | instid1(VALU_DEP_1)
	v_and_b32_e32 v23, 0x80000000, v23
	v_lshl_add_u32 v21, v21, 23, v23
	s_delay_alu instid0(VALU_DEP_1) | instskip(NEXT) | instid1(VALU_DEP_1)
	v_lshl_or_b32 v17, v17, 21, v21
	v_add_nc_u32_e32 v21, 0x38000000, v17
                                        ; implicit-def: $vgpr17
.LBB4_8215:                             ;   in Loop: Header=BB4_7360 Depth=2
	s_and_not1_saveexec_b32 s41, s41
; %bb.8216:                             ;   in Loop: Header=BB4_7360 Depth=2
	v_cmp_lt_i16_e32 vcc_lo, -1, v86
	v_cndmask_b32_e32 v21, 0xff800000, v109, vcc_lo
	v_cmp_eq_u32_e32 vcc_lo, 0, v17
	s_delay_alu instid0(VALU_DEP_2)
	v_cndmask_b32_e32 v21, 0x7f800001, v21, vcc_lo
; %bb.8217:                             ;   in Loop: Header=BB4_7360 Depth=2
	s_or_b32 exec_lo, exec_lo, s41
.LBB4_8218:                             ;   in Loop: Header=BB4_7360 Depth=2
	s_delay_alu instid0(SALU_CYCLE_1)
	s_or_b32 exec_lo, exec_lo, s14
.LBB4_8219:                             ;   in Loop: Header=BB4_7360 Depth=2
	s_delay_alu instid0(SALU_CYCLE_1) | instskip(NEXT) | instid1(VALU_DEP_1)
	s_or_b32 exec_lo, exec_lo, s7
	v_dual_max_num_f32 v17, v21, v21 :: v_dual_max_num_f32 v19, v19, v19
	s_delay_alu instid0(VALU_DEP_1)
	v_min_num_f32_e32 v19, v19, v17
.LBB4_8220:                             ;   in Loop: Header=BB4_7360 Depth=2
	s_wait_loadcnt_dscnt 0x303
	s_delay_alu instid0(VALU_DEP_1) | instskip(SKIP_2) | instid1(VALU_DEP_2)
	v_and_b32_e32 v86, 0x7f800000, v19
	v_mov_b32_e32 v87, v53
	v_and_b32_e32 v52, 0x7fffff, v19
	v_cmp_ne_u64_e32 vcc_lo, 0x7f800000, v[86:87]
                                        ; implicit-def: $vgpr87
	s_and_saveexec_b32 s7, vcc_lo
	s_delay_alu instid0(SALU_CYCLE_1)
	s_xor_b32 s14, exec_lo, s7
	s_cbranch_execz .LBB4_8238
; %bb.8221:                             ;   in Loop: Header=BB4_7360 Depth=2
	v_and_b32_e32 v86, 0x7fffffff, v19
	v_dual_mov_b32 v87, v53 :: v_dual_lshrrev_b32 v17, 24, v19
	s_delay_alu instid0(VALU_DEP_1) | instskip(NEXT) | instid1(VALU_DEP_2)
	v_cmp_gt_u64_e32 vcc_lo, 0x47600001, v[86:87]
	v_and_b32_e32 v17, 0x80, v17
                                        ; implicit-def: $vgpr87
	s_and_saveexec_b32 s7, vcc_lo
	s_delay_alu instid0(SALU_CYCLE_1)
	s_xor_b32 s41, exec_lo, s7
	s_cbranch_execz .LBB4_8235
; %bb.8222:                             ;   in Loop: Header=BB4_7360 Depth=2
	v_mov_b32_e32 v87, 0
	s_mov_b32 s42, exec_lo
	v_cmpx_ne_u32_e32 0, v19
	s_cbranch_execz .LBB4_8234
; %bb.8223:                             ;   in Loop: Header=BB4_7360 Depth=2
	v_bfe_u32 v19, v19, 23, 8
	v_or_b32_e32 v25, 0x800000, v52
	s_delay_alu instid0(VALU_DEP_2) | instskip(SKIP_1) | instid1(VALU_DEP_2)
	v_sub_nc_u32_e32 v21, 0x71, v19
	v_cmp_gt_u32_e32 vcc_lo, 0x72, v19
	v_cndmask_b32_e32 v21, 0, v21, vcc_lo
	v_cmp_eq_u32_e32 vcc_lo, 0, v19
	s_delay_alu instid0(VALU_DEP_2) | instskip(NEXT) | instid1(VALU_DEP_1)
	v_cndmask_b32_e64 v21, v21, 0x70, vcc_lo
	v_dual_cndmask_b32 v52, v25, v52 :: v_dual_add_nc_u32 v23, 21, v21
	s_delay_alu instid0(VALU_DEP_1) | instskip(SKIP_1) | instid1(VALU_DEP_1)
	v_lshlrev_b64_e64 v[86:87], v23, -1
	v_add_nc_u32_e32 v23, 20, v21
	v_lshlrev_b64_e64 v[96:97], v23, 1
	s_delay_alu instid0(VALU_DEP_3) | instskip(NEXT) | instid1(VALU_DEP_4)
	v_bfi_b32 v101, v87, 0, 0
	v_bfi_b32 v100, v86, 0, v52
	v_lshrrev_b64 v[86:87], v21, v[52:53]
	s_delay_alu instid0(VALU_DEP_2) | instskip(NEXT) | instid1(VALU_DEP_2)
	v_cmp_eq_u64_e64 s7, v[100:101], v[96:97]
	v_mov_b64_e32 v[96:97], v[86:87]
	s_and_saveexec_b32 s43, s7
; %bb.8224:                             ;   in Loop: Header=BB4_7360 Depth=2
	v_bfe_u32 v52, v86, 21, 1
	s_delay_alu instid0(VALU_DEP_1) | instskip(NEXT) | instid1(VALU_DEP_1)
	v_add_nc_u64_e32 v[96:97], v[86:87], v[52:53]
	v_add_nc_u64_e32 v[96:97], -1, v[96:97]
; %bb.8225:                             ;   in Loop: Header=BB4_7360 Depth=2
	s_or_b32 exec_lo, exec_lo, s43
	v_add_nc_u32_e32 v19, 0xffffff81, v19
	v_lshrrev_b32_e32 v23, 23, v86
	s_mov_b32 s7, exec_lo
	s_delay_alu instid0(VALU_DEP_2) | instskip(NEXT) | instid1(VALU_DEP_1)
	v_cndmask_b32_e64 v19, v19, 0xffffff82, vcc_lo
	v_add3_u32 v21, v21, v19, v23
	v_and_b32_e32 v19, 0x1fffff, v96
	s_delay_alu instid0(VALU_DEP_1) | instskip(NEXT) | instid1(VALU_DEP_1)
	v_dual_add_nc_u32 v23, 14, v21 :: v_dual_add_nc_u32 v52, v19, v86
                                        ; implicit-def: $vgpr86_vgpr87
                                        ; implicit-def: $vgpr19
	v_cmpx_ne_u32_e32 0, v23
	s_xor_b32 s7, exec_lo, s7
; %bb.8226:                             ;   in Loop: Header=BB4_7360 Depth=2
	s_delay_alu instid0(VALU_DEP_2) | instskip(SKIP_2) | instid1(VALU_DEP_2)
	v_cmp_lt_u64_e32 vcc_lo, 0xffffff, v[52:53]
	v_add_nc_u32_e32 v19, 15, v21
	v_cndmask_b32_e64 v21, 0, 1, vcc_lo
	v_cndmask_b32_e32 v19, v23, v19, vcc_lo
	s_delay_alu instid0(VALU_DEP_2)
	v_lshrrev_b64 v[86:87], v21, v[52:53]
; %bb.8227:                             ;   in Loop: Header=BB4_7360 Depth=2
	s_and_not1_saveexec_b32 s7, s7
; %bb.8228:                             ;   in Loop: Header=BB4_7360 Depth=2
	v_mov_b64_e32 v[86:87], v[52:53]
	v_bfe_u32 v19, v52, 23, 1
; %bb.8229:                             ;   in Loop: Header=BB4_7360 Depth=2
	s_or_b32 exec_lo, exec_lo, s7
	s_delay_alu instid0(VALU_DEP_2) | instskip(NEXT) | instid1(VALU_DEP_2)
	v_lshrrev_b64 v[86:87], 21, v[86:87]
	v_cmp_gt_i32_e32 vcc_lo, 32, v19
	v_cmp_ne_u32_e64 s7, 0, v19
	s_delay_alu instid0(VALU_DEP_3) | instskip(NEXT) | instid1(VALU_DEP_1)
	v_dual_cndmask_b32 v87, 0, v87 :: v_dual_cndmask_b32 v86, 3, v86
	v_cmp_ne_u64_e32 vcc_lo, 0, v[86:87]
                                        ; implicit-def: $vgpr87
	s_or_b32 s7, s7, vcc_lo
	s_delay_alu instid0(SALU_CYCLE_1) | instskip(NEXT) | instid1(SALU_CYCLE_1)
	s_and_saveexec_b32 s43, s7
	s_xor_b32 s7, exec_lo, s43
; %bb.8230:                             ;   in Loop: Header=BB4_7360 Depth=2
	v_min_i32_e32 v19, 31, v19
	s_delay_alu instid0(VALU_DEP_1) | instskip(NEXT) | instid1(VALU_DEP_1)
	v_lshl_or_b32 v17, v19, 2, v17
	v_and_or_b32 v87, v86, 3, v17
                                        ; implicit-def: $vgpr17
; %bb.8231:                             ;   in Loop: Header=BB4_7360 Depth=2
	s_and_not1_saveexec_b32 s7, s7
; %bb.8232:                             ;   in Loop: Header=BB4_7360 Depth=2
	v_mov_b32_e32 v87, v17
; %bb.8233:                             ;   in Loop: Header=BB4_7360 Depth=2
	s_or_b32 exec_lo, exec_lo, s7
.LBB4_8234:                             ;   in Loop: Header=BB4_7360 Depth=2
	s_delay_alu instid0(SALU_CYCLE_1)
	s_or_b32 exec_lo, exec_lo, s42
                                        ; implicit-def: $vgpr17
.LBB4_8235:                             ;   in Loop: Header=BB4_7360 Depth=2
	s_and_not1_saveexec_b32 s7, s41
; %bb.8236:                             ;   in Loop: Header=BB4_7360 Depth=2
	v_or_b32_e32 v87, 0x7b, v17
; %bb.8237:                             ;   in Loop: Header=BB4_7360 Depth=2
	s_or_b32 exec_lo, exec_lo, s7
                                        ; implicit-def: $vgpr19
.LBB4_8238:                             ;   in Loop: Header=BB4_7360 Depth=2
	s_and_not1_saveexec_b32 s7, s14
	s_cbranch_execz .LBB4_8244
; %bb.8239:                             ;   in Loop: Header=BB4_7360 Depth=2
	s_mov_b32 s14, exec_lo
                                        ; implicit-def: $vgpr87
	v_cmpx_ne_u64_e32 0, v[52:53]
	s_xor_b32 s14, exec_lo, s14
; %bb.8240:                             ;   in Loop: Header=BB4_7360 Depth=2
	v_lshrrev_b32_e32 v17, 24, v19
                                        ; implicit-def: $vgpr19
	s_delay_alu instid0(VALU_DEP_1)
	v_or_b32_e32 v87, 0x7f, v17
; %bb.8241:                             ;   in Loop: Header=BB4_7360 Depth=2
	s_and_not1_saveexec_b32 s14, s14
; %bb.8242:                             ;   in Loop: Header=BB4_7360 Depth=2
	v_cmp_lt_i32_e32 vcc_lo, -1, v19
	v_cndmask_b32_e64 v87, -4, 0x7c, vcc_lo
; %bb.8243:                             ;   in Loop: Header=BB4_7360 Depth=2
	s_or_b32 exec_lo, exec_lo, s14
.LBB4_8244:                             ;   in Loop: Header=BB4_7360 Depth=2
	s_delay_alu instid0(SALU_CYCLE_1)
	s_or_b32 exec_lo, exec_lo, s7
	v_and_b32_e32 v17, 0xff, v84
	v_cmp_ne_u16_e64 s7, 0, v84
	s_and_not1_b32 vcc_lo, exec_lo, s13
	s_mov_b32 s14, -1
                                        ; implicit-def: $vgpr19
	s_cbranch_vccnz .LBB4_8266
; %bb.8245:                             ;   in Loop: Header=BB4_7360 Depth=2
	v_dual_mov_b32 v21, 0 :: v_dual_mov_b32 v19, 0
	s_and_saveexec_b32 s14, s7
	s_cbranch_execz .LBB4_8255
; %bb.8246:                             ;   in Loop: Header=BB4_7360 Depth=2
	v_bfrev_b32_e32 v19, 1
	s_mov_b32 s41, exec_lo
	v_cmpx_ne_u16_e32 0xff80, v84
	s_cbranch_execz .LBB4_8254
; %bb.8247:                             ;   in Loop: Header=BB4_7360 Depth=2
	v_and_b32_e32 v19, 0x7c, v17
	v_and_b32_e32 v23, 3, v17
	s_delay_alu instid0(VALU_DEP_2) | instskip(SKIP_1) | instid1(SALU_CYCLE_1)
	v_cmp_ne_u32_e32 vcc_lo, 0x7c, v19
                                        ; implicit-def: $vgpr19
	s_and_saveexec_b32 s42, vcc_lo
	s_xor_b32 s42, exec_lo, s42
	s_cbranch_execz .LBB4_8251
; %bb.8248:                             ;   in Loop: Header=BB4_7360 Depth=2
	v_bfe_u32 v19, v17, 2, 5
	s_mov_b32 s43, exec_lo
	s_delay_alu instid0(VALU_DEP_1)
	v_cmpx_eq_u32_e32 0, v19
	s_cbranch_execz .LBB4_8250
; %bb.8249:                             ;   in Loop: Header=BB4_7360 Depth=2
	v_clz_i32_u32_e32 v19, v23
	s_delay_alu instid0(VALU_DEP_1) | instskip(SKIP_1) | instid1(VALU_DEP_2)
	v_min_u32_e32 v19, 32, v19
	v_mov_b32_e32 v85, v53
	v_subrev_nc_u32_e32 v23, 29, v19
	v_sub_nc_u32_e32 v19, 30, v19
	s_delay_alu instid0(VALU_DEP_2) | instskip(NEXT) | instid1(VALU_DEP_1)
	v_lshlrev_b64_e32 v[96:97], v23, v[84:85]
	v_and_b32_e32 v23, 3, v96
.LBB4_8250:                             ;   in Loop: Header=BB4_7360 Depth=2
	s_or_b32 exec_lo, exec_lo, s43
	v_bfe_i32 v25, v84, 0, 16
	s_delay_alu instid0(VALU_DEP_1) | instskip(NEXT) | instid1(VALU_DEP_1)
	v_and_b32_e32 v25, 0x80000000, v25
	v_lshl_add_u32 v19, v19, 23, v25
	s_delay_alu instid0(VALU_DEP_1) | instskip(NEXT) | instid1(VALU_DEP_1)
	v_lshl_or_b32 v19, v23, 21, v19
                                        ; implicit-def: $vgpr23
	v_add_nc_u32_e32 v19, 0x38000000, v19
.LBB4_8251:                             ;   in Loop: Header=BB4_7360 Depth=2
	s_and_not1_saveexec_b32 s42, s42
; %bb.8252:                             ;   in Loop: Header=BB4_7360 Depth=2
	v_cmp_lt_i16_e32 vcc_lo, -1, v84
	v_cndmask_b32_e32 v19, 0xff800000, v109, vcc_lo
	v_cmp_eq_u32_e32 vcc_lo, 0, v23
	s_delay_alu instid0(VALU_DEP_2)
	v_cndmask_b32_e32 v19, 0x7f800001, v19, vcc_lo
; %bb.8253:                             ;   in Loop: Header=BB4_7360 Depth=2
	s_or_b32 exec_lo, exec_lo, s42
.LBB4_8254:                             ;   in Loop: Header=BB4_7360 Depth=2
	s_delay_alu instid0(SALU_CYCLE_1)
	s_or_b32 exec_lo, exec_lo, s41
.LBB4_8255:                             ;   in Loop: Header=BB4_7360 Depth=2
	s_delay_alu instid0(SALU_CYCLE_1) | instskip(NEXT) | instid1(SALU_CYCLE_1)
	s_or_b32 exec_lo, exec_lo, s14
	s_mov_b32 s14, exec_lo
	s_wait_loadcnt_dscnt 0x202
	v_cmpx_ne_u16_e32 0, v24
	s_cbranch_execz .LBB4_8265
; %bb.8256:                             ;   in Loop: Header=BB4_7360 Depth=2
	v_bfrev_b32_e32 v21, 1
	s_mov_b32 s41, exec_lo
	v_cmpx_ne_u16_e32 0xff80, v24
	s_cbranch_execz .LBB4_8264
; %bb.8257:                             ;   in Loop: Header=BB4_7360 Depth=2
	v_and_b32_e32 v21, 0x7c, v24
	v_and_b32_e32 v23, 3, v24
	s_delay_alu instid0(VALU_DEP_2) | instskip(SKIP_1) | instid1(SALU_CYCLE_1)
	v_cmp_ne_u32_e32 vcc_lo, 0x7c, v21
                                        ; implicit-def: $vgpr21
	s_and_saveexec_b32 s42, vcc_lo
	s_xor_b32 s42, exec_lo, s42
	s_cbranch_execz .LBB4_8261
; %bb.8258:                             ;   in Loop: Header=BB4_7360 Depth=2
	v_and_b32_e32 v21, 0xff, v24
	s_mov_b32 s43, exec_lo
	s_delay_alu instid0(VALU_DEP_1) | instskip(NEXT) | instid1(VALU_DEP_1)
	v_bfe_u32 v21, v21, 2, 5
	v_cmpx_eq_u32_e32 0, v21
	s_cbranch_execz .LBB4_8260
; %bb.8259:                             ;   in Loop: Header=BB4_7360 Depth=2
	v_clz_i32_u32_e32 v21, v23
	s_delay_alu instid0(VALU_DEP_1) | instskip(SKIP_1) | instid1(VALU_DEP_2)
	v_min_u32_e32 v21, 32, v21
	v_mov_b32_e32 v25, v53
	v_subrev_nc_u32_e32 v23, 29, v21
	v_sub_nc_u32_e32 v21, 30, v21
	s_delay_alu instid0(VALU_DEP_2) | instskip(NEXT) | instid1(VALU_DEP_1)
	v_lshlrev_b64_e32 v[96:97], v23, v[24:25]
	v_and_b32_e32 v23, 3, v96
.LBB4_8260:                             ;   in Loop: Header=BB4_7360 Depth=2
	s_or_b32 exec_lo, exec_lo, s43
	v_bfe_i32 v25, v24, 0, 16
	s_delay_alu instid0(VALU_DEP_1) | instskip(NEXT) | instid1(VALU_DEP_1)
	v_and_b32_e32 v25, 0x80000000, v25
	v_lshl_add_u32 v21, v21, 23, v25
	s_delay_alu instid0(VALU_DEP_1) | instskip(NEXT) | instid1(VALU_DEP_1)
	v_lshl_or_b32 v21, v23, 21, v21
                                        ; implicit-def: $vgpr23
	v_add_nc_u32_e32 v21, 0x38000000, v21
.LBB4_8261:                             ;   in Loop: Header=BB4_7360 Depth=2
	s_and_not1_saveexec_b32 s42, s42
; %bb.8262:                             ;   in Loop: Header=BB4_7360 Depth=2
	v_cmp_lt_i16_e32 vcc_lo, -1, v24
	v_cndmask_b32_e32 v21, 0xff800000, v109, vcc_lo
	v_cmp_eq_u32_e32 vcc_lo, 0, v23
	s_delay_alu instid0(VALU_DEP_2)
	v_cndmask_b32_e32 v21, 0x7f800001, v21, vcc_lo
; %bb.8263:                             ;   in Loop: Header=BB4_7360 Depth=2
	s_or_b32 exec_lo, exec_lo, s42
.LBB4_8264:                             ;   in Loop: Header=BB4_7360 Depth=2
	s_delay_alu instid0(SALU_CYCLE_1)
	s_or_b32 exec_lo, exec_lo, s41
.LBB4_8265:                             ;   in Loop: Header=BB4_7360 Depth=2
	s_delay_alu instid0(SALU_CYCLE_1) | instskip(NEXT) | instid1(VALU_DEP_1)
	s_or_b32 exec_lo, exec_lo, s14
	v_dual_max_num_f32 v21, v21, v21 :: v_dual_max_num_f32 v19, v19, v19
	s_mov_b32 s14, 0
	s_delay_alu instid0(VALU_DEP_1)
	v_max_num_f32_e32 v19, v19, v21
.LBB4_8266:                             ;   in Loop: Header=BB4_7360 Depth=2
	s_and_b32 vcc_lo, exec_lo, s14
	s_cbranch_vccz .LBB4_8288
; %bb.8267:                             ;   in Loop: Header=BB4_7360 Depth=2
	v_dual_mov_b32 v21, 0 :: v_dual_mov_b32 v19, 0
	s_and_saveexec_b32 s14, s7
	s_cbranch_execz .LBB4_8277
; %bb.8268:                             ;   in Loop: Header=BB4_7360 Depth=2
	v_bfrev_b32_e32 v19, 1
	s_mov_b32 s7, exec_lo
	v_cmpx_ne_u16_e32 0xff80, v84
	s_cbranch_execz .LBB4_8276
; %bb.8269:                             ;   in Loop: Header=BB4_7360 Depth=2
	v_and_b32_e32 v19, 0x7c, v17
	v_and_b32_e32 v23, 3, v17
	s_delay_alu instid0(VALU_DEP_2) | instskip(SKIP_1) | instid1(SALU_CYCLE_1)
	v_cmp_ne_u32_e32 vcc_lo, 0x7c, v19
                                        ; implicit-def: $vgpr19
	s_and_saveexec_b32 s41, vcc_lo
	s_xor_b32 s41, exec_lo, s41
	s_cbranch_execz .LBB4_8273
; %bb.8270:                             ;   in Loop: Header=BB4_7360 Depth=2
	v_bfe_u32 v17, v17, 2, 5
	s_mov_b32 s42, exec_lo
	s_delay_alu instid0(VALU_DEP_1)
	v_cmpx_eq_u32_e32 0, v17
	s_cbranch_execz .LBB4_8272
; %bb.8271:                             ;   in Loop: Header=BB4_7360 Depth=2
	v_clz_i32_u32_e32 v17, v23
	s_delay_alu instid0(VALU_DEP_1) | instskip(SKIP_1) | instid1(VALU_DEP_2)
	v_min_u32_e32 v17, 32, v17
	v_mov_b32_e32 v85, v53
	v_subrev_nc_u32_e32 v19, 29, v17
	v_sub_nc_u32_e32 v17, 30, v17
	s_delay_alu instid0(VALU_DEP_2) | instskip(NEXT) | instid1(VALU_DEP_1)
	v_lshlrev_b64_e32 v[96:97], v19, v[84:85]
	v_and_b32_e32 v23, 3, v96
.LBB4_8272:                             ;   in Loop: Header=BB4_7360 Depth=2
	s_or_b32 exec_lo, exec_lo, s42
	v_bfe_i32 v19, v84, 0, 16
                                        ; implicit-def: $vgpr84
	s_delay_alu instid0(VALU_DEP_1) | instskip(NEXT) | instid1(VALU_DEP_1)
	v_and_b32_e32 v19, 0x80000000, v19
	v_lshl_add_u32 v17, v17, 23, v19
	s_delay_alu instid0(VALU_DEP_1) | instskip(NEXT) | instid1(VALU_DEP_1)
	v_lshl_or_b32 v17, v23, 21, v17
                                        ; implicit-def: $vgpr23
	v_add_nc_u32_e32 v19, 0x38000000, v17
.LBB4_8273:                             ;   in Loop: Header=BB4_7360 Depth=2
	s_and_not1_saveexec_b32 s41, s41
; %bb.8274:                             ;   in Loop: Header=BB4_7360 Depth=2
	v_cmp_lt_i16_e32 vcc_lo, -1, v84
	v_cndmask_b32_e32 v17, 0xff800000, v109, vcc_lo
	v_cmp_eq_u32_e32 vcc_lo, 0, v23
	s_delay_alu instid0(VALU_DEP_2)
	v_cndmask_b32_e32 v19, 0x7f800001, v17, vcc_lo
; %bb.8275:                             ;   in Loop: Header=BB4_7360 Depth=2
	s_or_b32 exec_lo, exec_lo, s41
.LBB4_8276:                             ;   in Loop: Header=BB4_7360 Depth=2
	s_delay_alu instid0(SALU_CYCLE_1)
	s_or_b32 exec_lo, exec_lo, s7
.LBB4_8277:                             ;   in Loop: Header=BB4_7360 Depth=2
	s_delay_alu instid0(SALU_CYCLE_1) | instskip(NEXT) | instid1(SALU_CYCLE_1)
	s_or_b32 exec_lo, exec_lo, s14
	s_mov_b32 s7, exec_lo
	s_wait_loadcnt_dscnt 0x202
	v_cmpx_ne_u16_e32 0, v24
	s_cbranch_execz .LBB4_8287
; %bb.8278:                             ;   in Loop: Header=BB4_7360 Depth=2
	v_bfrev_b32_e32 v21, 1
	s_mov_b32 s14, exec_lo
	v_cmpx_ne_u16_e32 0xff80, v24
	s_cbranch_execz .LBB4_8286
; %bb.8279:                             ;   in Loop: Header=BB4_7360 Depth=2
	v_and_b32_e32 v21, 0x7c, v24
	v_and_b32_e32 v17, 3, v24
	s_delay_alu instid0(VALU_DEP_2) | instskip(SKIP_1) | instid1(SALU_CYCLE_1)
	v_cmp_ne_u32_e32 vcc_lo, 0x7c, v21
                                        ; implicit-def: $vgpr21
	s_and_saveexec_b32 s41, vcc_lo
	s_xor_b32 s41, exec_lo, s41
	s_cbranch_execz .LBB4_8283
; %bb.8280:                             ;   in Loop: Header=BB4_7360 Depth=2
	v_and_b32_e32 v21, 0xff, v24
	s_mov_b32 s42, exec_lo
	s_delay_alu instid0(VALU_DEP_1) | instskip(NEXT) | instid1(VALU_DEP_1)
	v_bfe_u32 v21, v21, 2, 5
	v_cmpx_eq_u32_e32 0, v21
; %bb.8281:                             ;   in Loop: Header=BB4_7360 Depth=2
	v_clz_i32_u32_e32 v17, v17
	s_delay_alu instid0(VALU_DEP_1) | instskip(SKIP_1) | instid1(VALU_DEP_2)
	v_min_u32_e32 v17, 32, v17
	v_mov_b32_e32 v25, v53
	v_subrev_nc_u32_e32 v21, 29, v17
	s_delay_alu instid0(VALU_DEP_1) | instskip(NEXT) | instid1(VALU_DEP_1)
	v_lshlrev_b64_e32 v[84:85], v21, v[24:25]
	v_dual_sub_nc_u32 v21, 30, v17 :: v_dual_bitop2_b32 v17, 3, v84 bitop3:0x40
; %bb.8282:                             ;   in Loop: Header=BB4_7360 Depth=2
	s_or_b32 exec_lo, exec_lo, s42
	v_bfe_i32 v23, v24, 0, 16
                                        ; implicit-def: $vgpr24
	s_delay_alu instid0(VALU_DEP_1) | instskip(NEXT) | instid1(VALU_DEP_1)
	v_and_b32_e32 v23, 0x80000000, v23
	v_lshl_add_u32 v21, v21, 23, v23
	s_delay_alu instid0(VALU_DEP_1) | instskip(NEXT) | instid1(VALU_DEP_1)
	v_lshl_or_b32 v17, v17, 21, v21
	v_add_nc_u32_e32 v21, 0x38000000, v17
                                        ; implicit-def: $vgpr17
.LBB4_8283:                             ;   in Loop: Header=BB4_7360 Depth=2
	s_and_not1_saveexec_b32 s41, s41
; %bb.8284:                             ;   in Loop: Header=BB4_7360 Depth=2
	v_cmp_lt_i16_e32 vcc_lo, -1, v24
	v_cndmask_b32_e32 v21, 0xff800000, v109, vcc_lo
	v_cmp_eq_u32_e32 vcc_lo, 0, v17
	s_delay_alu instid0(VALU_DEP_2)
	v_cndmask_b32_e32 v21, 0x7f800001, v21, vcc_lo
; %bb.8285:                             ;   in Loop: Header=BB4_7360 Depth=2
	s_or_b32 exec_lo, exec_lo, s41
.LBB4_8286:                             ;   in Loop: Header=BB4_7360 Depth=2
	s_delay_alu instid0(SALU_CYCLE_1)
	s_or_b32 exec_lo, exec_lo, s14
.LBB4_8287:                             ;   in Loop: Header=BB4_7360 Depth=2
	s_delay_alu instid0(SALU_CYCLE_1) | instskip(NEXT) | instid1(VALU_DEP_1)
	s_or_b32 exec_lo, exec_lo, s7
	v_dual_max_num_f32 v17, v21, v21 :: v_dual_max_num_f32 v19, v19, v19
	s_delay_alu instid0(VALU_DEP_1)
	v_min_num_f32_e32 v19, v19, v17
.LBB4_8288:                             ;   in Loop: Header=BB4_7360 Depth=2
	s_wait_loadcnt_dscnt 0x202
	s_delay_alu instid0(VALU_DEP_1) | instskip(SKIP_2) | instid1(VALU_DEP_2)
	v_and_b32_e32 v24, 0x7f800000, v19
	v_mov_b32_e32 v25, v53
	v_and_b32_e32 v52, 0x7fffff, v19
	v_cmp_ne_u64_e32 vcc_lo, 0x7f800000, v[24:25]
                                        ; implicit-def: $vgpr25
	s_and_saveexec_b32 s7, vcc_lo
	s_delay_alu instid0(SALU_CYCLE_1)
	s_xor_b32 s14, exec_lo, s7
	s_cbranch_execz .LBB4_8306
; %bb.8289:                             ;   in Loop: Header=BB4_7360 Depth=2
	v_and_b32_e32 v24, 0x7fffffff, v19
	v_dual_mov_b32 v25, v53 :: v_dual_lshrrev_b32 v17, 24, v19
	s_delay_alu instid0(VALU_DEP_1) | instskip(NEXT) | instid1(VALU_DEP_2)
	v_cmp_gt_u64_e32 vcc_lo, 0x47600001, v[24:25]
	v_and_b32_e32 v17, 0x80, v17
                                        ; implicit-def: $vgpr25
	s_and_saveexec_b32 s7, vcc_lo
	s_delay_alu instid0(SALU_CYCLE_1)
	s_xor_b32 s41, exec_lo, s7
	s_cbranch_execz .LBB4_8303
; %bb.8290:                             ;   in Loop: Header=BB4_7360 Depth=2
	v_mov_b32_e32 v25, 0
	s_mov_b32 s42, exec_lo
	v_cmpx_ne_u32_e32 0, v19
	s_cbranch_execz .LBB4_8302
; %bb.8291:                             ;   in Loop: Header=BB4_7360 Depth=2
	v_bfe_u32 v19, v19, 23, 8
	v_or_b32_e32 v84, 0x800000, v52
	s_delay_alu instid0(VALU_DEP_2) | instskip(SKIP_1) | instid1(VALU_DEP_2)
	v_sub_nc_u32_e32 v21, 0x71, v19
	v_cmp_gt_u32_e32 vcc_lo, 0x72, v19
	v_cndmask_b32_e32 v21, 0, v21, vcc_lo
	v_cmp_eq_u32_e32 vcc_lo, 0, v19
	s_delay_alu instid0(VALU_DEP_2) | instskip(NEXT) | instid1(VALU_DEP_1)
	v_cndmask_b32_e64 v21, v21, 0x70, vcc_lo
	v_dual_cndmask_b32 v52, v84, v52 :: v_dual_add_nc_u32 v23, 21, v21
	s_delay_alu instid0(VALU_DEP_1) | instskip(SKIP_1) | instid1(VALU_DEP_1)
	v_lshlrev_b64_e64 v[24:25], v23, -1
	v_add_nc_u32_e32 v23, 20, v21
	v_lshlrev_b64_e64 v[84:85], v23, 1
	s_delay_alu instid0(VALU_DEP_3) | instskip(NEXT) | instid1(VALU_DEP_4)
	v_bfi_b32 v97, v25, 0, 0
	v_bfi_b32 v96, v24, 0, v52
	v_lshrrev_b64 v[24:25], v21, v[52:53]
	s_delay_alu instid0(VALU_DEP_2) | instskip(NEXT) | instid1(VALU_DEP_2)
	v_cmp_eq_u64_e64 s7, v[96:97], v[84:85]
	v_mov_b64_e32 v[84:85], v[24:25]
	s_and_saveexec_b32 s43, s7
; %bb.8292:                             ;   in Loop: Header=BB4_7360 Depth=2
	v_bfe_u32 v52, v24, 21, 1
	s_delay_alu instid0(VALU_DEP_1) | instskip(NEXT) | instid1(VALU_DEP_1)
	v_add_nc_u64_e32 v[84:85], v[24:25], v[52:53]
	v_add_nc_u64_e32 v[84:85], -1, v[84:85]
; %bb.8293:                             ;   in Loop: Header=BB4_7360 Depth=2
	s_or_b32 exec_lo, exec_lo, s43
	v_add_nc_u32_e32 v19, 0xffffff81, v19
	v_lshrrev_b32_e32 v23, 23, v24
	s_mov_b32 s7, exec_lo
	s_delay_alu instid0(VALU_DEP_2) | instskip(NEXT) | instid1(VALU_DEP_1)
	v_cndmask_b32_e64 v19, v19, 0xffffff82, vcc_lo
	v_add3_u32 v21, v21, v19, v23
	v_and_b32_e32 v19, 0x1fffff, v84
	s_delay_alu instid0(VALU_DEP_1) | instskip(NEXT) | instid1(VALU_DEP_1)
	v_dual_add_nc_u32 v23, 14, v21 :: v_dual_add_nc_u32 v52, v19, v24
                                        ; implicit-def: $vgpr24_vgpr25
                                        ; implicit-def: $vgpr19
	v_cmpx_ne_u32_e32 0, v23
	s_xor_b32 s7, exec_lo, s7
; %bb.8294:                             ;   in Loop: Header=BB4_7360 Depth=2
	s_delay_alu instid0(VALU_DEP_2) | instskip(SKIP_2) | instid1(VALU_DEP_2)
	v_cmp_lt_u64_e32 vcc_lo, 0xffffff, v[52:53]
	v_add_nc_u32_e32 v19, 15, v21
	v_cndmask_b32_e64 v21, 0, 1, vcc_lo
	v_cndmask_b32_e32 v19, v23, v19, vcc_lo
	s_delay_alu instid0(VALU_DEP_2)
	v_lshrrev_b64 v[24:25], v21, v[52:53]
; %bb.8295:                             ;   in Loop: Header=BB4_7360 Depth=2
	s_and_not1_saveexec_b32 s7, s7
; %bb.8296:                             ;   in Loop: Header=BB4_7360 Depth=2
	v_mov_b64_e32 v[24:25], v[52:53]
	v_bfe_u32 v19, v52, 23, 1
; %bb.8297:                             ;   in Loop: Header=BB4_7360 Depth=2
	s_or_b32 exec_lo, exec_lo, s7
	s_delay_alu instid0(VALU_DEP_2) | instskip(NEXT) | instid1(VALU_DEP_2)
	v_lshrrev_b64 v[24:25], 21, v[24:25]
	v_cmp_gt_i32_e32 vcc_lo, 32, v19
	v_cmp_ne_u32_e64 s7, 0, v19
	s_delay_alu instid0(VALU_DEP_3) | instskip(NEXT) | instid1(VALU_DEP_1)
	v_dual_cndmask_b32 v25, 0, v25 :: v_dual_cndmask_b32 v24, 3, v24
	v_cmp_ne_u64_e32 vcc_lo, 0, v[24:25]
                                        ; implicit-def: $vgpr25
	s_or_b32 s7, s7, vcc_lo
	s_delay_alu instid0(SALU_CYCLE_1) | instskip(NEXT) | instid1(SALU_CYCLE_1)
	s_and_saveexec_b32 s43, s7
	s_xor_b32 s7, exec_lo, s43
; %bb.8298:                             ;   in Loop: Header=BB4_7360 Depth=2
	v_min_i32_e32 v19, 31, v19
	s_delay_alu instid0(VALU_DEP_1) | instskip(NEXT) | instid1(VALU_DEP_1)
	v_lshl_or_b32 v17, v19, 2, v17
	v_and_or_b32 v25, v24, 3, v17
                                        ; implicit-def: $vgpr17
; %bb.8299:                             ;   in Loop: Header=BB4_7360 Depth=2
	s_and_not1_saveexec_b32 s7, s7
; %bb.8300:                             ;   in Loop: Header=BB4_7360 Depth=2
	v_mov_b32_e32 v25, v17
; %bb.8301:                             ;   in Loop: Header=BB4_7360 Depth=2
	s_or_b32 exec_lo, exec_lo, s7
.LBB4_8302:                             ;   in Loop: Header=BB4_7360 Depth=2
	s_delay_alu instid0(SALU_CYCLE_1)
	s_or_b32 exec_lo, exec_lo, s42
                                        ; implicit-def: $vgpr17
.LBB4_8303:                             ;   in Loop: Header=BB4_7360 Depth=2
	s_and_not1_saveexec_b32 s7, s41
; %bb.8304:                             ;   in Loop: Header=BB4_7360 Depth=2
	v_or_b32_e32 v25, 0x7b, v17
; %bb.8305:                             ;   in Loop: Header=BB4_7360 Depth=2
	s_or_b32 exec_lo, exec_lo, s7
                                        ; implicit-def: $vgpr19
.LBB4_8306:                             ;   in Loop: Header=BB4_7360 Depth=2
	s_and_not1_saveexec_b32 s7, s14
	s_cbranch_execz .LBB4_8312
; %bb.8307:                             ;   in Loop: Header=BB4_7360 Depth=2
	s_mov_b32 s14, exec_lo
                                        ; implicit-def: $vgpr25
	v_cmpx_ne_u64_e32 0, v[52:53]
	s_xor_b32 s14, exec_lo, s14
; %bb.8308:                             ;   in Loop: Header=BB4_7360 Depth=2
	v_lshrrev_b32_e32 v17, 24, v19
                                        ; implicit-def: $vgpr19
	s_delay_alu instid0(VALU_DEP_1)
	v_or_b32_e32 v25, 0x7f, v17
; %bb.8309:                             ;   in Loop: Header=BB4_7360 Depth=2
	s_and_not1_saveexec_b32 s14, s14
; %bb.8310:                             ;   in Loop: Header=BB4_7360 Depth=2
	v_cmp_lt_i32_e32 vcc_lo, -1, v19
	v_cndmask_b32_e64 v25, -4, 0x7c, vcc_lo
; %bb.8311:                             ;   in Loop: Header=BB4_7360 Depth=2
	s_or_b32 exec_lo, exec_lo, s14
.LBB4_8312:                             ;   in Loop: Header=BB4_7360 Depth=2
	s_delay_alu instid0(SALU_CYCLE_1)
	s_or_b32 exec_lo, exec_lo, s7
	v_and_b32_e32 v17, 0xff, v22
	v_cmp_ne_u16_e64 s7, 0, v22
	s_and_not1_b32 vcc_lo, exec_lo, s13
	s_mov_b32 s14, -1
                                        ; implicit-def: $vgpr19
	s_cbranch_vccnz .LBB4_8334
; %bb.8313:                             ;   in Loop: Header=BB4_7360 Depth=2
	v_dual_mov_b32 v21, 0 :: v_dual_mov_b32 v19, 0
	s_and_saveexec_b32 s14, s7
	s_cbranch_execz .LBB4_8323
; %bb.8314:                             ;   in Loop: Header=BB4_7360 Depth=2
	v_bfrev_b32_e32 v19, 1
	s_mov_b32 s41, exec_lo
	v_cmpx_ne_u16_e32 0xff80, v22
	s_cbranch_execz .LBB4_8322
; %bb.8315:                             ;   in Loop: Header=BB4_7360 Depth=2
	v_and_b32_e32 v19, 0x7c, v17
	v_and_b32_e32 v23, 3, v17
	s_delay_alu instid0(VALU_DEP_2) | instskip(SKIP_1) | instid1(SALU_CYCLE_1)
	v_cmp_ne_u32_e32 vcc_lo, 0x7c, v19
                                        ; implicit-def: $vgpr19
	s_and_saveexec_b32 s42, vcc_lo
	s_xor_b32 s42, exec_lo, s42
	s_cbranch_execz .LBB4_8319
; %bb.8316:                             ;   in Loop: Header=BB4_7360 Depth=2
	v_bfe_u32 v19, v17, 2, 5
	s_mov_b32 s43, exec_lo
	s_delay_alu instid0(VALU_DEP_1)
	v_cmpx_eq_u32_e32 0, v19
	s_cbranch_execz .LBB4_8318
; %bb.8317:                             ;   in Loop: Header=BB4_7360 Depth=2
	v_clz_i32_u32_e32 v19, v23
	s_delay_alu instid0(VALU_DEP_1) | instskip(SKIP_1) | instid1(VALU_DEP_2)
	v_min_u32_e32 v19, 32, v19
	v_mov_b32_e32 v23, v53
	v_subrev_nc_u32_e32 v24, 29, v19
	v_sub_nc_u32_e32 v19, 30, v19
	s_delay_alu instid0(VALU_DEP_2) | instskip(NEXT) | instid1(VALU_DEP_1)
	v_lshlrev_b64_e32 v[84:85], v24, v[22:23]
	v_and_b32_e32 v23, 3, v84
.LBB4_8318:                             ;   in Loop: Header=BB4_7360 Depth=2
	s_or_b32 exec_lo, exec_lo, s43
	v_bfe_i32 v24, v22, 0, 16
	s_delay_alu instid0(VALU_DEP_1) | instskip(NEXT) | instid1(VALU_DEP_1)
	v_and_b32_e32 v24, 0x80000000, v24
	v_lshl_add_u32 v19, v19, 23, v24
	s_delay_alu instid0(VALU_DEP_1) | instskip(NEXT) | instid1(VALU_DEP_1)
	v_lshl_or_b32 v19, v23, 21, v19
                                        ; implicit-def: $vgpr23
	v_add_nc_u32_e32 v19, 0x38000000, v19
.LBB4_8319:                             ;   in Loop: Header=BB4_7360 Depth=2
	s_and_not1_saveexec_b32 s42, s42
; %bb.8320:                             ;   in Loop: Header=BB4_7360 Depth=2
	v_cmp_lt_i16_e32 vcc_lo, -1, v22
	v_cndmask_b32_e32 v19, 0xff800000, v109, vcc_lo
	v_cmp_eq_u32_e32 vcc_lo, 0, v23
	s_delay_alu instid0(VALU_DEP_2)
	v_cndmask_b32_e32 v19, 0x7f800001, v19, vcc_lo
; %bb.8321:                             ;   in Loop: Header=BB4_7360 Depth=2
	s_or_b32 exec_lo, exec_lo, s42
.LBB4_8322:                             ;   in Loop: Header=BB4_7360 Depth=2
	s_delay_alu instid0(SALU_CYCLE_1)
	s_or_b32 exec_lo, exec_lo, s41
.LBB4_8323:                             ;   in Loop: Header=BB4_7360 Depth=2
	s_delay_alu instid0(SALU_CYCLE_1) | instskip(NEXT) | instid1(SALU_CYCLE_1)
	s_or_b32 exec_lo, exec_lo, s14
	s_mov_b32 s14, exec_lo
	s_wait_loadcnt_dscnt 0x101
	v_cmpx_ne_u16_e32 0, v20
	s_cbranch_execz .LBB4_8333
; %bb.8324:                             ;   in Loop: Header=BB4_7360 Depth=2
	v_bfrev_b32_e32 v21, 1
	s_mov_b32 s41, exec_lo
	v_cmpx_ne_u16_e32 0xff80, v20
	s_cbranch_execz .LBB4_8332
; %bb.8325:                             ;   in Loop: Header=BB4_7360 Depth=2
	v_and_b32_e32 v21, 0x7c, v20
	v_and_b32_e32 v23, 3, v20
	s_delay_alu instid0(VALU_DEP_2) | instskip(SKIP_1) | instid1(SALU_CYCLE_1)
	v_cmp_ne_u32_e32 vcc_lo, 0x7c, v21
                                        ; implicit-def: $vgpr21
	s_and_saveexec_b32 s42, vcc_lo
	s_xor_b32 s42, exec_lo, s42
	s_cbranch_execz .LBB4_8329
; %bb.8326:                             ;   in Loop: Header=BB4_7360 Depth=2
	v_and_b32_e32 v21, 0xff, v20
	s_mov_b32 s43, exec_lo
	s_delay_alu instid0(VALU_DEP_1) | instskip(NEXT) | instid1(VALU_DEP_1)
	v_bfe_u32 v21, v21, 2, 5
	v_cmpx_eq_u32_e32 0, v21
; %bb.8327:                             ;   in Loop: Header=BB4_7360 Depth=2
	v_clz_i32_u32_e32 v21, v23
	s_delay_alu instid0(VALU_DEP_1) | instskip(SKIP_1) | instid1(VALU_DEP_2)
	v_min_u32_e32 v23, 32, v21
	v_mov_b32_e32 v21, v53
	v_subrev_nc_u32_e32 v24, 29, v23
	s_delay_alu instid0(VALU_DEP_1) | instskip(NEXT) | instid1(VALU_DEP_1)
	v_lshlrev_b64_e32 v[84:85], v24, v[20:21]
	v_dual_sub_nc_u32 v21, 30, v23 :: v_dual_bitop2_b32 v23, 3, v84 bitop3:0x40
; %bb.8328:                             ;   in Loop: Header=BB4_7360 Depth=2
	s_or_b32 exec_lo, exec_lo, s43
	v_bfe_i32 v24, v20, 0, 16
	s_delay_alu instid0(VALU_DEP_1) | instskip(NEXT) | instid1(VALU_DEP_1)
	v_and_b32_e32 v24, 0x80000000, v24
	v_lshl_add_u32 v21, v21, 23, v24
	s_delay_alu instid0(VALU_DEP_1) | instskip(NEXT) | instid1(VALU_DEP_1)
	v_lshl_or_b32 v21, v23, 21, v21
                                        ; implicit-def: $vgpr23
	v_add_nc_u32_e32 v21, 0x38000000, v21
.LBB4_8329:                             ;   in Loop: Header=BB4_7360 Depth=2
	s_and_not1_saveexec_b32 s42, s42
; %bb.8330:                             ;   in Loop: Header=BB4_7360 Depth=2
	v_cmp_lt_i16_e32 vcc_lo, -1, v20
	v_cndmask_b32_e32 v21, 0xff800000, v109, vcc_lo
	v_cmp_eq_u32_e32 vcc_lo, 0, v23
	s_delay_alu instid0(VALU_DEP_2)
	v_cndmask_b32_e32 v21, 0x7f800001, v21, vcc_lo
; %bb.8331:                             ;   in Loop: Header=BB4_7360 Depth=2
	s_or_b32 exec_lo, exec_lo, s42
.LBB4_8332:                             ;   in Loop: Header=BB4_7360 Depth=2
	s_delay_alu instid0(SALU_CYCLE_1)
	s_or_b32 exec_lo, exec_lo, s41
.LBB4_8333:                             ;   in Loop: Header=BB4_7360 Depth=2
	s_delay_alu instid0(SALU_CYCLE_1) | instskip(NEXT) | instid1(VALU_DEP_1)
	s_or_b32 exec_lo, exec_lo, s14
	v_dual_max_num_f32 v21, v21, v21 :: v_dual_max_num_f32 v19, v19, v19
	s_mov_b32 s14, 0
	s_delay_alu instid0(VALU_DEP_1)
	v_max_num_f32_e32 v19, v19, v21
.LBB4_8334:                             ;   in Loop: Header=BB4_7360 Depth=2
	s_and_b32 vcc_lo, exec_lo, s14
	s_cbranch_vccz .LBB4_8356
; %bb.8335:                             ;   in Loop: Header=BB4_7360 Depth=2
	v_dual_mov_b32 v21, 0 :: v_dual_mov_b32 v19, 0
	s_and_saveexec_b32 s14, s7
	s_cbranch_execz .LBB4_8345
; %bb.8336:                             ;   in Loop: Header=BB4_7360 Depth=2
	v_bfrev_b32_e32 v19, 1
	s_mov_b32 s7, exec_lo
	v_cmpx_ne_u16_e32 0xff80, v22
	s_cbranch_execz .LBB4_8344
; %bb.8337:                             ;   in Loop: Header=BB4_7360 Depth=2
	v_and_b32_e32 v19, 0x7c, v17
	v_and_b32_e32 v23, 3, v17
	s_delay_alu instid0(VALU_DEP_2) | instskip(SKIP_1) | instid1(SALU_CYCLE_1)
	v_cmp_ne_u32_e32 vcc_lo, 0x7c, v19
                                        ; implicit-def: $vgpr19
	s_and_saveexec_b32 s41, vcc_lo
	s_xor_b32 s41, exec_lo, s41
	s_cbranch_execz .LBB4_8341
; %bb.8338:                             ;   in Loop: Header=BB4_7360 Depth=2
	v_bfe_u32 v17, v17, 2, 5
	s_mov_b32 s42, exec_lo
	s_delay_alu instid0(VALU_DEP_1)
	v_cmpx_eq_u32_e32 0, v17
	s_cbranch_execz .LBB4_8340
; %bb.8339:                             ;   in Loop: Header=BB4_7360 Depth=2
	v_clz_i32_u32_e32 v17, v23
	s_delay_alu instid0(VALU_DEP_1) | instskip(SKIP_1) | instid1(VALU_DEP_2)
	v_min_u32_e32 v17, 32, v17
	v_mov_b32_e32 v23, v53
	v_subrev_nc_u32_e32 v19, 29, v17
	v_sub_nc_u32_e32 v17, 30, v17
	s_delay_alu instid0(VALU_DEP_2) | instskip(NEXT) | instid1(VALU_DEP_1)
	v_lshlrev_b64_e32 v[84:85], v19, v[22:23]
	v_and_b32_e32 v23, 3, v84
.LBB4_8340:                             ;   in Loop: Header=BB4_7360 Depth=2
	s_or_b32 exec_lo, exec_lo, s42
	v_bfe_i32 v19, v22, 0, 16
                                        ; implicit-def: $vgpr22
	s_delay_alu instid0(VALU_DEP_1) | instskip(NEXT) | instid1(VALU_DEP_1)
	v_and_b32_e32 v19, 0x80000000, v19
	v_lshl_add_u32 v17, v17, 23, v19
	s_delay_alu instid0(VALU_DEP_1) | instskip(NEXT) | instid1(VALU_DEP_1)
	v_lshl_or_b32 v17, v23, 21, v17
                                        ; implicit-def: $vgpr23
	v_add_nc_u32_e32 v19, 0x38000000, v17
.LBB4_8341:                             ;   in Loop: Header=BB4_7360 Depth=2
	s_and_not1_saveexec_b32 s41, s41
; %bb.8342:                             ;   in Loop: Header=BB4_7360 Depth=2
	v_cmp_lt_i16_e32 vcc_lo, -1, v22
	v_cndmask_b32_e32 v17, 0xff800000, v109, vcc_lo
	v_cmp_eq_u32_e32 vcc_lo, 0, v23
	s_delay_alu instid0(VALU_DEP_2)
	v_cndmask_b32_e32 v19, 0x7f800001, v17, vcc_lo
; %bb.8343:                             ;   in Loop: Header=BB4_7360 Depth=2
	s_or_b32 exec_lo, exec_lo, s41
.LBB4_8344:                             ;   in Loop: Header=BB4_7360 Depth=2
	s_delay_alu instid0(SALU_CYCLE_1)
	s_or_b32 exec_lo, exec_lo, s7
.LBB4_8345:                             ;   in Loop: Header=BB4_7360 Depth=2
	s_delay_alu instid0(SALU_CYCLE_1) | instskip(NEXT) | instid1(SALU_CYCLE_1)
	s_or_b32 exec_lo, exec_lo, s14
	s_mov_b32 s7, exec_lo
	s_wait_loadcnt_dscnt 0x101
	v_cmpx_ne_u16_e32 0, v20
	s_cbranch_execz .LBB4_8355
; %bb.8346:                             ;   in Loop: Header=BB4_7360 Depth=2
	v_bfrev_b32_e32 v21, 1
	s_mov_b32 s14, exec_lo
	v_cmpx_ne_u16_e32 0xff80, v20
	s_cbranch_execz .LBB4_8354
; %bb.8347:                             ;   in Loop: Header=BB4_7360 Depth=2
	v_and_b32_e32 v21, 0x7c, v20
	v_and_b32_e32 v17, 3, v20
	s_delay_alu instid0(VALU_DEP_2) | instskip(SKIP_1) | instid1(SALU_CYCLE_1)
	v_cmp_ne_u32_e32 vcc_lo, 0x7c, v21
                                        ; implicit-def: $vgpr21
	s_and_saveexec_b32 s41, vcc_lo
	s_xor_b32 s41, exec_lo, s41
	s_cbranch_execz .LBB4_8351
; %bb.8348:                             ;   in Loop: Header=BB4_7360 Depth=2
	v_and_b32_e32 v21, 0xff, v20
	s_mov_b32 s42, exec_lo
	s_delay_alu instid0(VALU_DEP_1) | instskip(NEXT) | instid1(VALU_DEP_1)
	v_bfe_u32 v21, v21, 2, 5
	v_cmpx_eq_u32_e32 0, v21
; %bb.8349:                             ;   in Loop: Header=BB4_7360 Depth=2
	v_clz_i32_u32_e32 v17, v17
	v_mov_b32_e32 v21, v53
	s_delay_alu instid0(VALU_DEP_2) | instskip(NEXT) | instid1(VALU_DEP_1)
	v_min_u32_e32 v17, 32, v17
	v_subrev_nc_u32_e32 v22, 29, v17
	s_delay_alu instid0(VALU_DEP_1) | instskip(NEXT) | instid1(VALU_DEP_1)
	v_lshlrev_b64_e32 v[22:23], v22, v[20:21]
	v_dual_sub_nc_u32 v21, 30, v17 :: v_dual_bitop2_b32 v17, 3, v22 bitop3:0x40
; %bb.8350:                             ;   in Loop: Header=BB4_7360 Depth=2
	s_or_b32 exec_lo, exec_lo, s42
	v_bfe_i32 v20, v20, 0, 16
	s_delay_alu instid0(VALU_DEP_1) | instskip(NEXT) | instid1(VALU_DEP_1)
	v_and_b32_e32 v20, 0x80000000, v20
	v_lshl_add_u32 v20, v21, 23, v20
	s_delay_alu instid0(VALU_DEP_1) | instskip(NEXT) | instid1(VALU_DEP_1)
	v_lshl_or_b32 v17, v17, 21, v20
                                        ; implicit-def: $vgpr20
	v_add_nc_u32_e32 v21, 0x38000000, v17
                                        ; implicit-def: $vgpr17
.LBB4_8351:                             ;   in Loop: Header=BB4_7360 Depth=2
	s_and_not1_saveexec_b32 s41, s41
; %bb.8352:                             ;   in Loop: Header=BB4_7360 Depth=2
	v_cmp_lt_i16_e32 vcc_lo, -1, v20
	v_cndmask_b32_e32 v20, 0xff800000, v109, vcc_lo
	v_cmp_eq_u32_e32 vcc_lo, 0, v17
	s_delay_alu instid0(VALU_DEP_2)
	v_cndmask_b32_e32 v21, 0x7f800001, v20, vcc_lo
; %bb.8353:                             ;   in Loop: Header=BB4_7360 Depth=2
	s_or_b32 exec_lo, exec_lo, s41
.LBB4_8354:                             ;   in Loop: Header=BB4_7360 Depth=2
	s_delay_alu instid0(SALU_CYCLE_1)
	s_or_b32 exec_lo, exec_lo, s14
.LBB4_8355:                             ;   in Loop: Header=BB4_7360 Depth=2
	s_delay_alu instid0(SALU_CYCLE_1) | instskip(NEXT) | instid1(VALU_DEP_1)
	s_or_b32 exec_lo, exec_lo, s7
	v_dual_max_num_f32 v17, v21, v21 :: v_dual_max_num_f32 v19, v19, v19
	s_delay_alu instid0(VALU_DEP_1)
	v_min_num_f32_e32 v19, v19, v17
.LBB4_8356:                             ;   in Loop: Header=BB4_7360 Depth=2
	s_wait_loadcnt_dscnt 0x101
	s_delay_alu instid0(VALU_DEP_1) | instskip(SKIP_2) | instid1(VALU_DEP_2)
	v_and_b32_e32 v20, 0x7f800000, v19
	v_mov_b32_e32 v21, v53
	v_and_b32_e32 v52, 0x7fffff, v19
	v_cmp_ne_u64_e32 vcc_lo, 0x7f800000, v[20:21]
                                        ; implicit-def: $vgpr21
	s_and_saveexec_b32 s7, vcc_lo
	s_delay_alu instid0(SALU_CYCLE_1)
	s_xor_b32 s14, exec_lo, s7
	s_cbranch_execz .LBB4_8374
; %bb.8357:                             ;   in Loop: Header=BB4_7360 Depth=2
	v_and_b32_e32 v20, 0x7fffffff, v19
	v_dual_mov_b32 v21, v53 :: v_dual_lshrrev_b32 v17, 24, v19
	s_delay_alu instid0(VALU_DEP_1) | instskip(NEXT) | instid1(VALU_DEP_2)
	v_cmp_gt_u64_e32 vcc_lo, 0x47600001, v[20:21]
	v_and_b32_e32 v17, 0x80, v17
                                        ; implicit-def: $vgpr21
	s_and_saveexec_b32 s7, vcc_lo
	s_delay_alu instid0(SALU_CYCLE_1)
	s_xor_b32 s41, exec_lo, s7
	s_cbranch_execz .LBB4_8371
; %bb.8358:                             ;   in Loop: Header=BB4_7360 Depth=2
	v_mov_b32_e32 v21, 0
	s_mov_b32 s42, exec_lo
	v_cmpx_ne_u32_e32 0, v19
	s_cbranch_execz .LBB4_8370
; %bb.8359:                             ;   in Loop: Header=BB4_7360 Depth=2
	v_bfe_u32 v19, v19, 23, 8
	v_or_b32_e32 v22, 0x800000, v52
	s_delay_alu instid0(VALU_DEP_2) | instskip(SKIP_1) | instid1(VALU_DEP_2)
	v_sub_nc_u32_e32 v20, 0x71, v19
	v_cmp_gt_u32_e32 vcc_lo, 0x72, v19
	v_cndmask_b32_e32 v20, 0, v20, vcc_lo
	v_cmp_eq_u32_e32 vcc_lo, 0, v19
	s_delay_alu instid0(VALU_DEP_2) | instskip(SKIP_1) | instid1(VALU_DEP_2)
	v_cndmask_b32_e64 v24, v20, 0x70, vcc_lo
	v_cndmask_b32_e32 v52, v22, v52, vcc_lo
	v_dual_add_nc_u32 v20, 21, v24 :: v_dual_add_nc_u32 v23, 20, v24
	s_delay_alu instid0(VALU_DEP_1) | instskip(NEXT) | instid1(VALU_DEP_2)
	v_lshlrev_b64_e64 v[20:21], v20, -1
	v_lshlrev_b64_e64 v[22:23], v23, 1
	s_delay_alu instid0(VALU_DEP_2) | instskip(NEXT) | instid1(VALU_DEP_3)
	v_bfi_b32 v85, v21, 0, 0
	v_bfi_b32 v84, v20, 0, v52
	v_lshrrev_b64 v[20:21], v24, v[52:53]
	s_delay_alu instid0(VALU_DEP_2) | instskip(NEXT) | instid1(VALU_DEP_2)
	v_cmp_eq_u64_e64 s7, v[84:85], v[22:23]
	v_mov_b64_e32 v[22:23], v[20:21]
	s_and_saveexec_b32 s43, s7
; %bb.8360:                             ;   in Loop: Header=BB4_7360 Depth=2
	v_bfe_u32 v52, v20, 21, 1
	s_delay_alu instid0(VALU_DEP_1) | instskip(NEXT) | instid1(VALU_DEP_1)
	v_add_nc_u64_e32 v[22:23], v[20:21], v[52:53]
	v_add_nc_u64_e32 v[22:23], -1, v[22:23]
; %bb.8361:                             ;   in Loop: Header=BB4_7360 Depth=2
	s_or_b32 exec_lo, exec_lo, s43
	v_add_nc_u32_e32 v19, 0xffffff81, v19
	v_lshrrev_b32_e32 v21, 23, v20
	s_mov_b32 s7, exec_lo
	s_delay_alu instid0(VALU_DEP_2) | instskip(NEXT) | instid1(VALU_DEP_1)
	v_cndmask_b32_e64 v19, v19, 0xffffff82, vcc_lo
	v_add3_u32 v23, v24, v19, v21
	v_and_b32_e32 v19, 0x1fffff, v22
	s_delay_alu instid0(VALU_DEP_1) | instskip(NEXT) | instid1(VALU_DEP_1)
	v_dual_add_nc_u32 v22, 14, v23 :: v_dual_add_nc_u32 v52, v19, v20
                                        ; implicit-def: $vgpr20_vgpr21
                                        ; implicit-def: $vgpr19
	v_cmpx_ne_u32_e32 0, v22
	s_xor_b32 s7, exec_lo, s7
; %bb.8362:                             ;   in Loop: Header=BB4_7360 Depth=2
	s_delay_alu instid0(VALU_DEP_2) | instskip(SKIP_2) | instid1(VALU_DEP_2)
	v_cmp_lt_u64_e32 vcc_lo, 0xffffff, v[52:53]
	v_add_nc_u32_e32 v19, 15, v23
	v_cndmask_b32_e64 v20, 0, 1, vcc_lo
	v_cndmask_b32_e32 v19, v22, v19, vcc_lo
	s_delay_alu instid0(VALU_DEP_2)
	v_lshrrev_b64 v[20:21], v20, v[52:53]
; %bb.8363:                             ;   in Loop: Header=BB4_7360 Depth=2
	s_and_not1_saveexec_b32 s7, s7
; %bb.8364:                             ;   in Loop: Header=BB4_7360 Depth=2
	v_mov_b64_e32 v[20:21], v[52:53]
	v_bfe_u32 v19, v52, 23, 1
; %bb.8365:                             ;   in Loop: Header=BB4_7360 Depth=2
	s_or_b32 exec_lo, exec_lo, s7
	s_delay_alu instid0(VALU_DEP_2) | instskip(NEXT) | instid1(VALU_DEP_2)
	v_lshrrev_b64 v[20:21], 21, v[20:21]
	v_cmp_gt_i32_e32 vcc_lo, 32, v19
	v_cmp_ne_u32_e64 s7, 0, v19
	s_delay_alu instid0(VALU_DEP_3) | instskip(NEXT) | instid1(VALU_DEP_1)
	v_dual_cndmask_b32 v21, 0, v21 :: v_dual_cndmask_b32 v20, 3, v20
	v_cmp_ne_u64_e32 vcc_lo, 0, v[20:21]
                                        ; implicit-def: $vgpr21
	s_or_b32 s7, s7, vcc_lo
	s_delay_alu instid0(SALU_CYCLE_1) | instskip(NEXT) | instid1(SALU_CYCLE_1)
	s_and_saveexec_b32 s43, s7
	s_xor_b32 s7, exec_lo, s43
; %bb.8366:                             ;   in Loop: Header=BB4_7360 Depth=2
	v_min_i32_e32 v19, 31, v19
	s_delay_alu instid0(VALU_DEP_1) | instskip(NEXT) | instid1(VALU_DEP_1)
	v_lshl_or_b32 v17, v19, 2, v17
	v_and_or_b32 v21, v20, 3, v17
                                        ; implicit-def: $vgpr17
; %bb.8367:                             ;   in Loop: Header=BB4_7360 Depth=2
	s_and_not1_saveexec_b32 s7, s7
; %bb.8368:                             ;   in Loop: Header=BB4_7360 Depth=2
	v_mov_b32_e32 v21, v17
; %bb.8369:                             ;   in Loop: Header=BB4_7360 Depth=2
	s_or_b32 exec_lo, exec_lo, s7
.LBB4_8370:                             ;   in Loop: Header=BB4_7360 Depth=2
	s_delay_alu instid0(SALU_CYCLE_1)
	s_or_b32 exec_lo, exec_lo, s42
                                        ; implicit-def: $vgpr17
.LBB4_8371:                             ;   in Loop: Header=BB4_7360 Depth=2
	s_and_not1_saveexec_b32 s7, s41
; %bb.8372:                             ;   in Loop: Header=BB4_7360 Depth=2
	v_or_b32_e32 v21, 0x7b, v17
; %bb.8373:                             ;   in Loop: Header=BB4_7360 Depth=2
	s_or_b32 exec_lo, exec_lo, s7
                                        ; implicit-def: $vgpr19
.LBB4_8374:                             ;   in Loop: Header=BB4_7360 Depth=2
	s_and_not1_saveexec_b32 s7, s14
	s_cbranch_execz .LBB4_8380
; %bb.8375:                             ;   in Loop: Header=BB4_7360 Depth=2
	s_mov_b32 s14, exec_lo
                                        ; implicit-def: $vgpr21
	v_cmpx_ne_u64_e32 0, v[52:53]
	s_xor_b32 s14, exec_lo, s14
; %bb.8376:                             ;   in Loop: Header=BB4_7360 Depth=2
	v_lshrrev_b32_e32 v17, 24, v19
                                        ; implicit-def: $vgpr19
	s_delay_alu instid0(VALU_DEP_1)
	v_or_b32_e32 v21, 0x7f, v17
; %bb.8377:                             ;   in Loop: Header=BB4_7360 Depth=2
	s_and_not1_saveexec_b32 s14, s14
; %bb.8378:                             ;   in Loop: Header=BB4_7360 Depth=2
	v_cmp_lt_i32_e32 vcc_lo, -1, v19
	v_cndmask_b32_e64 v21, -4, 0x7c, vcc_lo
; %bb.8379:                             ;   in Loop: Header=BB4_7360 Depth=2
	s_or_b32 exec_lo, exec_lo, s14
.LBB4_8380:                             ;   in Loop: Header=BB4_7360 Depth=2
	s_delay_alu instid0(SALU_CYCLE_1)
	s_or_b32 exec_lo, exec_lo, s7
	v_and_b32_e32 v20, 0xff, v18
	v_cmp_ne_u16_e64 s7, 0, v18
	s_and_not1_b32 vcc_lo, exec_lo, s13
	s_mov_b32 s14, -1
                                        ; implicit-def: $vgpr19
	s_cbranch_vccnz .LBB4_8402
; %bb.8381:                             ;   in Loop: Header=BB4_7360 Depth=2
	v_dual_mov_b32 v17, 0 :: v_dual_mov_b32 v19, 0
	s_and_saveexec_b32 s14, s7
	s_cbranch_execz .LBB4_8391
; %bb.8382:                             ;   in Loop: Header=BB4_7360 Depth=2
	v_bfrev_b32_e32 v19, 1
	s_mov_b32 s41, exec_lo
	v_cmpx_ne_u16_e32 0xff80, v18
	s_cbranch_execz .LBB4_8390
; %bb.8383:                             ;   in Loop: Header=BB4_7360 Depth=2
	v_and_b32_e32 v19, 0x7c, v20
	v_and_b32_e32 v22, 3, v20
	s_delay_alu instid0(VALU_DEP_2) | instskip(SKIP_1) | instid1(SALU_CYCLE_1)
	v_cmp_ne_u32_e32 vcc_lo, 0x7c, v19
                                        ; implicit-def: $vgpr19
	s_and_saveexec_b32 s42, vcc_lo
	s_xor_b32 s42, exec_lo, s42
	s_cbranch_execz .LBB4_8387
; %bb.8384:                             ;   in Loop: Header=BB4_7360 Depth=2
	v_bfe_u32 v19, v20, 2, 5
	s_mov_b32 s43, exec_lo
	s_delay_alu instid0(VALU_DEP_1)
	v_cmpx_eq_u32_e32 0, v19
; %bb.8385:                             ;   in Loop: Header=BB4_7360 Depth=2
	v_clz_i32_u32_e32 v19, v22
	s_delay_alu instid0(VALU_DEP_1) | instskip(SKIP_1) | instid1(VALU_DEP_2)
	v_min_u32_e32 v24, 32, v19
	v_mov_b32_e32 v19, v53
	v_subrev_nc_u32_e32 v22, 29, v24
	s_delay_alu instid0(VALU_DEP_1) | instskip(NEXT) | instid1(VALU_DEP_1)
	v_lshlrev_b64_e32 v[22:23], v22, v[18:19]
	v_dual_sub_nc_u32 v19, 30, v24 :: v_dual_bitop2_b32 v22, 3, v22 bitop3:0x40
; %bb.8386:                             ;   in Loop: Header=BB4_7360 Depth=2
	s_or_b32 exec_lo, exec_lo, s43
	v_bfe_i32 v23, v18, 0, 16
	s_delay_alu instid0(VALU_DEP_1) | instskip(NEXT) | instid1(VALU_DEP_1)
	v_and_b32_e32 v23, 0x80000000, v23
	v_lshl_add_u32 v19, v19, 23, v23
	s_delay_alu instid0(VALU_DEP_1) | instskip(NEXT) | instid1(VALU_DEP_1)
	v_lshl_or_b32 v19, v22, 21, v19
                                        ; implicit-def: $vgpr22
	v_add_nc_u32_e32 v19, 0x38000000, v19
.LBB4_8387:                             ;   in Loop: Header=BB4_7360 Depth=2
	s_and_not1_saveexec_b32 s42, s42
; %bb.8388:                             ;   in Loop: Header=BB4_7360 Depth=2
	v_cmp_lt_i16_e32 vcc_lo, -1, v18
	v_cndmask_b32_e32 v19, 0xff800000, v109, vcc_lo
	v_cmp_eq_u32_e32 vcc_lo, 0, v22
	s_delay_alu instid0(VALU_DEP_2)
	v_cndmask_b32_e32 v19, 0x7f800001, v19, vcc_lo
; %bb.8389:                             ;   in Loop: Header=BB4_7360 Depth=2
	s_or_b32 exec_lo, exec_lo, s42
.LBB4_8390:                             ;   in Loop: Header=BB4_7360 Depth=2
	s_delay_alu instid0(SALU_CYCLE_1)
	s_or_b32 exec_lo, exec_lo, s41
.LBB4_8391:                             ;   in Loop: Header=BB4_7360 Depth=2
	s_delay_alu instid0(SALU_CYCLE_1) | instskip(NEXT) | instid1(SALU_CYCLE_1)
	s_or_b32 exec_lo, exec_lo, s14
	s_mov_b32 s14, exec_lo
	s_wait_loadcnt_dscnt 0x0
	v_cmpx_ne_u16_e32 0, v16
	s_cbranch_execz .LBB4_8401
; %bb.8392:                             ;   in Loop: Header=BB4_7360 Depth=2
	v_bfrev_b32_e32 v17, 1
	s_mov_b32 s41, exec_lo
	v_cmpx_ne_u16_e32 0xff80, v16
	s_cbranch_execz .LBB4_8400
; %bb.8393:                             ;   in Loop: Header=BB4_7360 Depth=2
	v_and_b32_e32 v17, 0x7c, v16
	v_and_b32_e32 v22, 3, v16
	s_delay_alu instid0(VALU_DEP_2) | instskip(SKIP_1) | instid1(SALU_CYCLE_1)
	v_cmp_ne_u32_e32 vcc_lo, 0x7c, v17
                                        ; implicit-def: $vgpr17
	s_and_saveexec_b32 s42, vcc_lo
	s_xor_b32 s42, exec_lo, s42
	s_cbranch_execz .LBB4_8397
; %bb.8394:                             ;   in Loop: Header=BB4_7360 Depth=2
	v_and_b32_e32 v17, 0xff, v16
	s_mov_b32 s43, exec_lo
	s_delay_alu instid0(VALU_DEP_1) | instskip(NEXT) | instid1(VALU_DEP_1)
	v_bfe_u32 v17, v17, 2, 5
	v_cmpx_eq_u32_e32 0, v17
; %bb.8395:                             ;   in Loop: Header=BB4_7360 Depth=2
	v_clz_i32_u32_e32 v17, v22
	s_delay_alu instid0(VALU_DEP_1) | instskip(SKIP_1) | instid1(VALU_DEP_2)
	v_min_u32_e32 v24, 32, v17
	v_mov_b32_e32 v17, v53
	v_subrev_nc_u32_e32 v22, 29, v24
	s_delay_alu instid0(VALU_DEP_1) | instskip(NEXT) | instid1(VALU_DEP_1)
	v_lshlrev_b64_e32 v[22:23], v22, v[16:17]
	v_dual_sub_nc_u32 v17, 30, v24 :: v_dual_bitop2_b32 v22, 3, v22 bitop3:0x40
; %bb.8396:                             ;   in Loop: Header=BB4_7360 Depth=2
	s_or_b32 exec_lo, exec_lo, s43
	v_bfe_i32 v23, v16, 0, 16
	s_delay_alu instid0(VALU_DEP_1) | instskip(NEXT) | instid1(VALU_DEP_1)
	v_and_b32_e32 v23, 0x80000000, v23
	v_lshl_add_u32 v17, v17, 23, v23
	s_delay_alu instid0(VALU_DEP_1) | instskip(NEXT) | instid1(VALU_DEP_1)
	v_lshl_or_b32 v17, v22, 21, v17
                                        ; implicit-def: $vgpr22
	v_add_nc_u32_e32 v17, 0x38000000, v17
.LBB4_8397:                             ;   in Loop: Header=BB4_7360 Depth=2
	s_and_not1_saveexec_b32 s42, s42
; %bb.8398:                             ;   in Loop: Header=BB4_7360 Depth=2
	v_cmp_lt_i16_e32 vcc_lo, -1, v16
	v_cndmask_b32_e32 v17, 0xff800000, v109, vcc_lo
	v_cmp_eq_u32_e32 vcc_lo, 0, v22
	s_delay_alu instid0(VALU_DEP_2)
	v_cndmask_b32_e32 v17, 0x7f800001, v17, vcc_lo
; %bb.8399:                             ;   in Loop: Header=BB4_7360 Depth=2
	s_or_b32 exec_lo, exec_lo, s42
.LBB4_8400:                             ;   in Loop: Header=BB4_7360 Depth=2
	s_delay_alu instid0(SALU_CYCLE_1)
	s_or_b32 exec_lo, exec_lo, s41
.LBB4_8401:                             ;   in Loop: Header=BB4_7360 Depth=2
	s_delay_alu instid0(SALU_CYCLE_1) | instskip(NEXT) | instid1(VALU_DEP_1)
	s_or_b32 exec_lo, exec_lo, s14
	v_dual_max_num_f32 v17, v17, v17 :: v_dual_max_num_f32 v19, v19, v19
	s_mov_b32 s14, 0
	s_delay_alu instid0(VALU_DEP_1)
	v_max_num_f32_e32 v19, v19, v17
.LBB4_8402:                             ;   in Loop: Header=BB4_7360 Depth=2
	s_and_b32 vcc_lo, exec_lo, s14
	s_cbranch_vccz .LBB4_8424
; %bb.8403:                             ;   in Loop: Header=BB4_7360 Depth=2
	v_dual_mov_b32 v17, 0 :: v_dual_mov_b32 v19, 0
	s_and_saveexec_b32 s14, s7
	s_cbranch_execz .LBB4_8413
; %bb.8404:                             ;   in Loop: Header=BB4_7360 Depth=2
	v_bfrev_b32_e32 v19, 1
	s_mov_b32 s7, exec_lo
	v_cmpx_ne_u16_e32 0xff80, v18
	s_cbranch_execz .LBB4_8412
; %bb.8405:                             ;   in Loop: Header=BB4_7360 Depth=2
	v_and_b32_e32 v19, 0x7c, v20
	v_and_b32_e32 v22, 3, v20
	s_delay_alu instid0(VALU_DEP_2) | instskip(SKIP_1) | instid1(SALU_CYCLE_1)
	v_cmp_ne_u32_e32 vcc_lo, 0x7c, v19
                                        ; implicit-def: $vgpr19
	s_and_saveexec_b32 s41, vcc_lo
	s_xor_b32 s41, exec_lo, s41
	s_cbranch_execz .LBB4_8409
; %bb.8406:                             ;   in Loop: Header=BB4_7360 Depth=2
	v_bfe_u32 v19, v20, 2, 5
	s_mov_b32 s42, exec_lo
	s_delay_alu instid0(VALU_DEP_1)
	v_cmpx_eq_u32_e32 0, v19
; %bb.8407:                             ;   in Loop: Header=BB4_7360 Depth=2
	v_clz_i32_u32_e32 v19, v22
	s_delay_alu instid0(VALU_DEP_1) | instskip(SKIP_1) | instid1(VALU_DEP_2)
	v_min_u32_e32 v20, 32, v19
	v_mov_b32_e32 v19, v53
	v_subrev_nc_u32_e32 v22, 29, v20
	s_delay_alu instid0(VALU_DEP_1) | instskip(NEXT) | instid1(VALU_DEP_1)
	v_lshlrev_b64_e32 v[22:23], v22, v[18:19]
	v_dual_sub_nc_u32 v19, 30, v20 :: v_dual_bitop2_b32 v22, 3, v22 bitop3:0x40
; %bb.8408:                             ;   in Loop: Header=BB4_7360 Depth=2
	s_or_b32 exec_lo, exec_lo, s42
	v_bfe_i32 v18, v18, 0, 16
	s_delay_alu instid0(VALU_DEP_1) | instskip(NEXT) | instid1(VALU_DEP_1)
	v_and_b32_e32 v18, 0x80000000, v18
	v_lshl_add_u32 v18, v19, 23, v18
	s_delay_alu instid0(VALU_DEP_1) | instskip(NEXT) | instid1(VALU_DEP_1)
	v_lshl_or_b32 v18, v22, 21, v18
                                        ; implicit-def: $vgpr22
	v_add_nc_u32_e32 v19, 0x38000000, v18
                                        ; implicit-def: $vgpr18
.LBB4_8409:                             ;   in Loop: Header=BB4_7360 Depth=2
	s_and_not1_saveexec_b32 s41, s41
; %bb.8410:                             ;   in Loop: Header=BB4_7360 Depth=2
	v_cmp_lt_i16_e32 vcc_lo, -1, v18
	v_cndmask_b32_e32 v18, 0xff800000, v109, vcc_lo
	v_cmp_eq_u32_e32 vcc_lo, 0, v22
	s_delay_alu instid0(VALU_DEP_2)
	v_cndmask_b32_e32 v19, 0x7f800001, v18, vcc_lo
; %bb.8411:                             ;   in Loop: Header=BB4_7360 Depth=2
	s_or_b32 exec_lo, exec_lo, s41
.LBB4_8412:                             ;   in Loop: Header=BB4_7360 Depth=2
	s_delay_alu instid0(SALU_CYCLE_1)
	s_or_b32 exec_lo, exec_lo, s7
.LBB4_8413:                             ;   in Loop: Header=BB4_7360 Depth=2
	s_delay_alu instid0(SALU_CYCLE_1) | instskip(NEXT) | instid1(SALU_CYCLE_1)
	s_or_b32 exec_lo, exec_lo, s14
	s_mov_b32 s7, exec_lo
	s_wait_loadcnt_dscnt 0x0
	v_cmpx_ne_u16_e32 0, v16
	s_cbranch_execz .LBB4_8423
; %bb.8414:                             ;   in Loop: Header=BB4_7360 Depth=2
	v_bfrev_b32_e32 v17, 1
	s_mov_b32 s14, exec_lo
	v_cmpx_ne_u16_e32 0xff80, v16
	s_cbranch_execz .LBB4_8422
; %bb.8415:                             ;   in Loop: Header=BB4_7360 Depth=2
	v_and_b32_e32 v17, 0x7c, v16
	v_and_b32_e32 v18, 3, v16
	s_delay_alu instid0(VALU_DEP_2) | instskip(SKIP_1) | instid1(SALU_CYCLE_1)
	v_cmp_ne_u32_e32 vcc_lo, 0x7c, v17
                                        ; implicit-def: $vgpr17
	s_and_saveexec_b32 s41, vcc_lo
	s_xor_b32 s41, exec_lo, s41
	s_cbranch_execz .LBB4_8419
; %bb.8416:                             ;   in Loop: Header=BB4_7360 Depth=2
	v_and_b32_e32 v17, 0xff, v16
	s_mov_b32 s42, exec_lo
	s_delay_alu instid0(VALU_DEP_1) | instskip(NEXT) | instid1(VALU_DEP_1)
	v_bfe_u32 v17, v17, 2, 5
	v_cmpx_eq_u32_e32 0, v17
	s_cbranch_execz .LBB4_8418
; %bb.8417:                             ;   in Loop: Header=BB4_7360 Depth=2
	v_clz_i32_u32_e32 v17, v18
	s_delay_alu instid0(VALU_DEP_1) | instskip(SKIP_1) | instid1(VALU_DEP_2)
	v_min_u32_e32 v18, 32, v17
	v_mov_b32_e32 v17, v53
	v_subrev_nc_u32_e32 v20, 29, v18
	s_delay_alu instid0(VALU_DEP_1) | instskip(SKIP_1) | instid1(VALU_DEP_2)
	v_lshlrev_b64_e32 v[22:23], v20, v[16:17]
	v_sub_nc_u32_e32 v17, 30, v18
	v_and_b32_e32 v18, 3, v22
.LBB4_8418:                             ;   in Loop: Header=BB4_7360 Depth=2
	s_or_b32 exec_lo, exec_lo, s42
	v_bfe_i32 v16, v16, 0, 16
	s_delay_alu instid0(VALU_DEP_1) | instskip(NEXT) | instid1(VALU_DEP_1)
	v_and_b32_e32 v16, 0x80000000, v16
	v_lshl_add_u32 v16, v17, 23, v16
	s_delay_alu instid0(VALU_DEP_1) | instskip(NEXT) | instid1(VALU_DEP_1)
	v_lshl_or_b32 v16, v18, 21, v16
                                        ; implicit-def: $vgpr18
	v_add_nc_u32_e32 v17, 0x38000000, v16
                                        ; implicit-def: $vgpr16
.LBB4_8419:                             ;   in Loop: Header=BB4_7360 Depth=2
	s_and_not1_saveexec_b32 s41, s41
; %bb.8420:                             ;   in Loop: Header=BB4_7360 Depth=2
	v_cmp_lt_i16_e32 vcc_lo, -1, v16
	v_cndmask_b32_e32 v16, 0xff800000, v109, vcc_lo
	v_cmp_eq_u32_e32 vcc_lo, 0, v18
	s_delay_alu instid0(VALU_DEP_2)
	v_cndmask_b32_e32 v17, 0x7f800001, v16, vcc_lo
; %bb.8421:                             ;   in Loop: Header=BB4_7360 Depth=2
	s_or_b32 exec_lo, exec_lo, s41
.LBB4_8422:                             ;   in Loop: Header=BB4_7360 Depth=2
	s_delay_alu instid0(SALU_CYCLE_1)
	s_or_b32 exec_lo, exec_lo, s14
.LBB4_8423:                             ;   in Loop: Header=BB4_7360 Depth=2
	s_delay_alu instid0(SALU_CYCLE_1) | instskip(NEXT) | instid1(VALU_DEP_1)
	s_or_b32 exec_lo, exec_lo, s7
	v_dual_max_num_f32 v16, v17, v17 :: v_dual_max_num_f32 v17, v19, v19
	s_delay_alu instid0(VALU_DEP_1)
	v_min_num_f32_e32 v19, v17, v16
.LBB4_8424:                             ;   in Loop: Header=BB4_7360 Depth=2
	s_wait_loadcnt_dscnt 0x0
	s_delay_alu instid0(VALU_DEP_1) | instskip(SKIP_2) | instid1(VALU_DEP_2)
	v_and_b32_e32 v16, 0x7f800000, v19
	v_mov_b32_e32 v17, v53
	v_and_b32_e32 v52, 0x7fffff, v19
	v_cmp_ne_u64_e32 vcc_lo, 0x7f800000, v[16:17]
                                        ; implicit-def: $vgpr17
	s_and_saveexec_b32 s7, vcc_lo
	s_delay_alu instid0(SALU_CYCLE_1)
	s_xor_b32 s14, exec_lo, s7
	s_cbranch_execz .LBB4_8442
; %bb.8425:                             ;   in Loop: Header=BB4_7360 Depth=2
	v_and_b32_e32 v16, 0x7fffffff, v19
	v_dual_mov_b32 v17, v53 :: v_dual_lshrrev_b32 v18, 24, v19
	s_delay_alu instid0(VALU_DEP_1) | instskip(NEXT) | instid1(VALU_DEP_2)
	v_cmp_gt_u64_e32 vcc_lo, 0x47600001, v[16:17]
	v_and_b32_e32 v20, 0x80, v18
                                        ; implicit-def: $vgpr17
	s_and_saveexec_b32 s7, vcc_lo
	s_delay_alu instid0(SALU_CYCLE_1)
	s_xor_b32 s41, exec_lo, s7
	s_cbranch_execz .LBB4_8439
; %bb.8426:                             ;   in Loop: Header=BB4_7360 Depth=2
	v_mov_b32_e32 v17, 0
	s_mov_b32 s42, exec_lo
	v_cmpx_ne_u32_e32 0, v19
	s_cbranch_execz .LBB4_8438
; %bb.8427:                             ;   in Loop: Header=BB4_7360 Depth=2
	v_bfe_u32 v22, v19, 23, 8
	v_or_b32_e32 v18, 0x800000, v52
	s_delay_alu instid0(VALU_DEP_2) | instskip(SKIP_1) | instid1(VALU_DEP_2)
	v_sub_nc_u32_e32 v16, 0x71, v22
	v_cmp_gt_u32_e32 vcc_lo, 0x72, v22
	v_cndmask_b32_e32 v16, 0, v16, vcc_lo
	v_cmp_eq_u32_e32 vcc_lo, 0, v22
	s_delay_alu instid0(VALU_DEP_2) | instskip(NEXT) | instid1(VALU_DEP_1)
	v_cndmask_b32_e64 v23, v16, 0x70, vcc_lo
	v_dual_cndmask_b32 v52, v18, v52, vcc_lo :: v_dual_add_nc_u32 v16, 21, v23
	v_add_nc_u32_e32 v19, 20, v23
	s_delay_alu instid0(VALU_DEP_2) | instskip(NEXT) | instid1(VALU_DEP_2)
	v_lshlrev_b64_e64 v[16:17], v16, -1
	v_lshlrev_b64_e64 v[18:19], v19, 1
	s_delay_alu instid0(VALU_DEP_2) | instskip(NEXT) | instid1(VALU_DEP_3)
	v_bfi_b32 v85, v17, 0, 0
	v_bfi_b32 v84, v16, 0, v52
	v_lshrrev_b64 v[16:17], v23, v[52:53]
	s_delay_alu instid0(VALU_DEP_2) | instskip(NEXT) | instid1(VALU_DEP_2)
	v_cmp_eq_u64_e64 s7, v[84:85], v[18:19]
	v_mov_b64_e32 v[18:19], v[16:17]
	s_and_saveexec_b32 s43, s7
; %bb.8428:                             ;   in Loop: Header=BB4_7360 Depth=2
	v_bfe_u32 v52, v16, 21, 1
	s_delay_alu instid0(VALU_DEP_1) | instskip(NEXT) | instid1(VALU_DEP_1)
	v_add_nc_u64_e32 v[18:19], v[16:17], v[52:53]
	v_add_nc_u64_e32 v[18:19], -1, v[18:19]
; %bb.8429:                             ;   in Loop: Header=BB4_7360 Depth=2
	s_or_b32 exec_lo, exec_lo, s43
	v_add_nc_u32_e32 v17, 0xffffff81, v22
	v_lshrrev_b32_e32 v19, 23, v16
	s_mov_b32 s7, exec_lo
	s_delay_alu instid0(VALU_DEP_2) | instskip(NEXT) | instid1(VALU_DEP_1)
	v_cndmask_b32_e64 v17, v17, 0xffffff82, vcc_lo
	v_add3_u32 v19, v23, v17, v19
	v_and_b32_e32 v17, 0x1fffff, v18
                                        ; implicit-def: $vgpr18
	s_delay_alu instid0(VALU_DEP_1) | instskip(NEXT) | instid1(VALU_DEP_1)
	v_dual_add_nc_u32 v22, 14, v19 :: v_dual_add_nc_u32 v52, v17, v16
                                        ; implicit-def: $vgpr16_vgpr17
	v_cmpx_ne_u32_e32 0, v22
	s_xor_b32 s7, exec_lo, s7
; %bb.8430:                             ;   in Loop: Header=BB4_7360 Depth=2
	s_delay_alu instid0(VALU_DEP_2) | instskip(SKIP_1) | instid1(VALU_DEP_1)
	v_cmp_lt_u64_e32 vcc_lo, 0xffffff, v[52:53]
	v_add_nc_u32_e32 v16, 15, v19
	v_cndmask_b32_e32 v18, v22, v16, vcc_lo
	v_cndmask_b32_e64 v16, 0, 1, vcc_lo
	s_delay_alu instid0(VALU_DEP_1)
	v_lshrrev_b64 v[16:17], v16, v[52:53]
; %bb.8431:                             ;   in Loop: Header=BB4_7360 Depth=2
	s_and_not1_saveexec_b32 s7, s7
; %bb.8432:                             ;   in Loop: Header=BB4_7360 Depth=2
	v_mov_b64_e32 v[16:17], v[52:53]
	v_bfe_u32 v18, v52, 23, 1
; %bb.8433:                             ;   in Loop: Header=BB4_7360 Depth=2
	s_or_b32 exec_lo, exec_lo, s7
	s_delay_alu instid0(VALU_DEP_2) | instskip(NEXT) | instid1(VALU_DEP_2)
	v_lshrrev_b64 v[16:17], 21, v[16:17]
	v_cmp_gt_i32_e32 vcc_lo, 32, v18
	v_cmp_ne_u32_e64 s7, 0, v18
	s_delay_alu instid0(VALU_DEP_3) | instskip(NEXT) | instid1(VALU_DEP_1)
	v_dual_cndmask_b32 v17, 0, v17 :: v_dual_cndmask_b32 v16, 3, v16
	v_cmp_ne_u64_e32 vcc_lo, 0, v[16:17]
                                        ; implicit-def: $vgpr17
	s_or_b32 s7, s7, vcc_lo
	s_delay_alu instid0(SALU_CYCLE_1) | instskip(NEXT) | instid1(SALU_CYCLE_1)
	s_and_saveexec_b32 s43, s7
	s_xor_b32 s7, exec_lo, s43
; %bb.8434:                             ;   in Loop: Header=BB4_7360 Depth=2
	v_min_i32_e32 v17, 31, v18
	s_delay_alu instid0(VALU_DEP_1) | instskip(NEXT) | instid1(VALU_DEP_1)
	v_lshl_or_b32 v17, v17, 2, v20
                                        ; implicit-def: $vgpr20
	v_and_or_b32 v17, v16, 3, v17
; %bb.8435:                             ;   in Loop: Header=BB4_7360 Depth=2
	s_and_not1_saveexec_b32 s7, s7
; %bb.8436:                             ;   in Loop: Header=BB4_7360 Depth=2
	v_mov_b32_e32 v17, v20
; %bb.8437:                             ;   in Loop: Header=BB4_7360 Depth=2
	s_or_b32 exec_lo, exec_lo, s7
.LBB4_8438:                             ;   in Loop: Header=BB4_7360 Depth=2
	s_delay_alu instid0(SALU_CYCLE_1)
	s_or_b32 exec_lo, exec_lo, s42
                                        ; implicit-def: $vgpr20
.LBB4_8439:                             ;   in Loop: Header=BB4_7360 Depth=2
	s_and_not1_saveexec_b32 s7, s41
; %bb.8440:                             ;   in Loop: Header=BB4_7360 Depth=2
	v_or_b32_e32 v17, 0x7b, v20
; %bb.8441:                             ;   in Loop: Header=BB4_7360 Depth=2
	s_or_b32 exec_lo, exec_lo, s7
                                        ; implicit-def: $vgpr19
.LBB4_8442:                             ;   in Loop: Header=BB4_7360 Depth=2
	s_and_not1_saveexec_b32 s7, s14
	s_cbranch_execz .LBB4_7359
; %bb.8443:                             ;   in Loop: Header=BB4_7360 Depth=2
	s_mov_b32 s14, exec_lo
                                        ; implicit-def: $vgpr17
	v_cmpx_ne_u64_e32 0, v[52:53]
	s_xor_b32 s14, exec_lo, s14
; %bb.8444:                             ;   in Loop: Header=BB4_7360 Depth=2
	v_lshrrev_b32_e32 v16, 24, v19
                                        ; implicit-def: $vgpr19
	s_delay_alu instid0(VALU_DEP_1)
	v_or_b32_e32 v17, 0x7f, v16
; %bb.8445:                             ;   in Loop: Header=BB4_7360 Depth=2
	s_and_not1_saveexec_b32 s14, s14
	s_cbranch_execz .LBB4_7358
; %bb.8446:                             ;   in Loop: Header=BB4_7360 Depth=2
	v_cmp_lt_i32_e32 vcc_lo, -1, v19
	v_cndmask_b32_e64 v17, -4, 0x7c, vcc_lo
	s_branch .LBB4_7358
.LBB4_8447:                             ;   in Loop: Header=BB4_4329 Depth=1
	s_or_b32 exec_lo, exec_lo, s11
.LBB4_8448:                             ;   in Loop: Header=BB4_4329 Depth=1
	s_delay_alu instid0(SALU_CYCLE_1) | instskip(SKIP_1) | instid1(VALU_DEP_1)
	s_or_b32 exec_lo, exec_lo, s10
	v_and_b32_e32 v10, 0xfffffe00, v122
	v_cmp_ne_u32_e32 vcc_lo, v122, v10
	s_and_b32 exec_lo, exec_lo, vcc_lo
	s_cbranch_execz .LBB4_8520
; %bb.8449:                             ;   in Loop: Header=BB4_4329 Depth=1
	v_dual_lshlrev_b32 v0, 5, v0 :: v_dual_lshlrev_b32 v3, 5, v3
	s_delay_alu instid0(VALU_DEP_1) | instskip(NEXT) | instid1(VALU_DEP_1)
	v_sub_nc_u32_e32 v0, v123, v0
	v_sub_nc_u32_e32 v3, v0, v3
	v_and_b32_e32 v0, 0x1ff, v122
	s_delay_alu instid0(VALU_DEP_1) | instskip(NEXT) | instid1(VALU_DEP_1)
	v_sub_nc_u32_e32 v0, v0, v3
	v_cmp_lt_i32_e32 vcc_lo, 0, v0
	s_and_b32 exec_lo, exec_lo, vcc_lo
	s_cbranch_execz .LBB4_8520
; %bb.8450:                             ;   in Loop: Header=BB4_4329 Depth=1
	s_trap 2
	ds_load_b128 v[12:15], v0
	ds_load_b64 v[16:17], v0
	v_add3_u32 v18, v10, v30, v3
	s_bitcmp1_b32 s40, 0
	s_mov_b32 s13, 0
	s_cselect_b32 s14, -1, 0
	s_delay_alu instid0(VALU_DEP_1) | instskip(SKIP_1) | instid1(VALU_DEP_1)
	v_ashrrev_i32_e32 v19, 31, v18
	s_wait_dscnt 0x1
	v_add_nc_u64_e32 v[10:11], v[12:13], v[18:19]
	v_add_nc_u64_e32 v[12:13], v[14:15], v[18:19]
	s_wait_dscnt 0x0
	v_add_nc_u64_e32 v[14:15], v[16:17], v[18:19]
	s_branch .LBB4_8453
.LBB4_8451:                             ;   in Loop: Header=BB4_8453 Depth=2
	s_or_b32 exec_lo, exec_lo, s10
.LBB4_8452:                             ;   in Loop: Header=BB4_8453 Depth=2
	s_delay_alu instid0(SALU_CYCLE_1)
	s_or_b32 exec_lo, exec_lo, s7
	v_sub_nc_u32_e32 v0, v0, v70
	flat_store_b8 v[14:15], v17 th:TH_STORE_NT
	v_add_nc_u64_e32 v[10:11], v[10:11], v[70:71]
	v_add_nc_u64_e32 v[12:13], v[12:13], v[70:71]
	s_wait_xcnt 0x0
	v_add_nc_u64_e32 v[14:15], v[14:15], v[70:71]
	v_cmp_gt_i32_e32 vcc_lo, 1, v0
	s_or_b32 s13, vcc_lo, s13
	s_delay_alu instid0(SALU_CYCLE_1)
	s_and_not1_b32 exec_lo, exec_lo, s13
	s_cbranch_execz .LBB4_8520
.LBB4_8453:                             ;   Parent Loop BB4_4329 Depth=1
                                        ; =>  This Inner Loop Header: Depth=2
	flat_load_u8 v3, v[10:11] th:TH_LOAD_NT
	flat_load_u8 v17, v[12:13] th:TH_LOAD_NT
	s_mov_b32 s40, -1
                                        ; implicit-def: $vgpr21
	s_wait_loadcnt_dscnt 0x101
	v_bfe_i32 v16, v3, 0, 8
	s_wait_loadcnt_dscnt 0x0
	v_bfe_i32 v18, v17, 0, 8
	v_lshlrev_b32_e32 v19, 24, v17
	v_cmp_ne_u16_e64 s10, 0, v17
	v_and_b32_e32 v52, 0xffff, v17
	v_cmp_ne_u16_e64 s7, 0x80, v17
	v_cmp_lt_i16_e32 vcc_lo, -1, v18
	v_and_b32_e32 v20, 0xffff, v3
	v_cmp_ne_u16_e64 s11, 0, v3
	v_and_or_b32 v3, 0x80000000, v19, s27
	v_cndmask_b32_e32 v19, 0xff800000, v109, vcc_lo
	s_and_b32 vcc_lo, exec_lo, s14
	s_cbranch_vccz .LBB4_8475
; %bb.8454:                             ;   in Loop: Header=BB4_8453 Depth=2
	v_dual_mov_b32 v21, 0 :: v_dual_mov_b32 v17, 0
	s_wait_xcnt 0x0
	s_and_saveexec_b32 s40, s11
	s_cbranch_execz .LBB4_8464
; %bb.8455:                             ;   in Loop: Header=BB4_8453 Depth=2
	v_bfrev_b32_e32 v17, 1
	s_mov_b32 s41, exec_lo
	v_cmpx_ne_u16_e32 0xff80, v16
	s_cbranch_execz .LBB4_8463
; %bb.8456:                             ;   in Loop: Header=BB4_8453 Depth=2
	v_and_b32_e32 v17, 0x7c, v20
	v_and_b32_e32 v22, 3, v20
	s_delay_alu instid0(VALU_DEP_2) | instskip(SKIP_1) | instid1(SALU_CYCLE_1)
	v_cmp_ne_u32_e32 vcc_lo, 0x7c, v17
                                        ; implicit-def: $vgpr17
	s_and_saveexec_b32 s42, vcc_lo
	s_xor_b32 s42, exec_lo, s42
	s_cbranch_execz .LBB4_8460
; %bb.8457:                             ;   in Loop: Header=BB4_8453 Depth=2
	v_bfe_u32 v17, v20, 2, 5
	s_mov_b32 s43, exec_lo
	s_delay_alu instid0(VALU_DEP_1)
	v_cmpx_eq_u32_e32 0, v17
; %bb.8458:                             ;   in Loop: Header=BB4_8453 Depth=2
	v_clz_i32_u32_e32 v17, v22
	s_delay_alu instid0(VALU_DEP_1) | instskip(SKIP_1) | instid1(VALU_DEP_2)
	v_min_u32_e32 v24, 32, v17
	v_mov_b32_e32 v17, v53
	v_subrev_nc_u32_e32 v22, 29, v24
	s_delay_alu instid0(VALU_DEP_1) | instskip(NEXT) | instid1(VALU_DEP_1)
	v_lshlrev_b64_e32 v[22:23], v22, v[16:17]
	v_dual_sub_nc_u32 v17, 30, v24 :: v_dual_bitop2_b32 v22, 3, v22 bitop3:0x40
; %bb.8459:                             ;   in Loop: Header=BB4_8453 Depth=2
	s_or_b32 exec_lo, exec_lo, s43
	v_bfe_i32 v23, v16, 0, 16
	s_delay_alu instid0(VALU_DEP_1) | instskip(NEXT) | instid1(VALU_DEP_1)
	v_and_b32_e32 v23, 0x80000000, v23
	v_lshl_add_u32 v17, v17, 23, v23
	s_delay_alu instid0(VALU_DEP_1) | instskip(NEXT) | instid1(VALU_DEP_1)
	v_lshl_or_b32 v17, v22, 21, v17
                                        ; implicit-def: $vgpr22
	v_add_nc_u32_e32 v17, 0x38000000, v17
.LBB4_8460:                             ;   in Loop: Header=BB4_8453 Depth=2
	s_and_not1_saveexec_b32 s42, s42
; %bb.8461:                             ;   in Loop: Header=BB4_8453 Depth=2
	v_cmp_lt_i16_e32 vcc_lo, -1, v16
	v_cndmask_b32_e32 v17, 0xff800000, v109, vcc_lo
	v_cmp_eq_u32_e32 vcc_lo, 0, v22
	s_delay_alu instid0(VALU_DEP_2)
	v_cndmask_b32_e32 v17, 0x7f800001, v17, vcc_lo
; %bb.8462:                             ;   in Loop: Header=BB4_8453 Depth=2
	s_or_b32 exec_lo, exec_lo, s42
.LBB4_8463:                             ;   in Loop: Header=BB4_8453 Depth=2
	s_delay_alu instid0(SALU_CYCLE_1)
	s_or_b32 exec_lo, exec_lo, s41
.LBB4_8464:                             ;   in Loop: Header=BB4_8453 Depth=2
	s_delay_alu instid0(SALU_CYCLE_1)
	s_or_b32 exec_lo, exec_lo, s40
	s_and_saveexec_b32 s40, s10
	s_cbranch_execz .LBB4_8474
; %bb.8465:                             ;   in Loop: Header=BB4_8453 Depth=2
	v_bfrev_b32_e32 v21, 1
	s_and_saveexec_b32 s41, s7
	s_cbranch_execz .LBB4_8473
; %bb.8466:                             ;   in Loop: Header=BB4_8453 Depth=2
	v_and_b32_e32 v21, 0x7c, v18
	v_and_b32_e32 v22, 3, v18
	s_delay_alu instid0(VALU_DEP_2) | instskip(SKIP_1) | instid1(SALU_CYCLE_1)
	v_cmp_ne_u32_e32 vcc_lo, 0x7c, v21
                                        ; implicit-def: $vgpr21
	s_and_saveexec_b32 s42, vcc_lo
	s_xor_b32 s42, exec_lo, s42
	s_cbranch_execz .LBB4_8470
; %bb.8467:                             ;   in Loop: Header=BB4_8453 Depth=2
	v_and_b32_e32 v21, 0xff, v18
	s_mov_b32 s43, exec_lo
	s_delay_alu instid0(VALU_DEP_1) | instskip(NEXT) | instid1(VALU_DEP_1)
	v_bfe_u32 v21, v21, 2, 5
	v_cmpx_eq_u32_e32 0, v21
; %bb.8468:                             ;   in Loop: Header=BB4_8453 Depth=2
	v_clz_i32_u32_e32 v21, v22
	s_delay_alu instid0(VALU_DEP_1) | instskip(NEXT) | instid1(VALU_DEP_1)
	v_min_u32_e32 v21, 32, v21
	v_subrev_nc_u32_e32 v22, 29, v21
	s_delay_alu instid0(VALU_DEP_1) | instskip(NEXT) | instid1(VALU_DEP_1)
	v_lshlrev_b64_e32 v[22:23], v22, v[52:53]
	v_dual_sub_nc_u32 v21, 30, v21 :: v_dual_bitop2_b32 v22, 3, v22 bitop3:0x40
; %bb.8469:                             ;   in Loop: Header=BB4_8453 Depth=2
	s_or_b32 exec_lo, exec_lo, s43
	s_delay_alu instid0(VALU_DEP_1) | instskip(NEXT) | instid1(VALU_DEP_1)
	v_lshl_add_u32 v21, v21, 23, v3
	v_lshl_or_b32 v21, v22, 21, v21
                                        ; implicit-def: $vgpr22
.LBB4_8470:                             ;   in Loop: Header=BB4_8453 Depth=2
	s_and_not1_saveexec_b32 s42, s42
; %bb.8471:                             ;   in Loop: Header=BB4_8453 Depth=2
	v_cmp_eq_u32_e32 vcc_lo, 0, v22
	v_cndmask_b32_e32 v21, 0x7f800001, v19, vcc_lo
; %bb.8472:                             ;   in Loop: Header=BB4_8453 Depth=2
	s_or_b32 exec_lo, exec_lo, s42
.LBB4_8473:                             ;   in Loop: Header=BB4_8453 Depth=2
	s_delay_alu instid0(SALU_CYCLE_1)
	s_or_b32 exec_lo, exec_lo, s41
.LBB4_8474:                             ;   in Loop: Header=BB4_8453 Depth=2
	s_delay_alu instid0(SALU_CYCLE_1) | instskip(NEXT) | instid1(VALU_DEP_1)
	s_or_b32 exec_lo, exec_lo, s40
	v_max_num_f32_e32 v21, v21, v21
	v_max_num_f32_e32 v17, v17, v17
	s_mov_b32 s40, 0
	s_delay_alu instid0(VALU_DEP_1)
	v_max_num_f32_e32 v21, v17, v21
.LBB4_8475:                             ;   in Loop: Header=BB4_8453 Depth=2
	s_and_b32 vcc_lo, exec_lo, s40
	s_cbranch_vccz .LBB4_8497
; %bb.8476:                             ;   in Loop: Header=BB4_8453 Depth=2
	v_dual_mov_b32 v21, 0 :: v_dual_mov_b32 v17, 0
	s_wait_xcnt 0x0
	s_and_saveexec_b32 s40, s11
	s_cbranch_execz .LBB4_8486
; %bb.8477:                             ;   in Loop: Header=BB4_8453 Depth=2
	v_bfrev_b32_e32 v17, 1
	s_mov_b32 s11, exec_lo
	v_cmpx_ne_u16_e32 0xff80, v16
	s_cbranch_execz .LBB4_8485
; %bb.8478:                             ;   in Loop: Header=BB4_8453 Depth=2
	v_and_b32_e32 v17, 0x7c, v20
	v_and_b32_e32 v22, 3, v20
	s_delay_alu instid0(VALU_DEP_2) | instskip(SKIP_1) | instid1(SALU_CYCLE_1)
	v_cmp_ne_u32_e32 vcc_lo, 0x7c, v17
                                        ; implicit-def: $vgpr17
	s_and_saveexec_b32 s41, vcc_lo
	s_xor_b32 s41, exec_lo, s41
	s_cbranch_execz .LBB4_8482
; %bb.8479:                             ;   in Loop: Header=BB4_8453 Depth=2
	v_bfe_u32 v17, v20, 2, 5
	s_mov_b32 s42, exec_lo
	s_delay_alu instid0(VALU_DEP_1)
	v_cmpx_eq_u32_e32 0, v17
; %bb.8480:                             ;   in Loop: Header=BB4_8453 Depth=2
	v_clz_i32_u32_e32 v17, v22
	s_delay_alu instid0(VALU_DEP_1) | instskip(SKIP_1) | instid1(VALU_DEP_2)
	v_min_u32_e32 v20, 32, v17
	v_mov_b32_e32 v17, v53
	v_subrev_nc_u32_e32 v22, 29, v20
	s_delay_alu instid0(VALU_DEP_1) | instskip(NEXT) | instid1(VALU_DEP_1)
	v_lshlrev_b64_e32 v[22:23], v22, v[16:17]
	v_dual_sub_nc_u32 v17, 30, v20 :: v_dual_bitop2_b32 v22, 3, v22 bitop3:0x40
; %bb.8481:                             ;   in Loop: Header=BB4_8453 Depth=2
	s_or_b32 exec_lo, exec_lo, s42
	v_bfe_i32 v16, v16, 0, 16
	s_delay_alu instid0(VALU_DEP_1) | instskip(NEXT) | instid1(VALU_DEP_1)
	v_and_b32_e32 v16, 0x80000000, v16
	v_lshl_add_u32 v16, v17, 23, v16
	s_delay_alu instid0(VALU_DEP_1) | instskip(NEXT) | instid1(VALU_DEP_1)
	v_lshl_or_b32 v16, v22, 21, v16
                                        ; implicit-def: $vgpr22
	v_add_nc_u32_e32 v17, 0x38000000, v16
                                        ; implicit-def: $vgpr16
.LBB4_8482:                             ;   in Loop: Header=BB4_8453 Depth=2
	s_and_not1_saveexec_b32 s41, s41
; %bb.8483:                             ;   in Loop: Header=BB4_8453 Depth=2
	v_cmp_lt_i16_e32 vcc_lo, -1, v16
	v_cndmask_b32_e32 v16, 0xff800000, v109, vcc_lo
	v_cmp_eq_u32_e32 vcc_lo, 0, v22
	s_delay_alu instid0(VALU_DEP_2)
	v_cndmask_b32_e32 v17, 0x7f800001, v16, vcc_lo
; %bb.8484:                             ;   in Loop: Header=BB4_8453 Depth=2
	s_or_b32 exec_lo, exec_lo, s41
.LBB4_8485:                             ;   in Loop: Header=BB4_8453 Depth=2
	s_delay_alu instid0(SALU_CYCLE_1)
	s_or_b32 exec_lo, exec_lo, s11
.LBB4_8486:                             ;   in Loop: Header=BB4_8453 Depth=2
	s_delay_alu instid0(SALU_CYCLE_1)
	s_or_b32 exec_lo, exec_lo, s40
	s_and_saveexec_b32 s11, s10
	s_cbranch_execz .LBB4_8496
; %bb.8487:                             ;   in Loop: Header=BB4_8453 Depth=2
	v_bfrev_b32_e32 v21, 1
	s_and_saveexec_b32 s10, s7
	s_cbranch_execz .LBB4_8495
; %bb.8488:                             ;   in Loop: Header=BB4_8453 Depth=2
	v_and_b32_e32 v20, 0x7c, v18
	v_and_b32_e32 v16, 3, v18
	s_mov_b32 s7, exec_lo
                                        ; implicit-def: $vgpr21
	s_delay_alu instid0(VALU_DEP_2)
	v_cmpx_ne_u32_e32 0x7c, v20
	s_xor_b32 s7, exec_lo, s7
	s_cbranch_execz .LBB4_8492
; %bb.8489:                             ;   in Loop: Header=BB4_8453 Depth=2
	v_and_b32_e32 v18, 0xff, v18
	s_mov_b32 s40, exec_lo
	s_delay_alu instid0(VALU_DEP_1) | instskip(NEXT) | instid1(VALU_DEP_1)
	v_bfe_u32 v18, v18, 2, 5
	v_cmpx_eq_u32_e32 0, v18
; %bb.8490:                             ;   in Loop: Header=BB4_8453 Depth=2
	v_clz_i32_u32_e32 v16, v16
	s_delay_alu instid0(VALU_DEP_1) | instskip(NEXT) | instid1(VALU_DEP_1)
	v_min_u32_e32 v16, 32, v16
	v_subrev_nc_u32_e32 v18, 29, v16
	s_delay_alu instid0(VALU_DEP_1) | instskip(SKIP_1) | instid1(VALU_DEP_2)
	v_lshlrev_b64_e32 v[20:21], v18, v[52:53]
	v_sub_nc_u32_e32 v18, 30, v16
	v_and_b32_e32 v16, 3, v20
; %bb.8491:                             ;   in Loop: Header=BB4_8453 Depth=2
	s_or_b32 exec_lo, exec_lo, s40
	s_delay_alu instid0(VALU_DEP_2) | instskip(NEXT) | instid1(VALU_DEP_1)
	v_lshl_add_u32 v3, v18, 23, v3
                                        ; implicit-def: $vgpr19
	v_lshl_or_b32 v21, v16, 21, v3
                                        ; implicit-def: $vgpr16
.LBB4_8492:                             ;   in Loop: Header=BB4_8453 Depth=2
	s_and_not1_saveexec_b32 s7, s7
; %bb.8493:                             ;   in Loop: Header=BB4_8453 Depth=2
	v_cmp_eq_u32_e32 vcc_lo, 0, v16
	v_cndmask_b32_e32 v21, 0x7f800001, v19, vcc_lo
; %bb.8494:                             ;   in Loop: Header=BB4_8453 Depth=2
	s_or_b32 exec_lo, exec_lo, s7
.LBB4_8495:                             ;   in Loop: Header=BB4_8453 Depth=2
	s_delay_alu instid0(SALU_CYCLE_1)
	s_or_b32 exec_lo, exec_lo, s10
.LBB4_8496:                             ;   in Loop: Header=BB4_8453 Depth=2
	s_delay_alu instid0(SALU_CYCLE_1) | instskip(NEXT) | instid1(VALU_DEP_1)
	s_or_b32 exec_lo, exec_lo, s11
	v_max_num_f32_e32 v3, v21, v21
	v_max_num_f32_e32 v16, v17, v17
	s_delay_alu instid0(VALU_DEP_1)
	v_min_num_f32_e32 v21, v16, v3
.LBB4_8497:                             ;   in Loop: Header=BB4_8453 Depth=2
	s_delay_alu instid0(VALU_DEP_1) | instskip(SKIP_2) | instid1(VALU_DEP_2)
	v_and_b32_e32 v16, 0x7f800000, v21
	v_mov_b32_e32 v17, v53
	v_and_b32_e32 v52, 0x7fffff, v21
	v_cmp_ne_u64_e32 vcc_lo, 0x7f800000, v[16:17]
                                        ; implicit-def: $vgpr17
	s_wait_xcnt 0x0
	s_and_saveexec_b32 s7, vcc_lo
	s_delay_alu instid0(SALU_CYCLE_1)
	s_xor_b32 s10, exec_lo, s7
	s_cbranch_execz .LBB4_8515
; %bb.8498:                             ;   in Loop: Header=BB4_8453 Depth=2
	v_and_b32_e32 v16, 0x7fffffff, v21
	v_dual_mov_b32 v17, v53 :: v_dual_lshrrev_b32 v3, 24, v21
	s_delay_alu instid0(VALU_DEP_1) | instskip(NEXT) | instid1(VALU_DEP_2)
	v_cmp_gt_u64_e32 vcc_lo, 0x47600001, v[16:17]
	v_and_b32_e32 v3, 0x80, v3
                                        ; implicit-def: $vgpr17
	s_and_saveexec_b32 s7, vcc_lo
	s_delay_alu instid0(SALU_CYCLE_1)
	s_xor_b32 s11, exec_lo, s7
	s_cbranch_execz .LBB4_8512
; %bb.8499:                             ;   in Loop: Header=BB4_8453 Depth=2
	v_mov_b32_e32 v17, 0
	s_mov_b32 s40, exec_lo
	v_cmpx_ne_u32_e32 0, v21
	s_cbranch_execz .LBB4_8511
; %bb.8500:                             ;   in Loop: Header=BB4_8453 Depth=2
	v_bfe_u32 v20, v21, 23, 8
	v_or_b32_e32 v18, 0x800000, v52
	s_delay_alu instid0(VALU_DEP_2) | instskip(SKIP_1) | instid1(VALU_DEP_2)
	v_sub_nc_u32_e32 v16, 0x71, v20
	v_cmp_gt_u32_e32 vcc_lo, 0x72, v20
	v_cndmask_b32_e32 v16, 0, v16, vcc_lo
	v_cmp_eq_u32_e32 vcc_lo, 0, v20
	s_delay_alu instid0(VALU_DEP_2) | instskip(NEXT) | instid1(VALU_DEP_1)
	v_cndmask_b32_e64 v21, v16, 0x70, vcc_lo
	v_dual_cndmask_b32 v52, v18, v52, vcc_lo :: v_dual_add_nc_u32 v16, 21, v21
	v_add_nc_u32_e32 v19, 20, v21
	s_delay_alu instid0(VALU_DEP_2) | instskip(NEXT) | instid1(VALU_DEP_2)
	v_lshlrev_b64_e64 v[16:17], v16, -1
	v_lshlrev_b64_e64 v[18:19], v19, 1
	s_delay_alu instid0(VALU_DEP_2) | instskip(NEXT) | instid1(VALU_DEP_3)
	v_bfi_b32 v23, v17, 0, 0
	v_bfi_b32 v22, v16, 0, v52
	v_lshrrev_b64 v[16:17], v21, v[52:53]
	s_delay_alu instid0(VALU_DEP_2) | instskip(NEXT) | instid1(VALU_DEP_2)
	v_cmp_eq_u64_e64 s7, v[22:23], v[18:19]
	v_mov_b64_e32 v[18:19], v[16:17]
	s_and_saveexec_b32 s41, s7
; %bb.8501:                             ;   in Loop: Header=BB4_8453 Depth=2
	v_bfe_u32 v52, v16, 21, 1
	s_delay_alu instid0(VALU_DEP_1) | instskip(NEXT) | instid1(VALU_DEP_1)
	v_add_nc_u64_e32 v[18:19], v[16:17], v[52:53]
	v_add_nc_u64_e32 v[18:19], -1, v[18:19]
; %bb.8502:                             ;   in Loop: Header=BB4_8453 Depth=2
	s_or_b32 exec_lo, exec_lo, s41
	v_add_nc_u32_e32 v17, 0xffffff81, v20
	v_lshrrev_b32_e32 v19, 23, v16
	s_mov_b32 s7, exec_lo
	s_delay_alu instid0(VALU_DEP_2) | instskip(NEXT) | instid1(VALU_DEP_1)
	v_cndmask_b32_e64 v17, v17, 0xffffff82, vcc_lo
	v_add3_u32 v19, v21, v17, v19
	v_and_b32_e32 v17, 0x1fffff, v18
                                        ; implicit-def: $vgpr18
	s_delay_alu instid0(VALU_DEP_1) | instskip(NEXT) | instid1(VALU_DEP_1)
	v_dual_add_nc_u32 v20, 14, v19 :: v_dual_add_nc_u32 v52, v17, v16
                                        ; implicit-def: $vgpr16_vgpr17
	v_cmpx_ne_u32_e32 0, v20
	s_xor_b32 s7, exec_lo, s7
; %bb.8503:                             ;   in Loop: Header=BB4_8453 Depth=2
	s_delay_alu instid0(VALU_DEP_2) | instskip(SKIP_1) | instid1(VALU_DEP_1)
	v_cmp_lt_u64_e32 vcc_lo, 0xffffff, v[52:53]
	v_add_nc_u32_e32 v16, 15, v19
	v_cndmask_b32_e32 v18, v20, v16, vcc_lo
	v_cndmask_b32_e64 v16, 0, 1, vcc_lo
	s_delay_alu instid0(VALU_DEP_1)
	v_lshrrev_b64 v[16:17], v16, v[52:53]
; %bb.8504:                             ;   in Loop: Header=BB4_8453 Depth=2
	s_and_not1_saveexec_b32 s7, s7
; %bb.8505:                             ;   in Loop: Header=BB4_8453 Depth=2
	v_mov_b64_e32 v[16:17], v[52:53]
	v_bfe_u32 v18, v52, 23, 1
; %bb.8506:                             ;   in Loop: Header=BB4_8453 Depth=2
	s_or_b32 exec_lo, exec_lo, s7
	s_delay_alu instid0(VALU_DEP_2) | instskip(NEXT) | instid1(VALU_DEP_2)
	v_lshrrev_b64 v[16:17], 21, v[16:17]
	v_cmp_gt_i32_e32 vcc_lo, 32, v18
	v_cmp_ne_u32_e64 s7, 0, v18
	s_delay_alu instid0(VALU_DEP_3) | instskip(NEXT) | instid1(VALU_DEP_1)
	v_dual_cndmask_b32 v17, 0, v17 :: v_dual_cndmask_b32 v16, 3, v16
	v_cmp_ne_u64_e32 vcc_lo, 0, v[16:17]
                                        ; implicit-def: $vgpr17
	s_or_b32 s7, s7, vcc_lo
	s_delay_alu instid0(SALU_CYCLE_1) | instskip(NEXT) | instid1(SALU_CYCLE_1)
	s_and_saveexec_b32 s41, s7
	s_xor_b32 s7, exec_lo, s41
; %bb.8507:                             ;   in Loop: Header=BB4_8453 Depth=2
	v_min_i32_e32 v17, 31, v18
	s_delay_alu instid0(VALU_DEP_1) | instskip(NEXT) | instid1(VALU_DEP_1)
	v_lshl_or_b32 v3, v17, 2, v3
	v_and_or_b32 v17, v16, 3, v3
                                        ; implicit-def: $vgpr3
; %bb.8508:                             ;   in Loop: Header=BB4_8453 Depth=2
	s_and_not1_saveexec_b32 s7, s7
; %bb.8509:                             ;   in Loop: Header=BB4_8453 Depth=2
	v_mov_b32_e32 v17, v3
; %bb.8510:                             ;   in Loop: Header=BB4_8453 Depth=2
	s_or_b32 exec_lo, exec_lo, s7
.LBB4_8511:                             ;   in Loop: Header=BB4_8453 Depth=2
	s_delay_alu instid0(SALU_CYCLE_1)
	s_or_b32 exec_lo, exec_lo, s40
                                        ; implicit-def: $vgpr3
.LBB4_8512:                             ;   in Loop: Header=BB4_8453 Depth=2
	s_and_not1_saveexec_b32 s7, s11
; %bb.8513:                             ;   in Loop: Header=BB4_8453 Depth=2
	v_or_b32_e32 v17, 0x7b, v3
; %bb.8514:                             ;   in Loop: Header=BB4_8453 Depth=2
	s_or_b32 exec_lo, exec_lo, s7
                                        ; implicit-def: $vgpr21
.LBB4_8515:                             ;   in Loop: Header=BB4_8453 Depth=2
	s_and_not1_saveexec_b32 s7, s10
	s_cbranch_execz .LBB4_8452
; %bb.8516:                             ;   in Loop: Header=BB4_8453 Depth=2
	s_mov_b32 s10, exec_lo
                                        ; implicit-def: $vgpr17
	v_cmpx_ne_u64_e32 0, v[52:53]
	s_xor_b32 s10, exec_lo, s10
; %bb.8517:                             ;   in Loop: Header=BB4_8453 Depth=2
	v_lshrrev_b32_e32 v3, 24, v21
                                        ; implicit-def: $vgpr21
	s_delay_alu instid0(VALU_DEP_1)
	v_or_b32_e32 v17, 0x7f, v3
; %bb.8518:                             ;   in Loop: Header=BB4_8453 Depth=2
	s_and_not1_saveexec_b32 s10, s10
	s_cbranch_execz .LBB4_8451
; %bb.8519:                             ;   in Loop: Header=BB4_8453 Depth=2
	v_cmp_lt_i32_e32 vcc_lo, -1, v21
	v_cndmask_b32_e64 v17, -4, 0x7c, vcc_lo
	s_branch .LBB4_8451
.LBB4_8520:                             ;   in Loop: Header=BB4_4329 Depth=1
	s_or_b32 exec_lo, exec_lo, s12
	v_cmp_ne_u32_e64 s7, 0, v111
	s_and_saveexec_b32 s10, s2
	s_cbranch_execz .LBB4_8539
.LBB4_8521:                             ;   in Loop: Header=BB4_4329 Depth=1
	s_and_saveexec_b32 s11, s3
	s_delay_alu instid0(SALU_CYCLE_1)
	s_xor_b32 s11, exec_lo, s11
	s_cbranch_execz .LBB4_8536
; %bb.8522:                             ;   in Loop: Header=BB4_4329 Depth=1
	s_and_saveexec_b32 s12, s4
	s_cbranch_execz .LBB4_8535
; %bb.8523:                             ;   in Loop: Header=BB4_4329 Depth=1
	s_mov_b32 s14, exec_lo
	s_mov_b32 s13, exec_lo
	v_mbcnt_lo_u32_b32 v0, s14, 0
	global_wb scope:SCOPE_DEV
	s_wait_storecnt 0x0
	s_wait_loadcnt_dscnt 0x0
	global_inv scope:SCOPE_DEV
	v_cmpx_eq_u32_e32 0, v0
	s_cbranch_execz .LBB4_8525
; %bb.8524:                             ;   in Loop: Header=BB4_4329 Depth=1
	s_bcnt1_i32_b32 s14, s14
	s_delay_alu instid0(SALU_CYCLE_1)
	v_mov_b32_e32 v52, s14
	s_wait_loadcnt 0x0
	ds_add_u64 v0, v[52:53]
	s_trap 2
.LBB4_8525:                             ;   in Loop: Header=BB4_4329 Depth=1
	s_or_b32 exec_lo, exec_lo, s13
	s_trap 2
	ds_load_b64 v[10:11], v0
	s_wait_dscnt 0x0
	v_add_nc_u64_e32 v[38:39], v[38:39], v[54:55]
	s_mov_b32 s13, exec_lo
	s_delay_alu instid0(VALU_DEP_1)
	v_cmpx_lt_u64_e64 v[10:11], v[38:39]
	s_cbranch_execz .LBB4_8534
; %bb.8526:                             ;   in Loop: Header=BB4_4329 Depth=1
	s_mov_b32 s14, 0
	s_mov_b32 s42, 0
                                        ; implicit-def: $sgpr40
                                        ; implicit-def: $sgpr41
	s_branch .LBB4_8528
.LBB4_8527:                             ;   in Loop: Header=BB4_8528 Depth=2
	s_or_b32 exec_lo, exec_lo, s44
	s_delay_alu instid0(SALU_CYCLE_1) | instskip(NEXT) | instid1(SALU_CYCLE_1)
	s_and_b32 s43, exec_lo, s45
	s_or_b32 s14, s43, s14
	s_and_not1_b32 s40, s40, exec_lo
	s_and_b32 s43, s41, exec_lo
	s_delay_alu instid0(SALU_CYCLE_1)
	s_or_b32 s40, s40, s43
	s_and_not1_b32 exec_lo, exec_lo, s14
	s_cbranch_execz .LBB4_8532
.LBB4_8528:                             ;   Parent Loop BB4_4329 Depth=1
                                        ; =>  This Inner Loop Header: Depth=2
	s_add_co_i32 s42, s42, 1
	s_delay_alu instid0(SALU_CYCLE_1) | instskip(SKIP_1) | instid1(SALU_CYCLE_1)
	s_cmp_lg_u32 s42, 0x2710
	s_cselect_b32 s43, -1, 0
	s_and_b32 vcc_lo, exec_lo, s43
	s_cbranch_vccz .LBB4_8530
; %bb.8529:                             ;   in Loop: Header=BB4_8528 Depth=2
	s_mov_b32 s45, -1
	s_or_b32 s41, s41, exec_lo
	s_and_saveexec_b32 s44, s43
	s_cbranch_execz .LBB4_8527
	s_branch .LBB4_8531
.LBB4_8530:                             ;   in Loop: Header=BB4_8528 Depth=2
	s_trap 2
	ds_load_b64 v[10:11], v0
	s_and_not1_b32 s43, s43, exec_lo
	s_mov_b32 s42, 0
	s_wait_loadcnt_dscnt 0x0
	flat_load_b32 v0, v[10:11] scope:SCOPE_SYS
	s_wait_loadcnt_dscnt 0x0
	global_inv scope:SCOPE_SYS
	v_cmp_eq_u32_e32 vcc_lo, 0, v0
	s_and_b32 s44, vcc_lo, exec_lo
	s_delay_alu instid0(SALU_CYCLE_1)
	s_or_b32 s43, s43, s44
	s_mov_b32 s45, -1
	s_or_b32 s41, s41, exec_lo
	s_and_saveexec_b32 s44, s43
	s_cbranch_execz .LBB4_8527
.LBB4_8531:                             ;   in Loop: Header=BB4_8528 Depth=2
	s_sleep 1
	s_trap 2
	ds_load_b64 v[10:11], v0
	s_wait_dscnt 0x0
	s_and_not1_b32 s41, s41, exec_lo
	v_cmp_ge_u64_e32 vcc_lo, v[10:11], v[38:39]
	s_or_not1_b32 s45, vcc_lo, exec_lo
	s_branch .LBB4_8527
.LBB4_8532:                             ;   in Loop: Header=BB4_4329 Depth=1
	s_or_b32 exec_lo, exec_lo, s14
	s_and_saveexec_b32 s14, s40
	s_delay_alu instid0(SALU_CYCLE_1)
	s_xor_b32 s14, exec_lo, s14
	s_cbranch_execz .LBB4_8534
; %bb.8533:                             ;   in Loop: Header=BB4_4329 Depth=1
	ds_store_b32 v0, v108
	s_trap 2
.LBB4_8534:                             ;   in Loop: Header=BB4_4329 Depth=1
	s_or_b32 exec_lo, exec_lo, s13
	;;#ASMSTART
	s_wakeup
	;;#ASMEND
.LBB4_8535:                             ;   in Loop: Header=BB4_4329 Depth=1
	s_or_b32 exec_lo, exec_lo, s12
.LBB4_8536:                             ;   in Loop: Header=BB4_4329 Depth=1
	s_and_not1_saveexec_b32 s11, s11
	s_cbranch_execz .LBB4_8538
; %bb.8537:                             ;   in Loop: Header=BB4_4329 Depth=1
	global_wb scope:SCOPE_DEV
	s_wait_storecnt 0x0
	s_wait_loadcnt_dscnt 0x0
	global_inv scope:SCOPE_DEV
	s_barrier_signal -1
	s_barrier_wait -1
.LBB4_8538:                             ;   in Loop: Header=BB4_4329 Depth=1
	s_or_b32 exec_lo, exec_lo, s11
.LBB4_8539:                             ;   in Loop: Header=BB4_4329 Depth=1
	s_delay_alu instid0(SALU_CYCLE_1) | instskip(SKIP_1) | instid1(VALU_DEP_1)
	s_or_b32 exec_lo, exec_lo, s10
	v_and_b32_e32 v0, 16, v120
	v_cmp_ne_u32_e32 vcc_lo, 0, v0
	s_and_b32 s10, vcc_lo, s7
	s_delay_alu instid0(SALU_CYCLE_1)
	s_and_saveexec_b32 s7, s10
	s_cbranch_execz .LBB4_8541
; %bb.8540:                             ;   in Loop: Header=BB4_4329 Depth=1
	global_wb scope:SCOPE_SYS
	s_wait_storecnt 0x0
	s_wait_loadcnt_dscnt 0x0
	global_inv scope:SCOPE_SYS
.LBB4_8541:                             ;   in Loop: Header=BB4_4329 Depth=1
	s_or_b32 exec_lo, exec_lo, s7
	v_and_b32_e32 v0, 32, v120
	s_mov_b32 s7, exec_lo
	s_delay_alu instid0(VALU_DEP_1)
	v_cmpx_ne_u32_e32 0, v0
	s_cbranch_execz .LBB4_8543
; %bb.8542:                             ;   in Loop: Header=BB4_4329 Depth=1
	v_add_nc_u64_e32 v[8:9], 1, v[8:9]
	global_wb scope:SCOPE_SYS
	s_wait_storecnt 0x0
	s_wait_loadcnt_dscnt 0x0
	flat_store_b64 v[32:33], v[8:9] scope:SCOPE_SYS
.LBB4_8543:                             ;   in Loop: Header=BB4_4329 Depth=1
	s_wait_xcnt 0x0
	s_or_b32 exec_lo, exec_lo, s7
	v_mov_b32_e32 v0, v83
.LBB4_8544:                             ;   in Loop: Header=BB4_4329 Depth=1
	s_or_b32 exec_lo, exec_lo, s29
	s_and_saveexec_b32 s10, s28
	s_cbranch_execz .LBB4_4328
; %bb.8545:                             ;   in Loop: Header=BB4_4329 Depth=1
	v_and_b32_e32 v3, 4, v120
	s_mov_b32 s11, exec_lo
	s_delay_alu instid0(VALU_DEP_1)
	v_cmpx_ne_u32_e32 0, v3
	s_cbranch_execz .LBB4_8567
; %bb.8546:                             ;   in Loop: Header=BB4_4329 Depth=1
	v_add_nc_u64_e32 v[10:11], 1, v[8:9]
	s_mov_b32 s12, exec_lo
	s_wait_loadcnt 0x0
	s_delay_alu instid0(VALU_DEP_1)
	v_cmpx_lt_u64_e64 v[48:49], v[10:11]
	s_cbranch_execz .LBB4_8558
; %bb.8547:                             ;   in Loop: Header=BB4_4329 Depth=1
	v_and_b32_e32 v3, 64, v120
	s_mov_b32 s13, 0
	s_mov_b32 s40, 0
                                        ; implicit-def: $sgpr14
                                        ; implicit-def: $sgpr28
                                        ; implicit-def: $sgpr29
	s_delay_alu instid0(VALU_DEP_1)
	v_cmp_eq_u32_e32 vcc_lo, 0, v3
	s_branch .LBB4_8551
.LBB4_8548:                             ;   in Loop: Header=BB4_8551 Depth=2
	s_wait_loadcnt_dscnt 0x0
	v_cmp_ge_u64_e64 s7, v[48:49], v[10:11]
	s_or_b32 s43, s43, exec_lo
	s_or_not1_b32 s42, s7, exec_lo
.LBB4_8549:                             ;   in Loop: Header=BB4_8551 Depth=2
	s_or_b32 exec_lo, exec_lo, s45
	s_delay_alu instid0(SALU_CYCLE_1)
	s_and_not1_b32 s7, s29, exec_lo
	s_and_b32 s29, s43, exec_lo
	s_and_not1_b32 s28, s28, exec_lo
	s_and_b32 s42, s42, exec_lo
	s_or_b32 s29, s7, s29
	s_or_b32 s28, s28, s42
.LBB4_8550:                             ;   in Loop: Header=BB4_8551 Depth=2
	s_or_b32 exec_lo, exec_lo, s41
	s_delay_alu instid0(SALU_CYCLE_1) | instskip(NEXT) | instid1(SALU_CYCLE_1)
	s_and_b32 s7, exec_lo, s28
	s_or_b32 s13, s7, s13
	s_and_not1_b32 s7, s14, exec_lo
	s_and_b32 s14, s29, exec_lo
	s_delay_alu instid0(SALU_CYCLE_1)
	s_or_b32 s14, s7, s14
	s_and_not1_b32 exec_lo, exec_lo, s13
	s_cbranch_execz .LBB4_8555
.LBB4_8551:                             ;   Parent Loop BB4_4329 Depth=1
                                        ; =>  This Inner Loop Header: Depth=2
	s_sleep 1
	s_wait_loadcnt_dscnt 0x0
	flat_load_b64 v[48:49], v[32:33] scope:SCOPE_SYS
	s_or_b32 s29, s29, exec_lo
	s_or_b32 s28, s28, exec_lo
                                        ; implicit-def: $vgpr3
	s_wait_xcnt 0x0
	s_and_saveexec_b32 s41, vcc_lo
	s_cbranch_execz .LBB4_8550
; %bb.8552:                             ;   in Loop: Header=BB4_8551 Depth=2
	s_cmp_lt_i32 s40, 0x270f
	s_mov_b32 s42, -1
	s_cselect_b32 s44, -1, 0
	s_cmp_gt_i32 s40, 0x270e
	s_cbranch_scc0 .LBB4_8554
; %bb.8553:                             ;   in Loop: Header=BB4_8551 Depth=2
	s_trap 2
	ds_load_b64 v[12:13], v0
	s_and_not1_b32 s40, s44, exec_lo
	s_mov_b32 s43, 0
	s_wait_storecnt 0x0
	s_wait_loadcnt_dscnt 0x0
	flat_load_b32 v3, v[12:13] scope:SCOPE_SYS
	s_wait_loadcnt_dscnt 0x0
	global_inv scope:SCOPE_SYS
	v_cmp_eq_u32_e64 s7, 0, v3
	s_and_b32 s7, s7, exec_lo
	s_delay_alu instid0(SALU_CYCLE_1)
	s_or_b32 s44, s40, s7
	s_mov_b32 s40, 0
	s_and_saveexec_b32 s45, s44
	s_cbranch_execz .LBB4_8549
	s_branch .LBB4_8548
.LBB4_8554:                             ;   in Loop: Header=BB4_8551 Depth=2
	s_add_co_i32 s40, s40, 1
	s_mov_b32 s43, -1
                                        ; implicit-def: $vgpr3
	s_and_saveexec_b32 s45, s44
	s_cbranch_execz .LBB4_8549
	s_branch .LBB4_8548
.LBB4_8555:                             ;   in Loop: Header=BB4_4329 Depth=1
	s_or_b32 exec_lo, exec_lo, s13
	s_xor_b32 s7, s14, -1
	s_delay_alu instid0(SALU_CYCLE_1) | instskip(NEXT) | instid1(SALU_CYCLE_1)
	s_and_saveexec_b32 s13, s7
	s_xor_b32 s7, exec_lo, s13
	s_cbranch_execz .LBB4_8557
; %bb.8556:                             ;   in Loop: Header=BB4_4329 Depth=1
	v_or_b32_e32 v120, 64, v120
	s_wait_storecnt 0x0
	s_wait_loadcnt_dscnt 0x0
	ds_store_b32 v0, v3
	s_trap 2
.LBB4_8557:                             ;   in Loop: Header=BB4_4329 Depth=1
	s_or_b32 exec_lo, exec_lo, s7
.LBB4_8558:                             ;   in Loop: Header=BB4_4329 Depth=1
	s_delay_alu instid0(SALU_CYCLE_1)
	s_or_b32 exec_lo, exec_lo, s12
	v_and_b32_e32 v3, 0x100, v120
	v_and_b32_e32 v52, 7, v8
	s_mov_b32 s7, -1
	s_mov_b32 s12, exec_lo
	;;#ASMSTART
	s_wakeup
	;;#ASMEND
                                        ; implicit-def: $vgpr8_vgpr9
	v_cmpx_ne_u32_e32 0, v3
	s_cbranch_execz .LBB4_8562
; %bb.8559:                             ;   in Loop: Header=BB4_4329 Depth=1
	v_mad_nc_u64_u32 v[12:13], v52, 24, v[6:7]
	s_mov_b32 s13, exec_lo
                                        ; implicit-def: $vgpr8_vgpr9
	flat_load_b32 v3, v[12:13]
	s_wait_loadcnt_dscnt 0x0
	v_cmp_ne_u32_e32 vcc_lo, 1, v3
	s_wait_xcnt 0x0
	v_cmpx_eq_u32_e32 1, v3
	s_cbranch_execz .LBB4_8561
; %bb.8560:                             ;   in Loop: Header=BB4_4329 Depth=1
	flat_load_b32 v8, v[12:13] offset:4 scope:SCOPE_SYS
	s_wait_loadcnt_dscnt 0x0
	v_ashrrev_i32_e32 v9, 31, v8
.LBB4_8561:                             ;   in Loop: Header=BB4_4329 Depth=1
	s_wait_xcnt 0x0
	s_or_b32 exec_lo, exec_lo, s13
	s_delay_alu instid0(SALU_CYCLE_1)
	s_or_not1_b32 s7, vcc_lo, exec_lo
.LBB4_8562:                             ;   in Loop: Header=BB4_4329 Depth=1
	s_or_b32 exec_lo, exec_lo, s12
	s_and_saveexec_b32 s12, s7
; %bb.8563:                             ;   in Loop: Header=BB4_4329 Depth=1
	v_mul_u64_e32 v[8:9], v[52:53], v[34:35]
; %bb.8564:                             ;   in Loop: Header=BB4_4329 Depth=1
	s_or_b32 exec_lo, exec_lo, s12
	s_delay_alu instid0(VALU_DEP_1)
	v_add_nc_u64_e32 v[8:9], v[36:37], v[8:9]
	v_and_b32_e32 v3, 0x2000, v120
	s_mov_b32 s7, exec_lo
	ds_store_b64 v0, v[8:9] offset:728
	v_cmpx_ne_u32_e32 0, v3
	s_cbranch_execz .LBB4_8566
; %bb.8565:                             ;   in Loop: Header=BB4_4329 Depth=1
	ds_load_b64 v[8:9], v0 offset:872
	s_wait_dscnt 0x0
	v_add_nc_u64_e32 v[8:9], 1, v[8:9]
	ds_store_b64 v0, v[8:9] offset:872
.LBB4_8566:                             ;   in Loop: Header=BB4_4329 Depth=1
	s_or_b32 exec_lo, exec_lo, s7
	v_mov_b64_e32 v[8:9], v[10:11]
.LBB4_8567:                             ;   in Loop: Header=BB4_4329 Depth=1
	s_or_b32 exec_lo, exec_lo, s11
	s_and_saveexec_b32 s7, s2
	s_cbranch_execz .LBB4_8586
; %bb.8568:                             ;   in Loop: Header=BB4_4329 Depth=1
	s_and_saveexec_b32 s11, s3
	s_delay_alu instid0(SALU_CYCLE_1)
	s_xor_b32 s11, exec_lo, s11
	s_cbranch_execz .LBB4_8583
; %bb.8569:                             ;   in Loop: Header=BB4_4329 Depth=1
	s_and_saveexec_b32 s12, s4
	s_cbranch_execz .LBB4_8582
; %bb.8570:                             ;   in Loop: Header=BB4_4329 Depth=1
	s_mov_b32 s14, exec_lo
	s_mov_b32 s13, exec_lo
	v_mbcnt_lo_u32_b32 v3, s14, 0
	global_wb scope:SCOPE_DEV
	s_wait_storecnt 0x0
	s_wait_loadcnt_dscnt 0x0
	global_inv scope:SCOPE_DEV
	v_cmpx_eq_u32_e32 0, v3
	s_cbranch_execz .LBB4_8572
; %bb.8571:                             ;   in Loop: Header=BB4_4329 Depth=1
	s_bcnt1_i32_b32 s14, s14
	s_delay_alu instid0(SALU_CYCLE_1)
	v_mov_b32_e32 v52, s14
	s_wait_loadcnt 0x0
	ds_add_u64 v0, v[52:53]
	s_trap 2
.LBB4_8572:                             ;   in Loop: Header=BB4_4329 Depth=1
	s_or_b32 exec_lo, exec_lo, s13
	s_trap 2
	ds_load_b64 v[10:11], v0
	s_wait_dscnt 0x0
	v_add_nc_u64_e32 v[38:39], v[38:39], v[54:55]
	s_mov_b32 s13, exec_lo
	s_delay_alu instid0(VALU_DEP_1)
	v_cmpx_lt_u64_e64 v[10:11], v[38:39]
	s_cbranch_execz .LBB4_8581
; %bb.8573:                             ;   in Loop: Header=BB4_4329 Depth=1
	s_mov_b32 s14, 0
	s_mov_b32 s40, 0
                                        ; implicit-def: $sgpr28
                                        ; implicit-def: $sgpr29
	s_branch .LBB4_8575
.LBB4_8574:                             ;   in Loop: Header=BB4_8575 Depth=2
	s_or_b32 exec_lo, exec_lo, s42
	s_delay_alu instid0(SALU_CYCLE_1) | instskip(NEXT) | instid1(SALU_CYCLE_1)
	s_and_b32 s41, exec_lo, s43
	s_or_b32 s14, s41, s14
	s_and_not1_b32 s28, s28, exec_lo
	s_and_b32 s41, s29, exec_lo
	s_delay_alu instid0(SALU_CYCLE_1)
	s_or_b32 s28, s28, s41
	s_and_not1_b32 exec_lo, exec_lo, s14
	s_cbranch_execz .LBB4_8579
.LBB4_8575:                             ;   Parent Loop BB4_4329 Depth=1
                                        ; =>  This Inner Loop Header: Depth=2
	s_add_co_i32 s40, s40, 1
	s_delay_alu instid0(SALU_CYCLE_1) | instskip(SKIP_1) | instid1(SALU_CYCLE_1)
	s_cmp_lg_u32 s40, 0x2710
	s_cselect_b32 s41, -1, 0
	s_and_b32 vcc_lo, exec_lo, s41
	s_cbranch_vccz .LBB4_8577
; %bb.8576:                             ;   in Loop: Header=BB4_8575 Depth=2
	s_mov_b32 s43, -1
	s_or_b32 s29, s29, exec_lo
	s_and_saveexec_b32 s42, s41
	s_cbranch_execz .LBB4_8574
	s_branch .LBB4_8578
.LBB4_8577:                             ;   in Loop: Header=BB4_8575 Depth=2
	s_trap 2
	ds_load_b64 v[10:11], v0
	s_and_not1_b32 s41, s41, exec_lo
	s_mov_b32 s40, 0
	s_wait_loadcnt_dscnt 0x0
	flat_load_b32 v3, v[10:11] scope:SCOPE_SYS
	s_wait_loadcnt_dscnt 0x0
	global_inv scope:SCOPE_SYS
	v_cmp_eq_u32_e32 vcc_lo, 0, v3
	s_and_b32 s42, vcc_lo, exec_lo
	s_delay_alu instid0(SALU_CYCLE_1)
	s_or_b32 s41, s41, s42
	s_mov_b32 s43, -1
	s_or_b32 s29, s29, exec_lo
	s_and_saveexec_b32 s42, s41
	s_cbranch_execz .LBB4_8574
.LBB4_8578:                             ;   in Loop: Header=BB4_8575 Depth=2
	s_sleep 1
	s_trap 2
	ds_load_b64 v[10:11], v0
	s_wait_dscnt 0x0
	s_and_not1_b32 s29, s29, exec_lo
	v_cmp_ge_u64_e32 vcc_lo, v[10:11], v[38:39]
	s_or_not1_b32 s43, vcc_lo, exec_lo
	s_branch .LBB4_8574
.LBB4_8579:                             ;   in Loop: Header=BB4_4329 Depth=1
	s_or_b32 exec_lo, exec_lo, s14
	s_and_saveexec_b32 s14, s28
	s_delay_alu instid0(SALU_CYCLE_1)
	s_xor_b32 s14, exec_lo, s14
	s_cbranch_execz .LBB4_8581
; %bb.8580:                             ;   in Loop: Header=BB4_4329 Depth=1
	ds_store_b32 v0, v108
	s_trap 2
.LBB4_8581:                             ;   in Loop: Header=BB4_4329 Depth=1
	s_or_b32 exec_lo, exec_lo, s13
	;;#ASMSTART
	s_wakeup
	;;#ASMEND
.LBB4_8582:                             ;   in Loop: Header=BB4_4329 Depth=1
	s_or_b32 exec_lo, exec_lo, s12
.LBB4_8583:                             ;   in Loop: Header=BB4_4329 Depth=1
	s_and_not1_saveexec_b32 s11, s11
	s_cbranch_execz .LBB4_8585
; %bb.8584:                             ;   in Loop: Header=BB4_4329 Depth=1
	global_wb scope:SCOPE_DEV
	s_wait_storecnt 0x0
	s_wait_loadcnt_dscnt 0x0
	global_inv scope:SCOPE_DEV
	s_barrier_signal -1
	s_barrier_wait -1
.LBB4_8585:                             ;   in Loop: Header=BB4_4329 Depth=1
	s_or_b32 exec_lo, exec_lo, s11
.LBB4_8586:                             ;   in Loop: Header=BB4_4329 Depth=1
	s_delay_alu instid0(SALU_CYCLE_1) | instskip(SKIP_3) | instid1(VALU_DEP_1)
	s_or_b32 exec_lo, exec_lo, s7
	s_trap 2
	ds_load_b32 v3, v0
	v_sub_nc_u32_e32 v0, v82, v0
	v_min_i32_e32 v0, v83, v0
	s_delay_alu instid0(VALU_DEP_1) | instskip(SKIP_4) | instid1(VALU_DEP_1)
	v_cmp_lt_i32_e32 vcc_lo, 0, v0
	s_wait_dscnt 0x0
	v_readfirstlane_b32 s7, v3
	v_and_b32_e32 v3, 16, v120
	s_cmp_eq_u32 s7, 0
	v_cmp_ne_u32_e64 s7, 0, v3
	s_cselect_b32 s11, -1, 0
	s_delay_alu instid0(SALU_CYCLE_1) | instskip(NEXT) | instid1(SALU_CYCLE_1)
	s_and_b32 s11, vcc_lo, s11
	s_and_b32 s11, s7, s11
	s_delay_alu instid0(SALU_CYCLE_1)
	s_and_saveexec_b32 s7, s11
	s_cbranch_execz .LBB4_8588
; %bb.8587:                             ;   in Loop: Header=BB4_4329 Depth=1
	global_wb scope:SCOPE_SYS
	s_wait_loadcnt 0x0
	s_wait_storecnt 0x0
	global_inv scope:SCOPE_SYS
.LBB4_8588:                             ;   in Loop: Header=BB4_4329 Depth=1
	s_or_b32 exec_lo, exec_lo, s7
	v_and_b32_e32 v0, 32, v120
	s_mov_b32 s7, exec_lo
	s_delay_alu instid0(VALU_DEP_1)
	v_cmpx_ne_u32_e32 0, v0
	s_cbranch_execz .LBB4_4327
; %bb.8589:                             ;   in Loop: Header=BB4_4329 Depth=1
	v_add_nc_u64_e32 v[8:9], 1, v[8:9]
	global_wb scope:SCOPE_SYS
	s_wait_loadcnt 0x0
	s_wait_storecnt 0x0
	flat_store_b64 v[32:33], v[8:9] scope:SCOPE_SYS
	s_branch .LBB4_4327
.LBB4_8590:
	s_or_b32 exec_lo, exec_lo, s25
.LBB4_8591:
	s_delay_alu instid0(SALU_CYCLE_1)
	s_or_b32 exec_lo, exec_lo, s23
.LBB4_8592:
	s_delay_alu instid0(SALU_CYCLE_1)
	s_or_b32 exec_lo, exec_lo, s15
                                        ; implicit-def: $vgpr26_vgpr27
                                        ; implicit-def: $vgpr4_vgpr5
                                        ; implicit-def: $vgpr52_vgpr53
                                        ; implicit-def: $vgpr34
                                        ; implicit-def: $vgpr48_vgpr49
                                        ; implicit-def: $vgpr36_vgpr37
                                        ; implicit-def: $vgpr32_vgpr33
                                        ; implicit-def: $vgpr121
                                        ; implicit-def: $vgpr15
                                        ; implicit-def: $vgpr50_vgpr51
.LBB4_8593:
	s_and_not1_saveexec_b32 s11, s22
	s_cbranch_execz .LBB4_8765
; %bb.8594:
	v_mov_b64_e32 v[38:39], 0
	s_mov_b32 s12, exec_lo
	v_cmpx_ne_u64_e32 0, v[4:5]
	s_cbranch_execz .LBB4_8764
; %bb.8595:
	v_dual_ashrrev_i32 v35, 31, v34 :: v_dual_bitop2_b32 v3, 31, v31 bitop3:0x40
	v_dual_mov_b32 v11, 0 :: v_dual_bitop2_b32 v0, 31, v121 bitop3:0x40
	v_lshrrev_b32_e32 v12, 5, v1
	s_ashr_i32 s2, s21, 31
	s_delay_alu instid0(VALU_DEP_3) | instskip(NEXT) | instid1(VALU_DEP_3)
	v_cmp_eq_u32_e64 s4, 0, v3
	v_dual_lshrrev_b32 v3, 5, v121 :: v_dual_lshlrev_b32 v30, 4, v0
	s_lshr_b32 s2, s2, 24
	v_cmp_eq_u32_e32 vcc_lo, 32, v1
	v_mov_b64_e32 v[20:21], 0
	v_cmp_ne_u64_e64 s7, 0, v[52:53]
	v_mov_b64_e32 v[24:25], 0
	v_mov_b64_e32 v[38:39], 0
	v_cmp_ge_u32_e64 s1, v121, v1
	s_add_co_i32 s21, s21, s2
	v_cmp_ne_u32_e64 s2, 32, v1
	v_cmp_ne_u32_e64 s3, v1, v2
	v_mov_b32_e32 v13, v11
	v_cmp_eq_u32_e64 s5, 0, v0
	v_cmp_lt_u32_e64 s6, v0, v15
	v_dual_mov_b32 v15, v11 :: v_dual_lshlrev_b32 v14, 11, v12
	v_dual_mov_b32 v17, v11 :: v_dual_lshlrev_b32 v16, 9, v12
	v_and_b32_e32 v18, 0x1fe0, v1
	v_dual_mov_b32 v19, v11 :: v_dual_mov_b32 v23, v11
	v_lshl_or_b32 v22, v3, 11, v30
	v_mov_b32_e32 v82, 1
	s_ashr_i32 s14, s21, 8
	s_mov_b32 s13, 0
	s_xor_b32 s15, vcc_lo, -1
	s_trap 2
	s_branch .LBB4_8599
.LBB4_8596:                             ;   in Loop: Header=BB4_8599 Depth=1
	s_wait_xcnt 0x0
	s_or_b32 exec_lo, exec_lo, s16
	v_add_nc_u64_e32 v[8:9], 1, v[8:9]
	global_wb scope:SCOPE_SYS
	s_wait_storecnt 0x0
	s_wait_loadcnt_dscnt 0x0
	flat_store_b64 v[32:33], v[8:9] scope:SCOPE_SYS
.LBB4_8597:                             ;   in Loop: Header=BB4_8599 Depth=1
	s_wait_xcnt 0x0
	s_or_b32 exec_lo, exec_lo, s10
.LBB4_8598:                             ;   in Loop: Header=BB4_8599 Depth=1
	s_delay_alu instid0(SALU_CYCLE_1) | instskip(SKIP_1) | instid1(VALU_DEP_1)
	s_or_b32 exec_lo, exec_lo, s17
	v_add_nc_u64_e32 v[24:25], v[24:25], v[50:51]
	v_cmp_ge_u64_e32 vcc_lo, v[24:25], v[4:5]
	s_or_b32 s13, vcc_lo, s13
	s_delay_alu instid0(SALU_CYCLE_1)
	s_and_not1_b32 exec_lo, exec_lo, s13
	s_cbranch_execz .LBB4_8763
.LBB4_8599:                             ; =>This Loop Header: Depth=1
                                        ;     Child Loop BB4_8608 Depth 2
                                        ;     Child Loop BB4_8632 Depth 2
	;; [unrolled: 1-line block ×10, first 2 shown]
	v_sub_nc_u64_e32 v[54:55], v[4:5], v[24:25]
	s_delay_alu instid0(VALU_DEP_1) | instskip(NEXT) | instid1(VALU_DEP_1)
	v_min_u64 v[54:55], v[50:51], v[54:55]
	v_add_nc_u32_e32 v10, 15, v54
	s_delay_alu instid0(VALU_DEP_2) | instskip(NEXT) | instid1(VALU_DEP_2)
	v_cmp_eq_u64_e32 vcc_lo, 0, v[54:55]
	v_and_b32_e32 v10, 0x7ffffff0, v10
	s_or_b32 s16, s1, vcc_lo
	s_delay_alu instid0(SALU_CYCLE_1) | instskip(NEXT) | instid1(VALU_DEP_1)
	s_xor_b32 s10, s16, -1
	v_dual_mov_b32 v10, 0 :: v_dual_max_i32 v64, s14, v10
	s_and_saveexec_b32 s17, s10
	s_cbranch_execz .LBB4_8716
; %bb.8600:                             ;   in Loop: Header=BB4_8599 Depth=1
	s_and_saveexec_b32 s10, s0
	s_cbranch_execz .LBB4_8602
; %bb.8601:                             ;   in Loop: Header=BB4_8599 Depth=1
	s_trap 2
	ds_load_b64 v[66:67], v0
	s_wait_dscnt 0x0
	v_add_nc_u64_e32 v[66:67], v[66:67], v[26:27]
	s_delay_alu instid0(VALU_DEP_1)
	v_add_nc_u64_e32 v[66:67], v[66:67], v[24:25]
	ds_store_b64 v0, v[66:67]
	ds_store_b64 v0, v[20:21]
.LBB4_8602:                             ;   in Loop: Header=BB4_8599 Depth=1
	s_or_b32 exec_lo, exec_lo, s10
	v_and_b32_e32 v10, 8, v120
	v_min_u32_e32 v64, v64, v54
	s_mov_b32 s18, exec_lo
	s_delay_alu instid0(VALU_DEP_2)
	v_cmpx_ne_u32_e32 0, v10
	s_cbranch_execz .LBB4_8624
; %bb.8603:                             ;   in Loop: Header=BB4_8599 Depth=1
	s_wait_loadcnt 0x0
	v_add_nc_u64_e32 v[68:69], 8, v[48:49]
	v_add_nc_u64_e32 v[66:67], 1, v[8:9]
	s_mov_b32 s19, exec_lo
	s_delay_alu instid0(VALU_DEP_1)
	v_cmpx_lt_u64_e64 v[68:69], v[66:67]
	s_cbranch_execz .LBB4_8615
; %bb.8604:                             ;   in Loop: Header=BB4_8599 Depth=1
	v_and_b32_e32 v9, 64, v120
	s_mov_b32 s21, 0
	s_mov_b32 s25, 0
                                        ; implicit-def: $sgpr22
                                        ; implicit-def: $sgpr23
                                        ; implicit-def: $sgpr24
	s_delay_alu instid0(VALU_DEP_1)
	v_cmp_eq_u32_e32 vcc_lo, 0, v9
	s_branch .LBB4_8608
.LBB4_8605:                             ;   in Loop: Header=BB4_8608 Depth=2
	s_wait_loadcnt_dscnt 0x0
	v_add_nc_u64_e32 v[68:69], 8, v[48:49]
	s_or_b32 s28, s28, exec_lo
	s_delay_alu instid0(VALU_DEP_1)
	v_cmp_ge_u64_e64 s10, v[68:69], v[66:67]
	s_or_not1_b32 s27, s10, exec_lo
.LBB4_8606:                             ;   in Loop: Header=BB4_8608 Depth=2
	s_or_b32 exec_lo, exec_lo, s40
	s_delay_alu instid0(SALU_CYCLE_1)
	s_and_not1_b32 s10, s24, exec_lo
	s_and_b32 s24, s28, exec_lo
	s_and_not1_b32 s23, s23, exec_lo
	s_and_b32 s27, s27, exec_lo
	s_or_b32 s24, s10, s24
	s_or_b32 s23, s23, s27
.LBB4_8607:                             ;   in Loop: Header=BB4_8608 Depth=2
	s_or_b32 exec_lo, exec_lo, s26
	s_delay_alu instid0(SALU_CYCLE_1) | instskip(NEXT) | instid1(SALU_CYCLE_1)
	s_and_b32 s10, exec_lo, s23
	s_or_b32 s21, s10, s21
	s_and_not1_b32 s10, s22, exec_lo
	s_and_b32 s22, s24, exec_lo
	s_delay_alu instid0(SALU_CYCLE_1)
	s_or_b32 s22, s10, s22
	s_and_not1_b32 exec_lo, exec_lo, s21
	s_cbranch_execz .LBB4_8612
.LBB4_8608:                             ;   Parent Loop BB4_8599 Depth=1
                                        ; =>  This Inner Loop Header: Depth=2
	s_sleep 1
	s_wait_loadcnt_dscnt 0x0
	flat_load_b64 v[48:49], v[32:33] scope:SCOPE_SYS
	s_or_b32 s24, s24, exec_lo
	s_or_b32 s23, s23, exec_lo
                                        ; implicit-def: $vgpr9
	s_wait_xcnt 0x0
	s_and_saveexec_b32 s26, vcc_lo
	s_cbranch_execz .LBB4_8607
; %bb.8609:                             ;   in Loop: Header=BB4_8608 Depth=2
	s_cmp_lt_i32 s25, 0x270f
	s_mov_b32 s27, -1
	s_cselect_b32 s29, -1, 0
	s_cmp_gt_i32 s25, 0x270e
	s_cbranch_scc0 .LBB4_8611
; %bb.8610:                             ;   in Loop: Header=BB4_8608 Depth=2
	s_trap 2
	ds_load_b64 v[68:69], v0
	s_and_not1_b32 s25, s29, exec_lo
	s_mov_b32 s28, 0
	s_wait_storecnt 0x0
	s_wait_loadcnt_dscnt 0x0
	flat_load_b32 v9, v[68:69] scope:SCOPE_SYS
	s_wait_loadcnt_dscnt 0x0
	global_inv scope:SCOPE_SYS
	v_cmp_eq_u32_e64 s10, 0, v9
	s_and_b32 s10, s10, exec_lo
	s_delay_alu instid0(SALU_CYCLE_1)
	s_or_b32 s29, s25, s10
	s_mov_b32 s25, 0
	s_and_saveexec_b32 s40, s29
	s_cbranch_execz .LBB4_8606
	s_branch .LBB4_8605
.LBB4_8611:                             ;   in Loop: Header=BB4_8608 Depth=2
	s_add_co_i32 s25, s25, 1
	s_mov_b32 s28, -1
                                        ; implicit-def: $vgpr9
	s_and_saveexec_b32 s40, s29
	s_cbranch_execz .LBB4_8606
	s_branch .LBB4_8605
.LBB4_8612:                             ;   in Loop: Header=BB4_8599 Depth=1
	s_or_b32 exec_lo, exec_lo, s21
	s_xor_b32 s10, s22, -1
	s_delay_alu instid0(SALU_CYCLE_1) | instskip(NEXT) | instid1(SALU_CYCLE_1)
	s_and_saveexec_b32 s21, s10
	s_xor_b32 s10, exec_lo, s21
	s_cbranch_execz .LBB4_8614
; %bb.8613:                             ;   in Loop: Header=BB4_8599 Depth=1
	v_or_b32_e32 v120, 64, v120
	s_wait_storecnt 0x0
	s_wait_loadcnt_dscnt 0x0
	ds_store_b32 v0, v9
	s_trap 2
.LBB4_8614:                             ;   in Loop: Header=BB4_8599 Depth=1
	s_or_b32 exec_lo, exec_lo, s10
.LBB4_8615:                             ;   in Loop: Header=BB4_8599 Depth=1
	s_delay_alu instid0(SALU_CYCLE_1) | instskip(SKIP_4) | instid1(VALU_DEP_2)
	s_or_b32 exec_lo, exec_lo, s19
	v_and_b32_e32 v9, 0x100, v120
	v_and_b32_e32 v10, 7, v8
	s_mov_b32 s10, -1
	;;#ASMSTART
	s_wakeup
	;;#ASMEND
	v_cmp_ne_u32_e32 vcc_lo, 0, v9
                                        ; implicit-def: $vgpr8_vgpr9
	s_and_saveexec_b32 s19, vcc_lo
	s_cbranch_execz .LBB4_8619
; %bb.8616:                             ;   in Loop: Header=BB4_8599 Depth=1
	v_mad_nc_u64_u32 v[68:69], v10, 24, v[6:7]
	v_mov_b32_e32 v65, v11
	s_clause 0x1
	flat_load_b32 v8, v[68:69]
	flat_store_b64 v[68:69], v[64:65] offset:8
	s_wait_loadcnt_dscnt 0x1
	v_cmp_eq_u32_e64 s10, 1, v8
	v_cmp_ne_u32_e32 vcc_lo, 1, v8
                                        ; implicit-def: $vgpr8_vgpr9
	s_wait_xcnt 0x0
	s_and_saveexec_b32 s21, s10
	s_cbranch_execz .LBB4_8618
; %bb.8617:                             ;   in Loop: Header=BB4_8599 Depth=1
	flat_load_b32 v8, v[68:69] offset:4 scope:SCOPE_SYS
	s_wait_loadcnt_dscnt 0x0
	v_ashrrev_i32_e32 v9, 31, v8
.LBB4_8618:                             ;   in Loop: Header=BB4_8599 Depth=1
	s_wait_xcnt 0x0
	s_or_b32 exec_lo, exec_lo, s21
	s_delay_alu instid0(SALU_CYCLE_1)
	s_or_not1_b32 s10, vcc_lo, exec_lo
.LBB4_8619:                             ;   in Loop: Header=BB4_8599 Depth=1
	s_or_b32 exec_lo, exec_lo, s19
	s_and_saveexec_b32 s19, s10
; %bb.8620:                             ;   in Loop: Header=BB4_8599 Depth=1
	v_mul_u64_e32 v[8:9], v[10:11], v[34:35]
; %bb.8621:                             ;   in Loop: Header=BB4_8599 Depth=1
	s_or_b32 exec_lo, exec_lo, s19
	s_delay_alu instid0(VALU_DEP_1)
	v_add_nc_u64_e32 v[8:9], v[36:37], v[8:9]
	v_and_b32_e32 v10, 0x2000, v120
	s_mov_b32 s10, exec_lo
	ds_store_b64 v0, v[8:9] offset:784
	v_cmpx_ne_u32_e32 0, v10
	s_cbranch_execz .LBB4_8623
; %bb.8622:                             ;   in Loop: Header=BB4_8599 Depth=1
	ds_load_b64 v[8:9], v0 offset:872
	s_wait_dscnt 0x0
	v_add_nc_u64_e32 v[8:9], 1, v[8:9]
	ds_store_b64 v0, v[8:9] offset:872
.LBB4_8623:                             ;   in Loop: Header=BB4_8599 Depth=1
	s_or_b32 exec_lo, exec_lo, s10
	v_mov_b64_e32 v[8:9], v[66:67]
.LBB4_8624:                             ;   in Loop: Header=BB4_8599 Depth=1
	s_or_b32 exec_lo, exec_lo, s18
	s_and_saveexec_b32 s10, s2
	s_cbranch_execz .LBB4_8643
; %bb.8625:                             ;   in Loop: Header=BB4_8599 Depth=1
	s_and_saveexec_b32 s18, s3
	s_delay_alu instid0(SALU_CYCLE_1)
	s_xor_b32 s18, exec_lo, s18
	s_cbranch_execz .LBB4_8640
; %bb.8626:                             ;   in Loop: Header=BB4_8599 Depth=1
	s_and_saveexec_b32 s19, s4
	s_cbranch_execz .LBB4_8639
; %bb.8627:                             ;   in Loop: Header=BB4_8599 Depth=1
	s_mov_b32 s22, exec_lo
	s_mov_b32 s21, exec_lo
	v_mbcnt_lo_u32_b32 v10, s22, 0
	global_wb scope:SCOPE_DEV
	s_wait_storecnt 0x0
	s_wait_loadcnt_dscnt 0x0
	global_inv scope:SCOPE_DEV
	v_cmpx_eq_u32_e32 0, v10
	s_cbranch_execz .LBB4_8629
; %bb.8628:                             ;   in Loop: Header=BB4_8599 Depth=1
	s_bcnt1_i32_b32 s22, s22
	s_delay_alu instid0(SALU_CYCLE_1)
	v_mov_b32_e32 v10, s22
	s_wait_loadcnt 0x0
	ds_add_u64 v0, v[10:11]
	s_trap 2
.LBB4_8629:                             ;   in Loop: Header=BB4_8599 Depth=1
	s_or_b32 exec_lo, exec_lo, s21
	s_trap 2
	ds_load_b64 v[66:67], v0
	s_wait_dscnt 0x0
	v_add_nc_u64_e32 v[38:39], v[38:39], v[12:13]
	s_mov_b32 s21, exec_lo
	s_delay_alu instid0(VALU_DEP_1)
	v_cmpx_lt_u64_e64 v[66:67], v[38:39]
	s_cbranch_execz .LBB4_8638
; %bb.8630:                             ;   in Loop: Header=BB4_8599 Depth=1
	s_mov_b32 s22, 0
	s_mov_b32 s25, 0
                                        ; implicit-def: $sgpr23
                                        ; implicit-def: $sgpr24
	s_branch .LBB4_8632
.LBB4_8631:                             ;   in Loop: Header=BB4_8632 Depth=2
	s_or_b32 exec_lo, exec_lo, s27
	s_delay_alu instid0(SALU_CYCLE_1) | instskip(NEXT) | instid1(SALU_CYCLE_1)
	s_and_b32 s26, exec_lo, s28
	s_or_b32 s22, s26, s22
	s_and_not1_b32 s23, s23, exec_lo
	s_and_b32 s26, s24, exec_lo
	s_delay_alu instid0(SALU_CYCLE_1)
	s_or_b32 s23, s23, s26
	s_and_not1_b32 exec_lo, exec_lo, s22
	s_cbranch_execz .LBB4_8636
.LBB4_8632:                             ;   Parent Loop BB4_8599 Depth=1
                                        ; =>  This Inner Loop Header: Depth=2
	s_add_co_i32 s25, s25, 1
	s_delay_alu instid0(SALU_CYCLE_1) | instskip(SKIP_1) | instid1(SALU_CYCLE_1)
	s_cmp_lg_u32 s25, 0x2710
	s_cselect_b32 s26, -1, 0
	s_and_b32 vcc_lo, exec_lo, s26
	s_cbranch_vccz .LBB4_8634
; %bb.8633:                             ;   in Loop: Header=BB4_8632 Depth=2
	s_mov_b32 s28, -1
	s_or_b32 s24, s24, exec_lo
	s_and_saveexec_b32 s27, s26
	s_cbranch_execz .LBB4_8631
	s_branch .LBB4_8635
.LBB4_8634:                             ;   in Loop: Header=BB4_8632 Depth=2
	s_trap 2
	ds_load_b64 v[66:67], v0
	s_and_not1_b32 s26, s26, exec_lo
	s_mov_b32 s25, 0
	s_wait_loadcnt_dscnt 0x0
	flat_load_b32 v10, v[66:67] scope:SCOPE_SYS
	s_wait_loadcnt_dscnt 0x0
	global_inv scope:SCOPE_SYS
	v_cmp_eq_u32_e32 vcc_lo, 0, v10
	s_and_b32 s27, vcc_lo, exec_lo
	s_delay_alu instid0(SALU_CYCLE_1)
	s_or_b32 s26, s26, s27
	s_mov_b32 s28, -1
	s_or_b32 s24, s24, exec_lo
	s_and_saveexec_b32 s27, s26
	s_cbranch_execz .LBB4_8631
.LBB4_8635:                             ;   in Loop: Header=BB4_8632 Depth=2
	s_sleep 1
	s_trap 2
	ds_load_b64 v[66:67], v0
	s_wait_dscnt 0x0
	s_and_not1_b32 s24, s24, exec_lo
	v_cmp_ge_u64_e32 vcc_lo, v[66:67], v[38:39]
	s_or_not1_b32 s28, vcc_lo, exec_lo
	s_branch .LBB4_8631
.LBB4_8636:                             ;   in Loop: Header=BB4_8599 Depth=1
	s_or_b32 exec_lo, exec_lo, s22
	s_and_saveexec_b32 s22, s23
	s_delay_alu instid0(SALU_CYCLE_1)
	s_xor_b32 s22, exec_lo, s22
	s_cbranch_execz .LBB4_8638
; %bb.8637:                             ;   in Loop: Header=BB4_8599 Depth=1
	ds_store_b32 v0, v82
	s_trap 2
.LBB4_8638:                             ;   in Loop: Header=BB4_8599 Depth=1
	s_or_b32 exec_lo, exec_lo, s21
	;;#ASMSTART
	s_wakeup
	;;#ASMEND
.LBB4_8639:                             ;   in Loop: Header=BB4_8599 Depth=1
	s_or_b32 exec_lo, exec_lo, s19
.LBB4_8640:                             ;   in Loop: Header=BB4_8599 Depth=1
	s_and_not1_saveexec_b32 s18, s18
	s_cbranch_execz .LBB4_8642
; %bb.8641:                             ;   in Loop: Header=BB4_8599 Depth=1
	global_wb scope:SCOPE_DEV
	s_wait_storecnt 0x0
	s_wait_loadcnt_dscnt 0x0
	global_inv scope:SCOPE_DEV
	s_barrier_signal -1
	s_barrier_wait -1
.LBB4_8642:                             ;   in Loop: Header=BB4_8599 Depth=1
	s_or_b32 exec_lo, exec_lo, s18
.LBB4_8643:                             ;   in Loop: Header=BB4_8599 Depth=1
	s_delay_alu instid0(SALU_CYCLE_1) | instskip(SKIP_3) | instid1(VALU_DEP_1)
	s_or_b32 exec_lo, exec_lo, s10
	s_trap 2
	ds_load_b32 v55, v0
	v_and_b32_e32 v10, 0x4000, v120
	v_cmp_ne_u32_e32 vcc_lo, 0, v10
	s_and_b32 s18, s15, vcc_lo
	s_delay_alu instid0(SALU_CYCLE_1)
	s_and_saveexec_b32 s10, s18
	s_cbranch_execz .LBB4_8662
; %bb.8644:                             ;   in Loop: Header=BB4_8599 Depth=1
	s_and_saveexec_b32 s18, s3
	s_delay_alu instid0(SALU_CYCLE_1)
	s_xor_b32 s18, exec_lo, s18
	s_cbranch_execz .LBB4_8659
; %bb.8645:                             ;   in Loop: Header=BB4_8599 Depth=1
	s_and_saveexec_b32 s19, s4
	s_cbranch_execz .LBB4_8658
; %bb.8646:                             ;   in Loop: Header=BB4_8599 Depth=1
	s_mov_b32 s22, exec_lo
	s_mov_b32 s21, exec_lo
	v_mbcnt_lo_u32_b32 v10, s22, 0
	global_wb scope:SCOPE_DEV
	s_wait_storecnt 0x0
	s_wait_loadcnt_dscnt 0x0
	global_inv scope:SCOPE_DEV
	v_cmpx_eq_u32_e32 0, v10
	s_cbranch_execz .LBB4_8648
; %bb.8647:                             ;   in Loop: Header=BB4_8599 Depth=1
	s_bcnt1_i32_b32 s22, s22
	s_delay_alu instid0(SALU_CYCLE_1)
	v_mov_b32_e32 v10, s22
	s_wait_loadcnt 0x0
	ds_add_u64 v0, v[10:11]
	s_trap 2
.LBB4_8648:                             ;   in Loop: Header=BB4_8599 Depth=1
	s_or_b32 exec_lo, exec_lo, s21
	s_trap 2
	ds_load_b64 v[66:67], v0
	s_wait_dscnt 0x0
	v_add_nc_u64_e32 v[38:39], v[38:39], v[12:13]
	s_mov_b32 s21, exec_lo
	s_delay_alu instid0(VALU_DEP_1)
	v_cmpx_lt_u64_e64 v[66:67], v[38:39]
	s_cbranch_execz .LBB4_8657
; %bb.8649:                             ;   in Loop: Header=BB4_8599 Depth=1
	s_mov_b32 s22, 0
	s_mov_b32 s25, 0
                                        ; implicit-def: $sgpr23
                                        ; implicit-def: $sgpr24
	s_branch .LBB4_8651
.LBB4_8650:                             ;   in Loop: Header=BB4_8651 Depth=2
	s_or_b32 exec_lo, exec_lo, s27
	s_delay_alu instid0(SALU_CYCLE_1) | instskip(NEXT) | instid1(SALU_CYCLE_1)
	s_and_b32 s26, exec_lo, s28
	s_or_b32 s22, s26, s22
	s_and_not1_b32 s23, s23, exec_lo
	s_and_b32 s26, s24, exec_lo
	s_delay_alu instid0(SALU_CYCLE_1)
	s_or_b32 s23, s23, s26
	s_and_not1_b32 exec_lo, exec_lo, s22
	s_cbranch_execz .LBB4_8655
.LBB4_8651:                             ;   Parent Loop BB4_8599 Depth=1
                                        ; =>  This Inner Loop Header: Depth=2
	s_add_co_i32 s25, s25, 1
	s_delay_alu instid0(SALU_CYCLE_1) | instskip(SKIP_1) | instid1(SALU_CYCLE_1)
	s_cmp_lg_u32 s25, 0x2710
	s_cselect_b32 s26, -1, 0
	s_and_b32 vcc_lo, exec_lo, s26
	s_cbranch_vccz .LBB4_8653
; %bb.8652:                             ;   in Loop: Header=BB4_8651 Depth=2
	s_mov_b32 s28, -1
	s_or_b32 s24, s24, exec_lo
	s_and_saveexec_b32 s27, s26
	s_cbranch_execz .LBB4_8650
	s_branch .LBB4_8654
.LBB4_8653:                             ;   in Loop: Header=BB4_8651 Depth=2
	s_trap 2
	ds_load_b64 v[66:67], v0
	s_and_not1_b32 s26, s26, exec_lo
	s_mov_b32 s25, 0
	s_wait_loadcnt_dscnt 0x0
	flat_load_b32 v10, v[66:67] scope:SCOPE_SYS
	s_wait_loadcnt_dscnt 0x0
	global_inv scope:SCOPE_SYS
	v_cmp_eq_u32_e32 vcc_lo, 0, v10
	s_and_b32 s27, vcc_lo, exec_lo
	s_delay_alu instid0(SALU_CYCLE_1)
	s_or_b32 s26, s26, s27
	s_mov_b32 s28, -1
	s_or_b32 s24, s24, exec_lo
	s_and_saveexec_b32 s27, s26
	s_cbranch_execz .LBB4_8650
.LBB4_8654:                             ;   in Loop: Header=BB4_8651 Depth=2
	s_sleep 1
	s_trap 2
	ds_load_b64 v[66:67], v0
	s_wait_dscnt 0x0
	s_and_not1_b32 s24, s24, exec_lo
	v_cmp_ge_u64_e32 vcc_lo, v[66:67], v[38:39]
	s_or_not1_b32 s28, vcc_lo, exec_lo
	s_branch .LBB4_8650
.LBB4_8655:                             ;   in Loop: Header=BB4_8599 Depth=1
	s_or_b32 exec_lo, exec_lo, s22
	s_and_saveexec_b32 s22, s23
	s_delay_alu instid0(SALU_CYCLE_1)
	s_xor_b32 s22, exec_lo, s22
	s_cbranch_execz .LBB4_8657
; %bb.8656:                             ;   in Loop: Header=BB4_8599 Depth=1
	ds_store_b32 v0, v82
	s_trap 2
.LBB4_8657:                             ;   in Loop: Header=BB4_8599 Depth=1
	s_or_b32 exec_lo, exec_lo, s21
	;;#ASMSTART
	s_wakeup
	;;#ASMEND
.LBB4_8658:                             ;   in Loop: Header=BB4_8599 Depth=1
	s_or_b32 exec_lo, exec_lo, s19
.LBB4_8659:                             ;   in Loop: Header=BB4_8599 Depth=1
	s_and_not1_saveexec_b32 s18, s18
	s_cbranch_execz .LBB4_8661
; %bb.8660:                             ;   in Loop: Header=BB4_8599 Depth=1
	global_wb scope:SCOPE_DEV
	s_wait_storecnt 0x0
	s_wait_loadcnt_dscnt 0x0
	global_inv scope:SCOPE_DEV
	s_barrier_signal -1
	s_barrier_wait -1
.LBB4_8661:                             ;   in Loop: Header=BB4_8599 Depth=1
	s_or_b32 exec_lo, exec_lo, s18
.LBB4_8662:                             ;   in Loop: Header=BB4_8599 Depth=1
	s_delay_alu instid0(SALU_CYCLE_1)
	s_or_b32 exec_lo, exec_lo, s10
	s_trap 2
	ds_load_b64 v[66:67], v0
	s_wait_dscnt 0x0
	v_cmp_eq_u64_e32 vcc_lo, 0, v[66:67]
	s_cbranch_vccnz .LBB4_8670
; %bb.8663:                             ;   in Loop: Header=BB4_8599 Depth=1
	s_trap 2
	ds_load_b64 v[68:69], v0
	s_wait_dscnt 0x0
	v_cmp_eq_u64_e32 vcc_lo, 0, v[68:69]
	s_cbranch_vccnz .LBB4_8670
; %bb.8664:                             ;   in Loop: Header=BB4_8599 Depth=1
	s_mov_b32 s10, -1
	s_and_saveexec_b32 s18, s5
	s_cbranch_execz .LBB4_8666
; %bb.8665:                             ;   in Loop: Header=BB4_8599 Depth=1
	ds_load_b32 v10, v0 offset:720
	s_wait_dscnt 0x0
	v_and_b32_e32 v10, 15, v10
	s_delay_alu instid0(VALU_DEP_1)
	v_cmp_eq_u32_e32 vcc_lo, 0, v10
	s_or_not1_b32 s10, vcc_lo, exec_lo
.LBB4_8666:                             ;   in Loop: Header=BB4_8599 Depth=1
	s_or_b32 exec_lo, exec_lo, s18
	s_and_saveexec_b32 s18, s6
	s_cbranch_execz .LBB4_8668
; %bb.8667:                             ;   in Loop: Header=BB4_8599 Depth=1
	ds_load_b32 v10, v0 offset:784
	s_wait_dscnt 0x0
	v_and_b32_e32 v10, 15, v10
	s_delay_alu instid0(VALU_DEP_1) | instskip(SKIP_3) | instid1(SALU_CYCLE_1)
	v_cmp_eq_u32_e32 vcc_lo, 0, v10
	s_and_b32 s19, s10, vcc_lo
	s_and_not1_b32 s10, s10, exec_lo
	s_and_b32 s19, s19, exec_lo
	s_or_b32 s10, s10, s19
.LBB4_8668:                             ;   in Loop: Header=BB4_8599 Depth=1
	s_or_b32 exec_lo, exec_lo, s18
	v_cmp_eq_u32_e32 vcc_lo, 0, v55
	s_xor_b32 s10, s10, -1
	s_mov_b32 s19, -1
	v_cndmask_b32_e64 v10, 0, 1, s10
	v_dual_mov_b32 v80, v121 :: v_dual_cndmask_b32 v55, 0, v64
	s_delay_alu instid0(VALU_DEP_2) | instskip(NEXT) | instid1(VALU_DEP_2)
	v_cmp_ne_u32_e32 vcc_lo, 0, v10
	v_dual_mov_b32 v10, 0 :: v_dual_mov_b32 v65, v55
	s_cbranch_vccz .LBB4_8671
; %bb.8669:                             ;   in Loop: Header=BB4_8599 Depth=1
	s_and_saveexec_b32 s10, s19
	s_cbranch_execnz .LBB4_8682
	s_branch .LBB4_8690
.LBB4_8670:                             ;   in Loop: Header=BB4_8599 Depth=1
	s_mov_b32 s10, 0
	s_and_saveexec_b32 s18, s2
	s_cbranch_execnz .LBB4_8691
	s_branch .LBB4_8709
.LBB4_8671:                             ;   in Loop: Header=BB4_8599 Depth=1
	v_lshrrev_b32_e32 v10, 11, v55
	s_mov_b32 s10, exec_lo
	s_delay_alu instid0(VALU_DEP_1) | instskip(NEXT) | instid1(VALU_DEP_1)
	v_sub_nc_u32_e32 v83, v10, v3
	v_cmpx_lt_i32_e32 0, v83
	s_cbranch_execz .LBB4_8675
; %bb.8672:                             ;   in Loop: Header=BB4_8599 Depth=1
	v_mov_b64_e32 v[70:71], v[68:69]
	v_mov_b64_e32 v[80:81], v[66:67]
	s_mov_b32 s18, 0
.LBB4_8673:                             ;   Parent Loop BB4_8599 Depth=1
                                        ; =>  This Inner Loop Header: Depth=2
	s_delay_alu instid0(VALU_DEP_1) | instskip(SKIP_1) | instid1(VALU_DEP_4)
	v_add_nc_u64_e32 v[112:113], v[22:23], v[80:81]
	v_sub_nc_u32_e32 v83, v83, v12
	v_add_nc_u64_e32 v[116:117], v[22:23], v[70:71]
	v_add_nc_u64_e32 v[80:81], v[80:81], v[14:15]
	v_add_nc_u64_e32 v[70:71], v[70:71], v[14:15]
	s_clause 0x3
	global_load_b128 v[84:87], v[112:113], off th:TH_LOAD_NT
	global_load_b128 v[96:99], v[112:113], off offset:512 th:TH_LOAD_NT
	global_load_b128 v[100:103], v[112:113], off offset:1024 th:TH_LOAD_NT
	global_load_b128 v[112:115], v[112:113], off offset:1536 th:TH_LOAD_NT
	v_cmp_gt_i32_e32 vcc_lo, 1, v83
	s_wait_loadcnt 0x3
	global_store_b128 v[116:117], v[84:87], off th:TH_STORE_NT
	s_wait_loadcnt 0x2
	global_store_b128 v[116:117], v[96:99], off offset:512 th:TH_STORE_NT
	s_wait_loadcnt 0x1
	global_store_b128 v[116:117], v[100:103], off offset:1024 th:TH_STORE_NT
	;; [unrolled: 2-line block ×3, first 2 shown]
	s_or_b32 s18, vcc_lo, s18
	s_wait_xcnt 0x0
	s_and_not1_b32 exec_lo, exec_lo, s18
	s_cbranch_execnz .LBB4_8673
; %bb.8674:                             ;   in Loop: Header=BB4_8599 Depth=1
	s_or_b32 exec_lo, exec_lo, s18
.LBB4_8675:                             ;   in Loop: Header=BB4_8599 Depth=1
	s_delay_alu instid0(SALU_CYCLE_1) | instskip(SKIP_4) | instid1(VALU_DEP_2)
	s_or_b32 exec_lo, exec_lo, s10
	v_and_b32_e32 v70, 0x3ffff800, v55
	v_mov_b32_e32 v10, 0
	s_mov_b32 s19, 0
	s_mov_b32 s18, exec_lo
                                        ; implicit-def: $vgpr65
                                        ; implicit-def: $vgpr80
	v_cmpx_ne_u32_e64 v55, v70
	s_cbranch_execz .LBB4_8681
; %bb.8676:                             ;   in Loop: Header=BB4_8599 Depth=1
	v_and_b32_e32 v65, 0x1ff, v55
	v_dual_lshlrev_b32 v10, 9, v83 :: v_dual_sub_nc_u32 v71, 0, v83
	v_bfe_u32 v81, v55, 9, 2
	v_and_b32_e32 v80, 0x7ff, v55
	s_delay_alu instid0(VALU_DEP_4) | instskip(SKIP_4) | instid1(VALU_DEP_1)
	v_cmp_lt_u32_e32 vcc_lo, 15, v65
	s_mov_b32 s19, exec_lo
	v_and_b32_e32 v71, 0x7ffffff, v71
	v_add_co_ci_u32_e64 v83, null, 0, v81, vcc_lo
	v_sub_nc_u32_e32 v10, v30, v10
	v_dual_sub_nc_u32 v81, v80, v10 :: v_dual_sub_nc_u32 v80, v83, v71
	s_delay_alu instid0(VALU_DEP_1)
	v_cmpx_lt_i32_e32 15, v81
	s_cbranch_execz .LBB4_8680
; %bb.8677:                             ;   in Loop: Header=BB4_8599 Depth=1
	v_add_nc_u32_e32 v10, v10, v70
	s_mov_b32 s21, 0
	s_delay_alu instid0(VALU_DEP_1)
	v_mov_b64_e32 v[70:71], v[10:11]
.LBB4_8678:                             ;   Parent Loop BB4_8599 Depth=1
                                        ; =>  This Inner Loop Header: Depth=2
	s_delay_alu instid0(VALU_DEP_1) | instskip(SKIP_4) | instid1(VALU_DEP_4)
	v_add_nc_u64_e32 v[84:85], v[66:67], v[70:71]
	v_sub_nc_u32_e32 v81, v81, v16
	v_add_nc_u64_e32 v[96:97], v[68:69], v[70:71]
	v_add_nc_u64_e32 v[70:71], v[70:71], v[16:17]
	v_sub_nc_u32_e32 v80, v80, v12
	v_cmp_gt_i32_e64 s10, 16, v81
	global_load_b128 v[84:87], v[84:85], off th:TH_LOAD_NT
	s_or_b32 s21, s10, s21
	s_wait_loadcnt 0x0
	global_store_b128 v[96:97], v[84:87], off th:TH_STORE_NT
	s_wait_xcnt 0x0
	s_and_not1_b32 exec_lo, exec_lo, s21
	s_cbranch_execnz .LBB4_8678
; %bb.8679:                             ;   in Loop: Header=BB4_8599 Depth=1
	s_or_b32 exec_lo, exec_lo, s21
.LBB4_8680:                             ;   in Loop: Header=BB4_8599 Depth=1
	s_delay_alu instid0(SALU_CYCLE_1) | instskip(NEXT) | instid1(VALU_DEP_2)
	s_or_b32 exec_lo, exec_lo, s19
	v_cmp_lt_i32_e64 s10, 0, v80
	v_and_b32_e32 v10, 15, v55
	v_and_b32_e32 v70, 0x1f0, v55
	s_delay_alu instid0(VALU_DEP_2) | instskip(NEXT) | instid1(VALU_DEP_1)
	v_dual_cndmask_b32 v71, 0, v12, s10 :: v_dual_cndmask_b32 v65, v65, v10, vcc_lo
	v_dual_cndmask_b32 v10, 0, v70, vcc_lo :: v_dual_sub_nc_u32 v70, v71, v80
	s_delay_alu instid0(VALU_DEP_2) | instskip(NEXT) | instid1(VALU_DEP_2)
	v_cmp_ne_u32_e32 vcc_lo, 0, v65
	v_and_or_b32 v10, 0x3ffffe00, v55, v10
	s_delay_alu instid0(VALU_DEP_3)
	v_lshl_or_b32 v80, v70, 5, v0
	s_and_b32 s19, vcc_lo, exec_lo
.LBB4_8681:                             ;   in Loop: Header=BB4_8599 Depth=1
	s_or_b32 exec_lo, exec_lo, s18
	s_and_saveexec_b32 s10, s19
	s_cbranch_execz .LBB4_8690
.LBB4_8682:                             ;   in Loop: Header=BB4_8599 Depth=1
	v_dual_ashrrev_i32 v70, 31, v80 :: v_dual_lshrrev_b32 v71, 9, v65
	s_mov_b32 s18, exec_lo
	s_delay_alu instid0(VALU_DEP_1) | instskip(NEXT) | instid1(VALU_DEP_1)
	v_lshrrev_b32_e32 v70, 27, v70
	v_add_nc_u32_e32 v70, v80, v70
	s_delay_alu instid0(VALU_DEP_1) | instskip(NEXT) | instid1(VALU_DEP_1)
	v_ashrrev_i32_e32 v81, 5, v70
	v_sub_nc_u32_e32 v83, v71, v81
	s_delay_alu instid0(VALU_DEP_1)
	v_cmpx_lt_i32_e32 0, v83
	s_cbranch_execz .LBB4_8686
; %bb.8683:                             ;   in Loop: Header=BB4_8599 Depth=1
	v_and_b32_e32 v70, 0xffffffe0, v70
	s_mov_b32 s19, 0
	s_delay_alu instid0(VALU_DEP_1) | instskip(NEXT) | instid1(VALU_DEP_1)
	v_dual_lshlrev_b32 v71, 9, v81 :: v_dual_sub_nc_u32 v70, v80, v70
	v_add3_u32 v70, v10, v70, v71
	s_delay_alu instid0(VALU_DEP_1)
	v_ashrrev_i32_e32 v71, 31, v70
.LBB4_8684:                             ;   Parent Loop BB4_8599 Depth=1
                                        ; =>  This Inner Loop Header: Depth=2
	s_delay_alu instid0(VALU_DEP_1)
	v_add_nc_u64_e32 v[84:85], v[70:71], v[66:67]
	v_sub_nc_u32_e32 v83, v83, v12
	v_add_nc_u64_e32 v[66:67], v[66:67], v[16:17]
	s_clause 0xf
	flat_load_u8 v86, v[84:85] th:TH_LOAD_NT
	flat_load_u8 v87, v[84:85] offset:32 th:TH_LOAD_NT
	flat_load_u8 v96, v[84:85] offset:64 th:TH_LOAD_NT
	;; [unrolled: 1-line block ×15, first 2 shown]
	s_wait_xcnt 0x0
	v_add_nc_u64_e32 v[84:85], v[70:71], v[68:69]
	v_add_nc_u64_e32 v[68:69], v[68:69], v[16:17]
	v_cmp_gt_i32_e32 vcc_lo, 1, v83
	s_wait_loadcnt_dscnt 0xf0f
	flat_store_b8 v[84:85], v86 th:TH_STORE_NT
	s_wait_loadcnt_dscnt 0xe0f
	flat_store_b8 v[84:85], v87 offset:32 th:TH_STORE_NT
	s_wait_loadcnt_dscnt 0xd0f
	flat_store_b8 v[84:85], v96 offset:64 th:TH_STORE_NT
	;; [unrolled: 2-line block ×15, first 2 shown]
	s_or_b32 s19, vcc_lo, s19
	s_wait_xcnt 0x0
	s_and_not1_b32 exec_lo, exec_lo, s19
	s_cbranch_execnz .LBB4_8684
; %bb.8685:                             ;   in Loop: Header=BB4_8599 Depth=1
	s_or_b32 exec_lo, exec_lo, s19
.LBB4_8686:                             ;   in Loop: Header=BB4_8599 Depth=1
	s_delay_alu instid0(SALU_CYCLE_1) | instskip(SKIP_1) | instid1(VALU_DEP_1)
	s_or_b32 exec_lo, exec_lo, s18
	v_and_b32_e32 v68, 0xfffffe00, v65
	v_cmp_ne_u32_e32 vcc_lo, v65, v68
	s_and_b32 exec_lo, exec_lo, vcc_lo
	s_cbranch_execz .LBB4_8690
; %bb.8687:                             ;   in Loop: Header=BB4_8599 Depth=1
	v_dual_lshlrev_b32 v66, 5, v81 :: v_dual_lshlrev_b32 v67, 5, v83
	v_and_b32_e32 v65, 0x1ff, v65
	s_delay_alu instid0(VALU_DEP_2) | instskip(NEXT) | instid1(VALU_DEP_1)
	v_sub_nc_u32_e32 v66, v80, v66
	v_sub_nc_u32_e32 v69, v66, v67
	s_delay_alu instid0(VALU_DEP_1) | instskip(NEXT) | instid1(VALU_DEP_1)
	v_sub_nc_u32_e32 v65, v65, v69
	v_cmp_lt_i32_e32 vcc_lo, 0, v65
	s_and_b32 exec_lo, exec_lo, vcc_lo
	s_cbranch_execz .LBB4_8690
; %bb.8688:                             ;   in Loop: Header=BB4_8599 Depth=1
	s_trap 2
	ds_load_b64 v[66:67], v0
	v_add3_u32 v68, v68, v10, v69
	s_mov_b32 s18, 0
	s_delay_alu instid0(VALU_DEP_1)
	v_ashrrev_i32_e32 v69, 31, v68
.LBB4_8689:                             ;   Parent Loop BB4_8599 Depth=1
                                        ; =>  This Inner Loop Header: Depth=2
	s_wait_dscnt 0x0
	s_delay_alu instid0(VALU_DEP_1) | instskip(SKIP_2) | instid1(VALU_DEP_2)
	v_add_nc_u64_e32 v[70:71], v[66:67], v[68:69]
	v_sub_nc_u32_e32 v65, v65, v18
	v_add_nc_u64_e32 v[68:69], v[68:69], v[18:19]
	v_cmp_gt_i32_e32 vcc_lo, 1, v65
	flat_load_u8 v10, v[70:71] th:TH_LOAD_NT
	s_or_b32 s18, vcc_lo, s18
	s_wait_loadcnt_dscnt 0x0
	flat_store_b8 v[70:71], v10 th:TH_STORE_NT
	s_wait_xcnt 0x0
	s_and_not1_b32 exec_lo, exec_lo, s18
	s_cbranch_execnz .LBB4_8689
.LBB4_8690:                             ;   in Loop: Header=BB4_8599 Depth=1
	s_or_b32 exec_lo, exec_lo, s10
	v_cmp_ne_u32_e64 s10, 0, v55
	s_and_saveexec_b32 s18, s2
	s_cbranch_execz .LBB4_8709
.LBB4_8691:                             ;   in Loop: Header=BB4_8599 Depth=1
	s_and_saveexec_b32 s19, s3
	s_delay_alu instid0(SALU_CYCLE_1)
	s_xor_b32 s19, exec_lo, s19
	s_cbranch_execz .LBB4_8706
; %bb.8692:                             ;   in Loop: Header=BB4_8599 Depth=1
	s_and_saveexec_b32 s21, s4
	s_cbranch_execz .LBB4_8705
; %bb.8693:                             ;   in Loop: Header=BB4_8599 Depth=1
	s_mov_b32 s23, exec_lo
	s_mov_b32 s22, exec_lo
	v_mbcnt_lo_u32_b32 v10, s23, 0
	global_wb scope:SCOPE_DEV
	s_wait_storecnt 0x0
	s_wait_loadcnt_dscnt 0x0
	global_inv scope:SCOPE_DEV
	v_cmpx_eq_u32_e32 0, v10
	s_cbranch_execz .LBB4_8695
; %bb.8694:                             ;   in Loop: Header=BB4_8599 Depth=1
	s_bcnt1_i32_b32 s23, s23
	s_delay_alu instid0(SALU_CYCLE_1)
	v_mov_b32_e32 v10, s23
	s_wait_loadcnt 0x0
	ds_add_u64 v0, v[10:11]
	s_trap 2
.LBB4_8695:                             ;   in Loop: Header=BB4_8599 Depth=1
	s_or_b32 exec_lo, exec_lo, s22
	s_trap 2
	ds_load_b64 v[66:67], v0
	s_wait_dscnt 0x0
	v_add_nc_u64_e32 v[38:39], v[38:39], v[12:13]
	s_mov_b32 s22, exec_lo
	s_delay_alu instid0(VALU_DEP_1)
	v_cmpx_lt_u64_e64 v[66:67], v[38:39]
	s_cbranch_execz .LBB4_8704
; %bb.8696:                             ;   in Loop: Header=BB4_8599 Depth=1
	s_mov_b32 s23, 0
	s_mov_b32 s26, 0
                                        ; implicit-def: $sgpr24
                                        ; implicit-def: $sgpr25
	s_branch .LBB4_8698
.LBB4_8697:                             ;   in Loop: Header=BB4_8698 Depth=2
	s_or_b32 exec_lo, exec_lo, s28
	s_delay_alu instid0(SALU_CYCLE_1) | instskip(NEXT) | instid1(SALU_CYCLE_1)
	s_and_b32 s27, exec_lo, s29
	s_or_b32 s23, s27, s23
	s_and_not1_b32 s24, s24, exec_lo
	s_and_b32 s27, s25, exec_lo
	s_delay_alu instid0(SALU_CYCLE_1)
	s_or_b32 s24, s24, s27
	s_and_not1_b32 exec_lo, exec_lo, s23
	s_cbranch_execz .LBB4_8702
.LBB4_8698:                             ;   Parent Loop BB4_8599 Depth=1
                                        ; =>  This Inner Loop Header: Depth=2
	s_add_co_i32 s26, s26, 1
	s_delay_alu instid0(SALU_CYCLE_1) | instskip(SKIP_1) | instid1(SALU_CYCLE_1)
	s_cmp_lg_u32 s26, 0x2710
	s_cselect_b32 s27, -1, 0
	s_and_b32 vcc_lo, exec_lo, s27
	s_cbranch_vccz .LBB4_8700
; %bb.8699:                             ;   in Loop: Header=BB4_8698 Depth=2
	s_mov_b32 s29, -1
	s_or_b32 s25, s25, exec_lo
	s_and_saveexec_b32 s28, s27
	s_cbranch_execz .LBB4_8697
	s_branch .LBB4_8701
.LBB4_8700:                             ;   in Loop: Header=BB4_8698 Depth=2
	s_trap 2
	ds_load_b64 v[66:67], v0
	s_and_not1_b32 s27, s27, exec_lo
	s_mov_b32 s26, 0
	s_wait_loadcnt_dscnt 0x0
	flat_load_b32 v10, v[66:67] scope:SCOPE_SYS
	s_wait_loadcnt_dscnt 0x0
	global_inv scope:SCOPE_SYS
	v_cmp_eq_u32_e32 vcc_lo, 0, v10
	s_and_b32 s28, vcc_lo, exec_lo
	s_delay_alu instid0(SALU_CYCLE_1)
	s_or_b32 s27, s27, s28
	s_mov_b32 s29, -1
	s_or_b32 s25, s25, exec_lo
	s_and_saveexec_b32 s28, s27
	s_cbranch_execz .LBB4_8697
.LBB4_8701:                             ;   in Loop: Header=BB4_8698 Depth=2
	s_sleep 1
	s_trap 2
	ds_load_b64 v[66:67], v0
	s_wait_dscnt 0x0
	s_and_not1_b32 s25, s25, exec_lo
	v_cmp_ge_u64_e32 vcc_lo, v[66:67], v[38:39]
	s_or_not1_b32 s29, vcc_lo, exec_lo
	s_branch .LBB4_8697
.LBB4_8702:                             ;   in Loop: Header=BB4_8599 Depth=1
	s_or_b32 exec_lo, exec_lo, s23
	s_and_saveexec_b32 s23, s24
	s_delay_alu instid0(SALU_CYCLE_1)
	s_xor_b32 s23, exec_lo, s23
	s_cbranch_execz .LBB4_8704
; %bb.8703:                             ;   in Loop: Header=BB4_8599 Depth=1
	ds_store_b32 v0, v82
	s_trap 2
.LBB4_8704:                             ;   in Loop: Header=BB4_8599 Depth=1
	s_or_b32 exec_lo, exec_lo, s22
	;;#ASMSTART
	s_wakeup
	;;#ASMEND
.LBB4_8705:                             ;   in Loop: Header=BB4_8599 Depth=1
	s_or_b32 exec_lo, exec_lo, s21
.LBB4_8706:                             ;   in Loop: Header=BB4_8599 Depth=1
	s_and_not1_saveexec_b32 s19, s19
	s_cbranch_execz .LBB4_8708
; %bb.8707:                             ;   in Loop: Header=BB4_8599 Depth=1
	global_wb scope:SCOPE_DEV
	s_wait_storecnt 0x0
	s_wait_loadcnt_dscnt 0x0
	global_inv scope:SCOPE_DEV
	s_barrier_signal -1
	s_barrier_wait -1
.LBB4_8708:                             ;   in Loop: Header=BB4_8599 Depth=1
	s_or_b32 exec_lo, exec_lo, s19
.LBB4_8709:                             ;   in Loop: Header=BB4_8599 Depth=1
	s_delay_alu instid0(SALU_CYCLE_1) | instskip(SKIP_1) | instid1(VALU_DEP_1)
	s_or_b32 exec_lo, exec_lo, s18
	v_and_b32_e32 v10, 16, v120
	v_cmp_ne_u32_e32 vcc_lo, 0, v10
	s_and_b32 s18, vcc_lo, s10
	s_delay_alu instid0(SALU_CYCLE_1)
	s_and_saveexec_b32 s10, s18
	s_cbranch_execz .LBB4_8711
; %bb.8710:                             ;   in Loop: Header=BB4_8599 Depth=1
	global_wb scope:SCOPE_SYS
	s_wait_storecnt 0x0
	s_wait_loadcnt_dscnt 0x0
	global_inv scope:SCOPE_SYS
.LBB4_8711:                             ;   in Loop: Header=BB4_8599 Depth=1
	s_or_b32 exec_lo, exec_lo, s10
	s_delay_alu instid0(SALU_CYCLE_1)
	s_mov_b32 s10, exec_lo
	v_cmpx_ne_u32_e32 0, v10
	s_cbranch_execz .LBB4_8715
; %bb.8712:                             ;   in Loop: Header=BB4_8599 Depth=1
	s_and_saveexec_b32 s18, s7
	s_cbranch_execz .LBB4_8714
; %bb.8713:                             ;   in Loop: Header=BB4_8599 Depth=1
	global_wb scope:SCOPE_SYS
	s_wait_storecnt 0x0
	s_wait_loadcnt_dscnt 0x0
	flat_store_b32 v[52:53], v82 scope:SCOPE_SYS
.LBB4_8714:                             ;   in Loop: Header=BB4_8599 Depth=1
	s_wait_xcnt 0x0
	s_or_b32 exec_lo, exec_lo, s18
	v_add_nc_u64_e32 v[8:9], 1, v[8:9]
	global_wb scope:SCOPE_SYS
	s_wait_storecnt 0x0
	s_wait_loadcnt_dscnt 0x0
	flat_store_b64 v[32:33], v[8:9] scope:SCOPE_SYS
.LBB4_8715:                             ;   in Loop: Header=BB4_8599 Depth=1
	s_wait_xcnt 0x0
	s_or_b32 exec_lo, exec_lo, s10
	v_mov_b32_e32 v10, v64
.LBB4_8716:                             ;   in Loop: Header=BB4_8599 Depth=1
	s_or_b32 exec_lo, exec_lo, s17
	s_and_saveexec_b32 s17, s16
	s_cbranch_execz .LBB4_8598
; %bb.8717:                             ;   in Loop: Header=BB4_8599 Depth=1
	s_delay_alu instid0(VALU_DEP_1) | instskip(SKIP_1) | instid1(VALU_DEP_1)
	v_dual_sub_nc_u32 v10, v54, v10 :: v_dual_bitop2_b32 v55, 8, v120 bitop3:0x40
	s_mov_b32 s16, exec_lo
	v_min_i32_e32 v54, v64, v10
	s_delay_alu instid0(VALU_DEP_2)
	v_cmpx_ne_u32_e32 0, v55
	s_cbranch_execz .LBB4_8739
; %bb.8718:                             ;   in Loop: Header=BB4_8599 Depth=1
	s_wait_loadcnt 0x0
	v_add_nc_u64_e32 v[66:67], 8, v[48:49]
	v_add_nc_u64_e32 v[64:65], 1, v[8:9]
	s_mov_b32 s18, exec_lo
	s_delay_alu instid0(VALU_DEP_1)
	v_cmpx_lt_u64_e64 v[66:67], v[64:65]
	s_cbranch_execz .LBB4_8730
; %bb.8719:                             ;   in Loop: Header=BB4_8599 Depth=1
	v_and_b32_e32 v9, 64, v120
	s_mov_b32 s19, 0
	s_mov_b32 s24, 0
                                        ; implicit-def: $sgpr21
                                        ; implicit-def: $sgpr22
                                        ; implicit-def: $sgpr23
	s_delay_alu instid0(VALU_DEP_1)
	v_cmp_eq_u32_e32 vcc_lo, 0, v9
	s_branch .LBB4_8723
.LBB4_8720:                             ;   in Loop: Header=BB4_8723 Depth=2
	s_wait_loadcnt_dscnt 0x0
	v_add_nc_u64_e32 v[66:67], 8, v[48:49]
	s_or_b32 s27, s27, exec_lo
	s_delay_alu instid0(VALU_DEP_1)
	v_cmp_ge_u64_e64 s10, v[66:67], v[64:65]
	s_or_not1_b32 s26, s10, exec_lo
.LBB4_8721:                             ;   in Loop: Header=BB4_8723 Depth=2
	s_or_b32 exec_lo, exec_lo, s29
	s_delay_alu instid0(SALU_CYCLE_1)
	s_and_not1_b32 s10, s23, exec_lo
	s_and_b32 s23, s27, exec_lo
	s_and_not1_b32 s22, s22, exec_lo
	s_and_b32 s26, s26, exec_lo
	s_or_b32 s23, s10, s23
	s_or_b32 s22, s22, s26
.LBB4_8722:                             ;   in Loop: Header=BB4_8723 Depth=2
	s_or_b32 exec_lo, exec_lo, s25
	s_delay_alu instid0(SALU_CYCLE_1) | instskip(NEXT) | instid1(SALU_CYCLE_1)
	s_and_b32 s10, exec_lo, s22
	s_or_b32 s19, s10, s19
	s_and_not1_b32 s10, s21, exec_lo
	s_and_b32 s21, s23, exec_lo
	s_delay_alu instid0(SALU_CYCLE_1)
	s_or_b32 s21, s10, s21
	s_and_not1_b32 exec_lo, exec_lo, s19
	s_cbranch_execz .LBB4_8727
.LBB4_8723:                             ;   Parent Loop BB4_8599 Depth=1
                                        ; =>  This Inner Loop Header: Depth=2
	s_sleep 1
	s_wait_loadcnt_dscnt 0x0
	flat_load_b64 v[48:49], v[32:33] scope:SCOPE_SYS
	s_or_b32 s23, s23, exec_lo
	s_or_b32 s22, s22, exec_lo
                                        ; implicit-def: $vgpr9
	s_wait_xcnt 0x0
	s_and_saveexec_b32 s25, vcc_lo
	s_cbranch_execz .LBB4_8722
; %bb.8724:                             ;   in Loop: Header=BB4_8723 Depth=2
	s_cmp_lt_i32 s24, 0x270f
	s_mov_b32 s26, -1
	s_cselect_b32 s28, -1, 0
	s_cmp_gt_i32 s24, 0x270e
	s_cbranch_scc0 .LBB4_8726
; %bb.8725:                             ;   in Loop: Header=BB4_8723 Depth=2
	s_trap 2
	ds_load_b64 v[66:67], v0
	s_and_not1_b32 s24, s28, exec_lo
	s_mov_b32 s27, 0
	s_wait_storecnt 0x0
	s_wait_loadcnt_dscnt 0x0
	flat_load_b32 v9, v[66:67] scope:SCOPE_SYS
	s_wait_loadcnt_dscnt 0x0
	global_inv scope:SCOPE_SYS
	v_cmp_eq_u32_e64 s10, 0, v9
	s_and_b32 s10, s10, exec_lo
	s_delay_alu instid0(SALU_CYCLE_1)
	s_or_b32 s28, s24, s10
	s_mov_b32 s24, 0
	s_and_saveexec_b32 s29, s28
	s_cbranch_execz .LBB4_8721
	s_branch .LBB4_8720
.LBB4_8726:                             ;   in Loop: Header=BB4_8723 Depth=2
	s_add_co_i32 s24, s24, 1
	s_mov_b32 s27, -1
                                        ; implicit-def: $vgpr9
	s_and_saveexec_b32 s29, s28
	s_cbranch_execz .LBB4_8721
	s_branch .LBB4_8720
.LBB4_8727:                             ;   in Loop: Header=BB4_8599 Depth=1
	s_or_b32 exec_lo, exec_lo, s19
	s_xor_b32 s10, s21, -1
	s_delay_alu instid0(SALU_CYCLE_1) | instskip(NEXT) | instid1(SALU_CYCLE_1)
	s_and_saveexec_b32 s19, s10
	s_xor_b32 s10, exec_lo, s19
	s_cbranch_execz .LBB4_8729
; %bb.8728:                             ;   in Loop: Header=BB4_8599 Depth=1
	v_or_b32_e32 v120, 64, v120
	s_wait_storecnt 0x0
	s_wait_loadcnt_dscnt 0x0
	ds_store_b32 v0, v9
	s_trap 2
.LBB4_8729:                             ;   in Loop: Header=BB4_8599 Depth=1
	s_or_b32 exec_lo, exec_lo, s10
.LBB4_8730:                             ;   in Loop: Header=BB4_8599 Depth=1
	s_delay_alu instid0(SALU_CYCLE_1) | instskip(SKIP_4) | instid1(VALU_DEP_2)
	s_or_b32 exec_lo, exec_lo, s18
	v_and_b32_e32 v9, 0x100, v120
	v_and_b32_e32 v10, 7, v8
	s_mov_b32 s10, -1
	;;#ASMSTART
	s_wakeup
	;;#ASMEND
	v_cmp_ne_u32_e32 vcc_lo, 0, v9
                                        ; implicit-def: $vgpr8_vgpr9
	s_and_saveexec_b32 s18, vcc_lo
	s_cbranch_execz .LBB4_8734
; %bb.8731:                             ;   in Loop: Header=BB4_8599 Depth=1
	v_mad_nc_u64_u32 v[66:67], v10, 24, v[6:7]
	v_ashrrev_i32_e32 v55, 31, v54
	s_clause 0x1
	flat_load_b32 v8, v[66:67]
	flat_store_b64 v[66:67], v[54:55] offset:8
	s_wait_loadcnt_dscnt 0x1
	v_cmp_eq_u32_e64 s10, 1, v8
	v_cmp_ne_u32_e32 vcc_lo, 1, v8
                                        ; implicit-def: $vgpr8_vgpr9
	s_wait_xcnt 0x0
	s_and_saveexec_b32 s19, s10
	s_cbranch_execz .LBB4_8733
; %bb.8732:                             ;   in Loop: Header=BB4_8599 Depth=1
	flat_load_b32 v8, v[66:67] offset:4 scope:SCOPE_SYS
	s_wait_loadcnt_dscnt 0x0
	v_ashrrev_i32_e32 v9, 31, v8
.LBB4_8733:                             ;   in Loop: Header=BB4_8599 Depth=1
	s_wait_xcnt 0x0
	s_or_b32 exec_lo, exec_lo, s19
	s_delay_alu instid0(SALU_CYCLE_1)
	s_or_not1_b32 s10, vcc_lo, exec_lo
.LBB4_8734:                             ;   in Loop: Header=BB4_8599 Depth=1
	s_or_b32 exec_lo, exec_lo, s18
	s_and_saveexec_b32 s18, s10
; %bb.8735:                             ;   in Loop: Header=BB4_8599 Depth=1
	v_mul_u64_e32 v[8:9], v[10:11], v[34:35]
; %bb.8736:                             ;   in Loop: Header=BB4_8599 Depth=1
	s_or_b32 exec_lo, exec_lo, s18
	s_delay_alu instid0(VALU_DEP_1)
	v_add_nc_u64_e32 v[8:9], v[36:37], v[8:9]
	v_and_b32_e32 v10, 0x2000, v120
	s_mov_b32 s10, exec_lo
	ds_store_b64 v0, v[8:9] offset:784
	v_cmpx_ne_u32_e32 0, v10
	s_cbranch_execz .LBB4_8738
; %bb.8737:                             ;   in Loop: Header=BB4_8599 Depth=1
	ds_load_b64 v[8:9], v0 offset:872
	s_wait_dscnt 0x0
	v_add_nc_u64_e32 v[8:9], 1, v[8:9]
	ds_store_b64 v0, v[8:9] offset:872
.LBB4_8738:                             ;   in Loop: Header=BB4_8599 Depth=1
	s_or_b32 exec_lo, exec_lo, s10
	v_mov_b64_e32 v[8:9], v[64:65]
.LBB4_8739:                             ;   in Loop: Header=BB4_8599 Depth=1
	s_or_b32 exec_lo, exec_lo, s16
	s_and_saveexec_b32 s10, s2
	s_cbranch_execz .LBB4_8758
; %bb.8740:                             ;   in Loop: Header=BB4_8599 Depth=1
	s_and_saveexec_b32 s16, s3
	s_delay_alu instid0(SALU_CYCLE_1)
	s_xor_b32 s16, exec_lo, s16
	s_cbranch_execz .LBB4_8755
; %bb.8741:                             ;   in Loop: Header=BB4_8599 Depth=1
	s_and_saveexec_b32 s18, s4
	s_cbranch_execz .LBB4_8754
; %bb.8742:                             ;   in Loop: Header=BB4_8599 Depth=1
	s_mov_b32 s21, exec_lo
	s_mov_b32 s19, exec_lo
	v_mbcnt_lo_u32_b32 v10, s21, 0
	global_wb scope:SCOPE_DEV
	s_wait_storecnt 0x0
	s_wait_loadcnt_dscnt 0x0
	global_inv scope:SCOPE_DEV
	v_cmpx_eq_u32_e32 0, v10
	s_cbranch_execz .LBB4_8744
; %bb.8743:                             ;   in Loop: Header=BB4_8599 Depth=1
	s_bcnt1_i32_b32 s21, s21
	s_delay_alu instid0(SALU_CYCLE_1)
	v_mov_b32_e32 v10, s21
	s_wait_loadcnt 0x0
	ds_add_u64 v0, v[10:11]
	s_trap 2
.LBB4_8744:                             ;   in Loop: Header=BB4_8599 Depth=1
	s_or_b32 exec_lo, exec_lo, s19
	s_trap 2
	ds_load_b64 v[64:65], v0
	s_wait_dscnt 0x0
	v_add_nc_u64_e32 v[38:39], v[38:39], v[12:13]
	s_mov_b32 s19, exec_lo
	s_delay_alu instid0(VALU_DEP_1)
	v_cmpx_lt_u64_e64 v[64:65], v[38:39]
	s_cbranch_execz .LBB4_8753
; %bb.8745:                             ;   in Loop: Header=BB4_8599 Depth=1
	s_mov_b32 s21, 0
	s_mov_b32 s24, 0
                                        ; implicit-def: $sgpr22
                                        ; implicit-def: $sgpr23
	s_branch .LBB4_8747
.LBB4_8746:                             ;   in Loop: Header=BB4_8747 Depth=2
	s_or_b32 exec_lo, exec_lo, s26
	s_delay_alu instid0(SALU_CYCLE_1) | instskip(NEXT) | instid1(SALU_CYCLE_1)
	s_and_b32 s25, exec_lo, s27
	s_or_b32 s21, s25, s21
	s_and_not1_b32 s22, s22, exec_lo
	s_and_b32 s25, s23, exec_lo
	s_delay_alu instid0(SALU_CYCLE_1)
	s_or_b32 s22, s22, s25
	s_and_not1_b32 exec_lo, exec_lo, s21
	s_cbranch_execz .LBB4_8751
.LBB4_8747:                             ;   Parent Loop BB4_8599 Depth=1
                                        ; =>  This Inner Loop Header: Depth=2
	s_add_co_i32 s24, s24, 1
	s_delay_alu instid0(SALU_CYCLE_1) | instskip(SKIP_1) | instid1(SALU_CYCLE_1)
	s_cmp_lg_u32 s24, 0x2710
	s_cselect_b32 s25, -1, 0
	s_and_b32 vcc_lo, exec_lo, s25
	s_cbranch_vccz .LBB4_8749
; %bb.8748:                             ;   in Loop: Header=BB4_8747 Depth=2
	s_mov_b32 s27, -1
	s_or_b32 s23, s23, exec_lo
	s_and_saveexec_b32 s26, s25
	s_cbranch_execz .LBB4_8746
	s_branch .LBB4_8750
.LBB4_8749:                             ;   in Loop: Header=BB4_8747 Depth=2
	s_trap 2
	ds_load_b64 v[64:65], v0
	s_and_not1_b32 s25, s25, exec_lo
	s_mov_b32 s24, 0
	s_wait_loadcnt_dscnt 0x0
	flat_load_b32 v10, v[64:65] scope:SCOPE_SYS
	s_wait_loadcnt_dscnt 0x0
	global_inv scope:SCOPE_SYS
	v_cmp_eq_u32_e32 vcc_lo, 0, v10
	s_and_b32 s26, vcc_lo, exec_lo
	s_delay_alu instid0(SALU_CYCLE_1)
	s_or_b32 s25, s25, s26
	s_mov_b32 s27, -1
	s_or_b32 s23, s23, exec_lo
	s_and_saveexec_b32 s26, s25
	s_cbranch_execz .LBB4_8746
.LBB4_8750:                             ;   in Loop: Header=BB4_8747 Depth=2
	s_sleep 1
	s_trap 2
	ds_load_b64 v[64:65], v0
	s_wait_dscnt 0x0
	s_and_not1_b32 s23, s23, exec_lo
	v_cmp_ge_u64_e32 vcc_lo, v[64:65], v[38:39]
	s_or_not1_b32 s27, vcc_lo, exec_lo
	s_branch .LBB4_8746
.LBB4_8751:                             ;   in Loop: Header=BB4_8599 Depth=1
	s_or_b32 exec_lo, exec_lo, s21
	s_and_saveexec_b32 s21, s22
	s_delay_alu instid0(SALU_CYCLE_1)
	s_xor_b32 s21, exec_lo, s21
	s_cbranch_execz .LBB4_8753
; %bb.8752:                             ;   in Loop: Header=BB4_8599 Depth=1
	ds_store_b32 v0, v82
	s_trap 2
.LBB4_8753:                             ;   in Loop: Header=BB4_8599 Depth=1
	s_or_b32 exec_lo, exec_lo, s19
	;;#ASMSTART
	s_wakeup
	;;#ASMEND
.LBB4_8754:                             ;   in Loop: Header=BB4_8599 Depth=1
	s_or_b32 exec_lo, exec_lo, s18
.LBB4_8755:                             ;   in Loop: Header=BB4_8599 Depth=1
	s_and_not1_saveexec_b32 s16, s16
	s_cbranch_execz .LBB4_8757
; %bb.8756:                             ;   in Loop: Header=BB4_8599 Depth=1
	global_wb scope:SCOPE_DEV
	s_wait_storecnt 0x0
	s_wait_loadcnt_dscnt 0x0
	global_inv scope:SCOPE_DEV
	s_barrier_signal -1
	s_barrier_wait -1
.LBB4_8757:                             ;   in Loop: Header=BB4_8599 Depth=1
	s_or_b32 exec_lo, exec_lo, s16
.LBB4_8758:                             ;   in Loop: Header=BB4_8599 Depth=1
	s_delay_alu instid0(SALU_CYCLE_1)
	s_or_b32 exec_lo, exec_lo, s10
	s_trap 2
	ds_load_b32 v10, v0
	v_cmp_lt_i32_e32 vcc_lo, 0, v54
	s_wait_dscnt 0x0
	v_readfirstlane_b32 s10, v10
	v_and_b32_e32 v10, 16, v120
	s_cmp_eq_u32 s10, 0
	s_delay_alu instid0(VALU_DEP_1) | instskip(SKIP_1) | instid1(SALU_CYCLE_1)
	v_cmp_ne_u32_e64 s10, 0, v10
	s_cselect_b32 s16, -1, 0
	s_and_b32 s16, vcc_lo, s16
	s_delay_alu instid0(SALU_CYCLE_1) | instskip(NEXT) | instid1(SALU_CYCLE_1)
	s_and_b32 s16, s10, s16
	s_and_saveexec_b32 s10, s16
	s_cbranch_execz .LBB4_8760
; %bb.8759:                             ;   in Loop: Header=BB4_8599 Depth=1
	global_wb scope:SCOPE_SYS
	s_wait_loadcnt 0x0
	s_wait_storecnt 0x0
	global_inv scope:SCOPE_SYS
.LBB4_8760:                             ;   in Loop: Header=BB4_8599 Depth=1
	s_or_b32 exec_lo, exec_lo, s10
	s_delay_alu instid0(SALU_CYCLE_1)
	s_mov_b32 s10, exec_lo
	v_cmpx_ne_u32_e32 0, v10
	s_cbranch_execz .LBB4_8597
; %bb.8761:                             ;   in Loop: Header=BB4_8599 Depth=1
	s_and_saveexec_b32 s16, s7
	s_cbranch_execz .LBB4_8596
; %bb.8762:                             ;   in Loop: Header=BB4_8599 Depth=1
	global_wb scope:SCOPE_SYS
	s_wait_loadcnt 0x0
	s_wait_storecnt 0x0
	flat_store_b32 v[52:53], v82 scope:SCOPE_SYS
	s_branch .LBB4_8596
.LBB4_8763:
	s_or_b32 exec_lo, exec_lo, s13
.LBB4_8764:
	s_delay_alu instid0(SALU_CYCLE_1)
	s_or_b32 exec_lo, exec_lo, s12
.LBB4_8765:
	s_delay_alu instid0(SALU_CYCLE_1) | instskip(SKIP_2) | instid1(VALU_DEP_1)
	s_or_b32 exec_lo, exec_lo, s11
	v_and_b32_e32 v0, 0x800, v120
	s_mov_b32 s1, exec_lo
	v_cmpx_eq_u32_e32 0, v0
	s_cbranch_execz .LBB4_8798
; %bb.8766:
	v_and_b32_e32 v0, 48, v120
	s_mov_b32 s0, exec_lo
	s_delay_alu instid0(VALU_DEP_1)
	v_cmpx_ne_u32_e32 0, v0
	s_cbranch_execz .LBB4_8768
; %bb.8767:
	flat_store_b64 v[28:29], v[8:9] offset:104
.LBB4_8768:
	s_wait_xcnt 0x0
	s_or_b32 exec_lo, exec_lo, s0
	v_and_b32_e32 v0, 0x88, v120
	s_mov_b32 s2, exec_lo
	s_delay_alu instid0(VALU_DEP_1)
	v_cmpx_eq_u32_e32 0x88, v0
	s_cbranch_execz .LBB4_8778
; %bb.8769:
	v_add_nc_u32_e32 v0, -1, v8
	s_mov_b32 s3, 0
	s_delay_alu instid0(VALU_DEP_1) | instskip(NEXT) | instid1(VALU_DEP_1)
	v_and_b32_e32 v0, 7, v0
	v_mad_nc_u64_u32 v[4:5], v0, 24, v[6:7]
	v_and_b32_e32 v0, 64, v120
	s_delay_alu instid0(VALU_DEP_1)
	v_cmp_eq_u32_e64 s0, 0, v0
	flat_load_b64 v[6:7], v[4:5] offset:8 scope:SCOPE_SYS
	s_wait_loadcnt_dscnt 0x0
	v_cmp_ne_u64_e32 vcc_lo, -1, v[6:7]
	s_and_b32 s0, vcc_lo, s0
	s_wait_xcnt 0x0
	s_and_b32 exec_lo, exec_lo, s0
	s_cbranch_execz .LBB4_8778
; %bb.8770:
	s_mov_b32 s5, 0
                                        ; implicit-def: $sgpr0
                                        ; implicit-def: $sgpr4
	s_branch .LBB4_8773
.LBB4_8771:                             ;   in Loop: Header=BB4_8773 Depth=1
	flat_load_b64 v[6:7], v[4:5] offset:8 scope:SCOPE_SYS
	s_wait_loadcnt 0x0
	s_and_not1_b32 s4, s4, exec_lo
	s_wait_dscnt 0x0
	v_cmp_eq_u64_e32 vcc_lo, -1, v[6:7]
	s_or_not1_b32 s7, vcc_lo, exec_lo
.LBB4_8772:                             ;   in Loop: Header=BB4_8773 Depth=1
	s_wait_xcnt 0x0
	s_or_b32 exec_lo, exec_lo, s10
	s_delay_alu instid0(SALU_CYCLE_1) | instskip(NEXT) | instid1(SALU_CYCLE_1)
	s_and_b32 s6, exec_lo, s7
	s_or_b32 s3, s6, s3
	s_and_not1_b32 s0, s0, exec_lo
	s_and_b32 s6, s4, exec_lo
	s_delay_alu instid0(SALU_CYCLE_1)
	s_or_b32 s0, s0, s6
	s_and_not1_b32 exec_lo, exec_lo, s3
	s_cbranch_execz .LBB4_8776
.LBB4_8773:                             ; =>This Inner Loop Header: Depth=1
	s_cmp_lt_i32 s5, 0x270f
	s_cselect_b32 s6, -1, 0
	s_delay_alu instid0(SALU_CYCLE_1)
	s_and_b32 vcc_lo, exec_lo, s6
	s_cbranch_vccnz .LBB4_8775
; %bb.8774:                             ;   in Loop: Header=BB4_8773 Depth=1
	s_trap 2
	ds_load_b64 v[6:7], v0
	s_and_not1_b32 s6, s6, exec_lo
	s_mov_b32 s5, 0
	s_wait_storecnt_dscnt 0x0
	flat_load_b32 v0, v[6:7] scope:SCOPE_SYS
	s_wait_loadcnt_dscnt 0x0
	global_inv scope:SCOPE_SYS
	v_cmp_eq_u32_e32 vcc_lo, 0, v0
	s_and_b32 s7, vcc_lo, exec_lo
	s_delay_alu instid0(SALU_CYCLE_1)
	s_or_b32 s6, s6, s7
	s_mov_b32 s7, -1
	s_or_b32 s4, s4, exec_lo
	s_wait_xcnt 0x0
	s_and_saveexec_b32 s10, s6
	s_cbranch_execz .LBB4_8772
	s_branch .LBB4_8771
.LBB4_8775:                             ;   in Loop: Header=BB4_8773 Depth=1
	s_add_co_i32 s5, s5, 1
                                        ; implicit-def: $vgpr0
	s_mov_b32 s7, -1
	s_or_b32 s4, s4, exec_lo
	s_and_saveexec_b32 s10, s6
	s_cbranch_execz .LBB4_8772
	s_branch .LBB4_8771
.LBB4_8776:
	s_or_b32 exec_lo, exec_lo, s3
	s_and_saveexec_b32 s3, s0
	s_delay_alu instid0(SALU_CYCLE_1)
	s_xor_b32 s3, exec_lo, s3
	s_cbranch_execz .LBB4_8778
; %bb.8777:
	s_wait_loadcnt 0x0
	s_wait_storecnt 0x0
	ds_store_b32 v0, v0
	s_trap 2
.LBB4_8778:
	s_or_b32 exec_lo, exec_lo, s2
	v_and_b32_e32 v0, 0x2000, v120
	s_mov_b32 s0, exec_lo
	s_delay_alu instid0(VALU_DEP_1)
	v_cmpx_ne_u32_e32 0, v0
	s_cbranch_execz .LBB4_8780
; %bb.8779:
	s_trap 2
	scratch_load_b64 v[6:7], off, s33 offset:188 th:TH_LOAD_LU ; 8-byte Folded Reload
	ds_load_b64 v[4:5], v0
	s_wait_loadcnt_dscnt 0x0
	flat_store_b64 v[6:7], v[4:5] offset:16
.LBB4_8780:
	s_wait_xcnt 0x0
	s_or_b32 exec_lo, exec_lo, s0
	v_cmp_ne_u32_e32 vcc_lo, 32, v1
	s_and_b32 exec_lo, exec_lo, vcc_lo
	s_cbranch_execz .LBB4_8798
; %bb.8781:
	s_mov_b32 s0, exec_lo
	v_cmpx_ne_u32_e64 v1, v2
	s_xor_b32 s0, exec_lo, s0
	s_cbranch_execz .LBB4_8796
; %bb.8782:
	v_and_b32_e32 v0, 31, v31
	s_mov_b32 s2, exec_lo
	s_delay_alu instid0(VALU_DEP_1)
	v_cmpx_eq_u32_e32 0, v0
	s_cbranch_execz .LBB4_8795
; %bb.8783:
	s_mov_b32 s4, exec_lo
	s_mov_b32 s3, exec_lo
	v_mbcnt_lo_u32_b32 v0, s4, 0
	global_wb scope:SCOPE_DEV
	s_wait_storecnt 0x0
	s_wait_loadcnt_dscnt 0x0
	global_inv scope:SCOPE_DEV
	v_cmpx_eq_u32_e32 0, v0
	s_cbranch_execz .LBB4_8785
; %bb.8784:
	s_bcnt1_i32_b32 s4, s4
	s_delay_alu instid0(SALU_CYCLE_1)
	v_dual_mov_b32 v3, 0 :: v_dual_mov_b32 v2, s4
	s_wait_loadcnt 0x0
	ds_add_u64 v0, v[2:3]
	s_trap 2
.LBB4_8785:
	s_or_b32 exec_lo, exec_lo, s3
	s_trap 2
	ds_load_b64 v[2:3], v0
	s_wait_dscnt 0x0
	v_dual_mov_b32 v1, 0 :: v_dual_lshrrev_b32 v0, 5, v1
	s_mov_b32 s3, exec_lo
	s_delay_alu instid0(VALU_DEP_1) | instskip(NEXT) | instid1(VALU_DEP_1)
	v_add_nc_u64_e32 v[0:1], v[38:39], v[0:1]
	v_cmpx_lt_u64_e64 v[2:3], v[0:1]
	s_cbranch_execz .LBB4_8794
; %bb.8786:
	s_mov_b32 s4, 0
	s_mov_b32 s7, 0
                                        ; implicit-def: $sgpr5
                                        ; implicit-def: $sgpr6
	s_branch .LBB4_8788
.LBB4_8787:                             ;   in Loop: Header=BB4_8788 Depth=1
	s_or_b32 exec_lo, exec_lo, s11
	s_delay_alu instid0(SALU_CYCLE_1) | instskip(NEXT) | instid1(SALU_CYCLE_1)
	s_and_b32 s10, exec_lo, s12
	s_or_b32 s4, s10, s4
	s_and_not1_b32 s5, s5, exec_lo
	s_and_b32 s10, s6, exec_lo
	s_delay_alu instid0(SALU_CYCLE_1)
	s_or_b32 s5, s5, s10
	s_and_not1_b32 exec_lo, exec_lo, s4
	s_cbranch_execz .LBB4_8792
.LBB4_8788:                             ; =>This Inner Loop Header: Depth=1
	s_add_co_i32 s7, s7, 1
	s_delay_alu instid0(SALU_CYCLE_1) | instskip(SKIP_1) | instid1(SALU_CYCLE_1)
	s_cmp_lg_u32 s7, 0x2710
	s_cselect_b32 s10, -1, 0
	s_and_b32 vcc_lo, exec_lo, s10
	s_cbranch_vccz .LBB4_8790
; %bb.8789:                             ;   in Loop: Header=BB4_8788 Depth=1
	s_mov_b32 s12, -1
	s_or_b32 s6, s6, exec_lo
	s_and_saveexec_b32 s11, s10
	s_cbranch_execz .LBB4_8787
	s_branch .LBB4_8791
.LBB4_8790:                             ;   in Loop: Header=BB4_8788 Depth=1
	s_trap 2
	ds_load_b64 v[2:3], v0
	s_and_not1_b32 s10, s10, exec_lo
	s_mov_b32 s7, 0
	s_wait_loadcnt_dscnt 0x0
	flat_load_b32 v2, v[2:3] scope:SCOPE_SYS
	s_wait_loadcnt_dscnt 0x0
	global_inv scope:SCOPE_SYS
	v_cmp_eq_u32_e32 vcc_lo, 0, v2
	s_and_b32 s11, vcc_lo, exec_lo
	s_delay_alu instid0(SALU_CYCLE_1)
	s_or_b32 s10, s10, s11
	s_mov_b32 s12, -1
	s_or_b32 s6, s6, exec_lo
	s_and_saveexec_b32 s11, s10
	s_cbranch_execz .LBB4_8787
.LBB4_8791:                             ;   in Loop: Header=BB4_8788 Depth=1
	s_sleep 1
	s_trap 2
	ds_load_b64 v[2:3], v0
	s_wait_dscnt 0x0
	s_and_not1_b32 s6, s6, exec_lo
	v_cmp_ge_u64_e32 vcc_lo, v[2:3], v[0:1]
	s_or_not1_b32 s12, vcc_lo, exec_lo
	s_branch .LBB4_8787
.LBB4_8792:
	s_or_b32 exec_lo, exec_lo, s4
	s_and_saveexec_b32 s4, s5
	s_delay_alu instid0(SALU_CYCLE_1)
	s_xor_b32 s4, exec_lo, s4
	s_cbranch_execz .LBB4_8794
; %bb.8793:
	v_mov_b32_e32 v0, 1
	ds_store_b32 v0, v0
	s_trap 2
.LBB4_8794:
	s_or_b32 exec_lo, exec_lo, s3
	;;#ASMSTART
	s_wakeup
	;;#ASMEND
.LBB4_8795:
	s_or_b32 exec_lo, exec_lo, s2
.LBB4_8796:
	s_and_not1_saveexec_b32 s0, s0
	s_cbranch_execz .LBB4_8798
; %bb.8797:
	global_wb scope:SCOPE_DEV
	s_wait_storecnt 0x0
	s_wait_loadcnt_dscnt 0x0
	global_inv scope:SCOPE_DEV
	s_barrier_signal -1
	s_barrier_wait -1
.LBB4_8798:
	s_or_b32 exec_lo, exec_lo, s1
.LBB4_8799:
	s_and_not1_saveexec_b32 s21, s20
	s_cbranch_execz .LBB4_8801
; %bb.8800:
	s_get_pc_i64 s[0:1]
	s_add_nc_u64 s[0:1], s[0:1], __PRETTY_FUNCTION__._ZN10PrimitivesI14__hip_fp8_e5m210FuncMinMaxIS0_E12FanSymmetricILi1EELi0E11ProtoSimpleILi1ELi1ELi0ELi2ELi0ELi0EELi0ELb0ELi0ELi0ELi0EEC2EiiPKiS9_PKvPvmhhhP15ncclDevWorkCollP14ncclDevWorkP2pii@rel64+4
	s_get_pc_i64 s[2:3]
	s_add_nc_u64 s[2:3], s[2:3], __assert_fail@rel64+4
	v_dual_mov_b32 v0, s0 :: v_dual_mov_b32 v1, s1
	s_swap_pc_i64 s[30:31], s[2:3]
	; divergent unreachable
.LBB4_8801:
	s_or_b32 exec_lo, exec_lo, s21
	s_clause 0x2e
	scratch_load_b32 v126, off, s33
	scratch_load_b32 v125, off, s33 offset:4
	scratch_load_b32 v124, off, s33 offset:8
	;; [unrolled: 1-line block ×46, first 2 shown]
	v_readlane_b32 s30, v127, 0
	v_readlane_b32 s31, v127, 1
	s_mov_b32 s32, s33
	s_wait_xcnt 0x0
	s_or_saveexec_b32 s0, -1
	scratch_load_b32 v127, off, s33 offset:204 ; 4-byte Folded Reload
	s_wait_xcnt 0x0
	s_mov_b32 exec_lo, s0
	s_mov_b32 s33, s58
	s_wait_loadcnt_dscnt 0x0
	s_set_pc_i64 s[30:31]
.Lfunc_end4:
	.size	_ZN12_GLOBAL__N_17runRingI14__hip_fp8_e5m210FuncMinMaxIS1_E11ProtoSimpleILi1ELi1ELi0ELi2ELi0ELi0EELi0ELi2ELi0EEEviiP15ncclDevWorkColl, .Lfunc_end4-_ZN12_GLOBAL__N_17runRingI14__hip_fp8_e5m210FuncMinMaxIS1_E11ProtoSimpleILi1ELi1ELi0ELi2ELi0ELi0EELi0ELi2ELi0EEEviiP15ncclDevWorkColl
                                        ; -- End function
	.set .L_ZN12_GLOBAL__N_17runRingI14__hip_fp8_e5m210FuncMinMaxIS1_E11ProtoSimpleILi1ELi1ELi0ELi2ELi0ELi0EELi0ELi2ELi0EEEviiP15ncclDevWorkColl.num_vgpr, max(128, .L__assert_fail.num_vgpr)
	.set .L_ZN12_GLOBAL__N_17runRingI14__hip_fp8_e5m210FuncMinMaxIS1_E11ProtoSimpleILi1ELi1ELi0ELi2ELi0ELi0EELi0ELi2ELi0EEEviiP15ncclDevWorkColl.num_agpr, max(0, .L__assert_fail.num_agpr)
	.set .L_ZN12_GLOBAL__N_17runRingI14__hip_fp8_e5m210FuncMinMaxIS1_E11ProtoSimpleILi1ELi1ELi0ELi2ELi0ELi0EELi0ELi2ELi0EEEviiP15ncclDevWorkColl.numbered_sgpr, max(59, .L__assert_fail.numbered_sgpr)
	.set .L_ZN12_GLOBAL__N_17runRingI14__hip_fp8_e5m210FuncMinMaxIS1_E11ProtoSimpleILi1ELi1ELi0ELi2ELi0ELi0EELi0ELi2ELi0EEEviiP15ncclDevWorkColl.num_named_barrier, max(0, .L__assert_fail.num_named_barrier)
	.set .L_ZN12_GLOBAL__N_17runRingI14__hip_fp8_e5m210FuncMinMaxIS1_E11ProtoSimpleILi1ELi1ELi0ELi2ELi0ELi0EELi0ELi2ELi0EEEviiP15ncclDevWorkColl.private_seg_size, 224+max(.L__assert_fail.private_seg_size)
	.set .L_ZN12_GLOBAL__N_17runRingI14__hip_fp8_e5m210FuncMinMaxIS1_E11ProtoSimpleILi1ELi1ELi0ELi2ELi0ELi0EELi0ELi2ELi0EEEviiP15ncclDevWorkColl.uses_vcc, or(1, .L__assert_fail.uses_vcc)
	.set .L_ZN12_GLOBAL__N_17runRingI14__hip_fp8_e5m210FuncMinMaxIS1_E11ProtoSimpleILi1ELi1ELi0ELi2ELi0ELi0EELi0ELi2ELi0EEEviiP15ncclDevWorkColl.uses_flat_scratch, or(1, .L__assert_fail.uses_flat_scratch)
	.set .L_ZN12_GLOBAL__N_17runRingI14__hip_fp8_e5m210FuncMinMaxIS1_E11ProtoSimpleILi1ELi1ELi0ELi2ELi0ELi0EELi0ELi2ELi0EEEviiP15ncclDevWorkColl.has_dyn_sized_stack, or(0, .L__assert_fail.has_dyn_sized_stack)
	.set .L_ZN12_GLOBAL__N_17runRingI14__hip_fp8_e5m210FuncMinMaxIS1_E11ProtoSimpleILi1ELi1ELi0ELi2ELi0ELi0EELi0ELi2ELi0EEEviiP15ncclDevWorkColl.has_recursion, or(1, .L__assert_fail.has_recursion)
	.set .L_ZN12_GLOBAL__N_17runRingI14__hip_fp8_e5m210FuncMinMaxIS1_E11ProtoSimpleILi1ELi1ELi0ELi2ELi0ELi0EELi0ELi2ELi0EEEviiP15ncclDevWorkColl.has_indirect_call, or(0, .L__assert_fail.has_indirect_call)
	.section	.AMDGPU.csdata,"",@progbits
; Function info:
; codeLenInByte = 231824
; TotalNumSgprs: 61
; NumVgprs: 128
; ScratchSize: 288
; MemoryBound: 1
	.text
	.p2align	2                               ; -- Begin function _Z50ncclDevFunc_Reduce_RING_SIMPLE_MinMax_f8e5m2_0_0_2v
	.type	_Z50ncclDevFunc_Reduce_RING_SIMPLE_MinMax_f8e5m2_0_0_2v,@function
_Z50ncclDevFunc_Reduce_RING_SIMPLE_MinMax_f8e5m2_0_0_2v: ; @_Z50ncclDevFunc_Reduce_RING_SIMPLE_MinMax_f8e5m2_0_0_2v
; %bb.0:
	s_wait_loadcnt_dscnt 0x0
	s_wait_kmcnt 0x0
	s_mov_b32 s74, s33
	s_mov_b32 s33, s32
	s_or_saveexec_b32 s0, -1
	scratch_store_b32 off, v42, s33 offset:12 ; 4-byte Folded Spill
	s_wait_xcnt 0x0
	s_mov_b32 exec_lo, s0
	s_add_co_i32 s32, s32, 32
	s_clause 0x2
	scratch_store_b32 off, v40, s33 offset:8
	; meta instruction
	scratch_store_b32 off, v41, s33 offset:4
	; meta instruction
	scratch_store_b32 off, v127, s33
	v_writelane_b32 v42, s30, 0
	v_writelane_b32 v42, s31, 1
	s_trap 2
	ds_load_b32 v0, v0
	s_wait_xcnt 0x2
	v_mov_b32_e32 v40, v31
	s_mov_b32 s59, s12
	s_mov_b64 s[60:61], s[8:9]
	s_mov_b32 s2, exec_lo
	s_wait_xcnt 0x1
	v_and_b32_e32 v41, 0x3ff, v40
	s_wait_dscnt 0x0
	s_wait_xcnt 0x0
	s_delay_alu instid0(VALU_DEP_1)
	v_cmpx_lt_i32_e64 v41, v0
	s_cbranch_execz .LBB5_5
; %bb.1:
	s_load_b32 s0, s[60:61], 0x0
	s_bfe_u32 s1, ttmp6, 0x4000c
	s_and_b32 s3, ttmp6, 15
	s_add_co_i32 s1, s1, 1
	s_getreg_b32 s4, hwreg(HW_REG_IB_STS2, 6, 4)
	s_mul_i32 s1, ttmp9, s1
	v_mov_b32_e32 v2, v41
	s_add_co_i32 s3, s3, s1
	s_cmp_eq_u32 s4, 0
                                        ; implicit-def: $vgpr3
	s_cselect_b32 s1, ttmp9, s3
	s_mov_b32 s3, 0
	s_wait_kmcnt 0x0
	s_cmp_lt_u32 s1, s0
	s_mov_b32 s1, 0
	s_cselect_b32 s0, 12, 18
	s_delay_alu instid0(SALU_CYCLE_1)
	s_add_nc_u64 s[4:5], s[60:61], s[0:1]
	s_load_u16 s0, s[4:5], 0x0
	s_trap 2
	ds_load_b32 v1, v0
	s_wait_dscnt 0x0
	s_wait_kmcnt 0x0
	v_mul_lo_u32 v1, v1, s0
	s_branch .LBB5_3
.LBB5_2:                                ;   in Loop: Header=BB5_3 Depth=1
	s_or_b32 exec_lo, exec_lo, s4
	v_dual_add_nc_u32 v2, s0, v2 :: v_dual_add_nc_u32 v3, v3, v1
	s_delay_alu instid0(VALU_DEP_1) | instskip(SKIP_1) | instid1(SALU_CYCLE_1)
	v_cmp_ge_i32_e32 vcc_lo, v2, v0
	s_or_b32 s3, vcc_lo, s3
	s_and_not1_b32 exec_lo, exec_lo, s3
	s_cbranch_execz .LBB5_5
.LBB5_3:                                ; =>This Inner Loop Header: Depth=1
	ds_load_b32 v4, v3
	s_mov_b32 s4, exec_lo
	s_wait_dscnt 0x0
	v_and_b32_e32 v4, 0x1000000, v4
	s_delay_alu instid0(VALU_DEP_1)
	v_cmpx_ne_u32_e32 0, v4
	s_cbranch_execz .LBB5_2
; %bb.4:                                ;   in Loop: Header=BB5_3 Depth=1
	ds_load_b64 v[4:5], v3 offset:104
	s_wait_dscnt 0x0
	flat_load_u8 v4, v[4:5]
	s_wait_xcnt 0x0
	v_mov_b32_e32 v5, s1
	s_wait_loadcnt_dscnt 0x0
	v_and_b32_e32 v4, 0xffff, v4
	ds_store_b64 v3, v[4:5] offset:104
	s_branch .LBB5_2
.LBB5_5:
	s_or_b32 exec_lo, exec_lo, s2
	s_wait_storecnt_dscnt 0x0
	s_barrier_signal -1
	s_barrier_wait -1
	s_trap 2
	ds_load_b32 v0, v0
	s_wait_dscnt 0x0
	v_cmp_gt_i32_e32 vcc_lo, 1, v0
	s_cbranch_vccnz .LBB5_13
; %bb.6:
	s_mov_b32 s72, 0
	s_get_pc_i64 s[62:63]
	s_add_nc_u64 s[62:63], s[62:63], _ZN12_GLOBAL__N_17runRingI14__hip_fp8_e5m210FuncMinMaxIS1_E11ProtoSimpleILi1ELi1ELi0ELi2ELi0ELi0EELi0ELi2ELi0EEEviiP15ncclDevWorkColl@rel64+4
	s_branch .LBB5_8
.LBB5_7:                                ;   in Loop: Header=BB5_8 Depth=1
	s_or_b32 exec_lo, exec_lo, s73
	s_trap 2
	ds_load_b32 v0, v0
	s_add_co_i32 s72, s72, 1
	s_wait_dscnt 0x0
	v_cmp_lt_i32_e32 vcc_lo, s72, v0
	s_cbranch_vccz .LBB5_13
.LBB5_8:                                ; =>This Inner Loop Header: Depth=1
	s_trap 2
	ds_load_b32 v0, v0
	s_cmp_eq_u32 s72, 0
	s_cbranch_scc1 .LBB5_11
; %bb.9:                                ;   in Loop: Header=BB5_8 Depth=1
	s_trap 2
	s_wait_dscnt 0x0
	ds_load_b32 v1, v0
	s_wait_dscnt 0x0
	v_xor_b32_e32 v1, v1, v0
	s_delay_alu instid0(VALU_DEP_1) | instskip(NEXT) | instid1(VALU_DEP_1)
	v_and_b32_e32 v1, 0xff0000, v1
	v_cmp_eq_u32_e32 vcc_lo, 0, v1
	s_cbranch_vccnz .LBB5_11
; %bb.10:                               ;   in Loop: Header=BB5_8 Depth=1
	s_barrier_signal -1
	s_barrier_wait -1
	ds_load_b32 v0, v0
.LBB5_11:                               ;   in Loop: Header=BB5_8 Depth=1
	s_wait_dscnt 0x0
	v_lshrrev_b32_e32 v0, 11, v0
	s_mov_b32 s73, exec_lo
	s_delay_alu instid0(VALU_DEP_1) | instskip(NEXT) | instid1(VALU_DEP_1)
	v_and_b32_e32 v1, 0x1fe0, v0
	v_cmpx_lt_u32_e64 v41, v1
	s_cbranch_execz .LBB5_7
; %bb.12:                               ;   in Loop: Header=BB5_8 Depth=1
	s_mov_b64 s[0:1], src_shared_base
	v_dual_mov_b32 v31, v40 :: v_dual_mov_b32 v0, v41
	v_mov_b32_e32 v3, s1
	s_mov_b64 s[8:9], s[60:61]
	s_mov_b32 s12, s59
	s_swap_pc_i64 s[30:31], s[62:63]
	s_branch .LBB5_7
.LBB5_13:
	s_clause 0x2
	scratch_load_b32 v127, off, s33
	scratch_load_b32 v41, off, s33 offset:4
	scratch_load_b32 v40, off, s33 offset:8
	v_readlane_b32 s30, v42, 0
	v_readlane_b32 s31, v42, 1
	s_mov_b32 s32, s33
	s_wait_xcnt 0x0
	s_or_saveexec_b32 s0, -1
	scratch_load_b32 v42, off, s33 offset:12 ; 4-byte Folded Reload
	s_wait_xcnt 0x0
	s_mov_b32 exec_lo, s0
	s_mov_b32 s33, s74
	s_wait_loadcnt 0x0
	s_set_pc_i64 s[30:31]
.Lfunc_end5:
	.size	_Z50ncclDevFunc_Reduce_RING_SIMPLE_MinMax_f8e5m2_0_0_2v, .Lfunc_end5-_Z50ncclDevFunc_Reduce_RING_SIMPLE_MinMax_f8e5m2_0_0_2v
                                        ; -- End function
	.set .L_Z50ncclDevFunc_Reduce_RING_SIMPLE_MinMax_f8e5m2_0_0_2v.num_vgpr, max(128, .L_ZN12_GLOBAL__N_17runRingI14__hip_fp8_e5m210FuncMinMaxIS1_E11ProtoSimpleILi1ELi1ELi0ELi2ELi0ELi0EELi0ELi2ELi0EEEviiP15ncclDevWorkColl.num_vgpr)
	.set .L_Z50ncclDevFunc_Reduce_RING_SIMPLE_MinMax_f8e5m2_0_0_2v.num_agpr, max(0, .L_ZN12_GLOBAL__N_17runRingI14__hip_fp8_e5m210FuncMinMaxIS1_E11ProtoSimpleILi1ELi1ELi0ELi2ELi0ELi0EELi0ELi2ELi0EEEviiP15ncclDevWorkColl.num_agpr)
	.set .L_Z50ncclDevFunc_Reduce_RING_SIMPLE_MinMax_f8e5m2_0_0_2v.numbered_sgpr, max(75, .L_ZN12_GLOBAL__N_17runRingI14__hip_fp8_e5m210FuncMinMaxIS1_E11ProtoSimpleILi1ELi1ELi0ELi2ELi0ELi0EELi0ELi2ELi0EEEviiP15ncclDevWorkColl.numbered_sgpr)
	.set .L_Z50ncclDevFunc_Reduce_RING_SIMPLE_MinMax_f8e5m2_0_0_2v.num_named_barrier, max(0, .L_ZN12_GLOBAL__N_17runRingI14__hip_fp8_e5m210FuncMinMaxIS1_E11ProtoSimpleILi1ELi1ELi0ELi2ELi0ELi0EELi0ELi2ELi0EEEviiP15ncclDevWorkColl.num_named_barrier)
	.set .L_Z50ncclDevFunc_Reduce_RING_SIMPLE_MinMax_f8e5m2_0_0_2v.private_seg_size, 32+max(.L_ZN12_GLOBAL__N_17runRingI14__hip_fp8_e5m210FuncMinMaxIS1_E11ProtoSimpleILi1ELi1ELi0ELi2ELi0ELi0EELi0ELi2ELi0EEEviiP15ncclDevWorkColl.private_seg_size)
	.set .L_Z50ncclDevFunc_Reduce_RING_SIMPLE_MinMax_f8e5m2_0_0_2v.uses_vcc, or(1, .L_ZN12_GLOBAL__N_17runRingI14__hip_fp8_e5m210FuncMinMaxIS1_E11ProtoSimpleILi1ELi1ELi0ELi2ELi0ELi0EELi0ELi2ELi0EEEviiP15ncclDevWorkColl.uses_vcc)
	.set .L_Z50ncclDevFunc_Reduce_RING_SIMPLE_MinMax_f8e5m2_0_0_2v.uses_flat_scratch, or(1, .L_ZN12_GLOBAL__N_17runRingI14__hip_fp8_e5m210FuncMinMaxIS1_E11ProtoSimpleILi1ELi1ELi0ELi2ELi0ELi0EELi0ELi2ELi0EEEviiP15ncclDevWorkColl.uses_flat_scratch)
	.set .L_Z50ncclDevFunc_Reduce_RING_SIMPLE_MinMax_f8e5m2_0_0_2v.has_dyn_sized_stack, or(0, .L_ZN12_GLOBAL__N_17runRingI14__hip_fp8_e5m210FuncMinMaxIS1_E11ProtoSimpleILi1ELi1ELi0ELi2ELi0ELi0EELi0ELi2ELi0EEEviiP15ncclDevWorkColl.has_dyn_sized_stack)
	.set .L_Z50ncclDevFunc_Reduce_RING_SIMPLE_MinMax_f8e5m2_0_0_2v.has_recursion, or(1, .L_ZN12_GLOBAL__N_17runRingI14__hip_fp8_e5m210FuncMinMaxIS1_E11ProtoSimpleILi1ELi1ELi0ELi2ELi0ELi0EELi0ELi2ELi0EEEviiP15ncclDevWorkColl.has_recursion)
	.set .L_Z50ncclDevFunc_Reduce_RING_SIMPLE_MinMax_f8e5m2_0_0_2v.has_indirect_call, or(0, .L_ZN12_GLOBAL__N_17runRingI14__hip_fp8_e5m210FuncMinMaxIS1_E11ProtoSimpleILi1ELi1ELi0ELi2ELi0ELi0EELi0ELi2ELi0EEEviiP15ncclDevWorkColl.has_indirect_call)
	.section	.AMDGPU.csdata,"",@progbits
; Function info:
; codeLenInByte = 756
; TotalNumSgprs: 77
; NumVgprs: 128
; ScratchSize: 320
; MemoryBound: 0
	.text
	.p2align	2                               ; -- Begin function _ZN12_GLOBAL__N_17runRingI14__hip_fp8_e5m210FuncMinMaxIS1_E11ProtoSimpleILi1ELi1ELi0ELi4ELi0ELi0EELi0ELi4ELi0EEEviiP15ncclDevWorkColl
	.type	_ZN12_GLOBAL__N_17runRingI14__hip_fp8_e5m210FuncMinMaxIS1_E11ProtoSimpleILi1ELi1ELi0ELi4ELi0ELi0EELi0ELi4ELi0EEEviiP15ncclDevWorkColl,@function
_ZN12_GLOBAL__N_17runRingI14__hip_fp8_e5m210FuncMinMaxIS1_E11ProtoSimpleILi1ELi1ELi0ELi4ELi0ELi0EELi0ELi4ELi0EEEviiP15ncclDevWorkColl: ; @_ZN12_GLOBAL__N_17runRingI14__hip_fp8_e5m210FuncMinMaxIS1_E11ProtoSimpleILi1ELi1ELi0ELi4ELi0ELi0EELi0ELi4ELi0EEEviiP15ncclDevWorkColl
; %bb.0:
	s_wait_loadcnt_dscnt 0x0
	s_wait_kmcnt 0x0
	s_mov_b32 s58, s33
	s_mov_b32 s33, s32
	s_or_saveexec_b32 s0, -1
	scratch_store_b32 off, v127, s33 offset:464 ; 4-byte Folded Spill
	s_wait_xcnt 0x0
	s_mov_b32 exec_lo, s0
	s_addk_co_i32 s32, 0x1e0
	s_clause 0x2e
	scratch_store_b32 off, v40, s33 offset:184
	; meta instruction
	scratch_store_b32 off, v41, s33 offset:180
	; meta instruction
	scratch_store_b32 off, v42, s33 offset:176
	; meta instruction
	scratch_store_b32 off, v43, s33 offset:172
	; meta instruction
	scratch_store_b32 off, v44, s33 offset:168
	; meta instruction
	scratch_store_b32 off, v45, s33 offset:164
	; meta instruction
	scratch_store_b32 off, v46, s33 offset:160
	; meta instruction
	scratch_store_b32 off, v47, s33 offset:156
	; meta instruction
	scratch_store_b32 off, v56, s33 offset:152
	; meta instruction
	scratch_store_b32 off, v57, s33 offset:148
	; meta instruction
	scratch_store_b32 off, v58, s33 offset:144
	; meta instruction
	scratch_store_b32 off, v59, s33 offset:140
	; meta instruction
	scratch_store_b32 off, v60, s33 offset:136
	; meta instruction
	scratch_store_b32 off, v61, s33 offset:132
	; meta instruction
	scratch_store_b32 off, v62, s33 offset:128
	; meta instruction
	scratch_store_b32 off, v63, s33 offset:124
	; meta instruction
	scratch_store_b32 off, v72, s33 offset:120
	; meta instruction
	scratch_store_b32 off, v73, s33 offset:116
	; meta instruction
	scratch_store_b32 off, v74, s33 offset:112
	; meta instruction
	scratch_store_b32 off, v75, s33 offset:108
	; meta instruction
	scratch_store_b32 off, v76, s33 offset:104
	; meta instruction
	scratch_store_b32 off, v77, s33 offset:100
	; meta instruction
	scratch_store_b32 off, v78, s33 offset:96
	; meta instruction
	scratch_store_b32 off, v79, s33 offset:92
	; meta instruction
	scratch_store_b32 off, v88, s33 offset:88
	; meta instruction
	scratch_store_b32 off, v89, s33 offset:84
	; meta instruction
	scratch_store_b32 off, v90, s33 offset:80
	; meta instruction
	scratch_store_b32 off, v91, s33 offset:76
	; meta instruction
	scratch_store_b32 off, v92, s33 offset:72
	; meta instruction
	scratch_store_b32 off, v93, s33 offset:68
	; meta instruction
	scratch_store_b32 off, v94, s33 offset:64
	; meta instruction
	scratch_store_b32 off, v95, s33 offset:60
	; meta instruction
	scratch_store_b32 off, v104, s33 offset:56
	; meta instruction
	scratch_store_b32 off, v105, s33 offset:52
	; meta instruction
	scratch_store_b32 off, v106, s33 offset:48
	; meta instruction
	scratch_store_b32 off, v107, s33 offset:44
	; meta instruction
	scratch_store_b32 off, v108, s33 offset:40
	; meta instruction
	scratch_store_b32 off, v109, s33 offset:36
	; meta instruction
	scratch_store_b32 off, v110, s33 offset:32
	; meta instruction
	scratch_store_b32 off, v111, s33 offset:28
	; meta instruction
	scratch_store_b32 off, v120, s33 offset:24
	; meta instruction
	scratch_store_b32 off, v121, s33 offset:20
	; meta instruction
	scratch_store_b32 off, v122, s33 offset:16
	; meta instruction
	scratch_store_b32 off, v123, s33 offset:12
	; meta instruction
	scratch_store_b32 off, v124, s33 offset:8
	; meta instruction
	scratch_store_b32 off, v125, s33 offset:4
	; meta instruction
	scratch_store_b32 off, v126, s33
	v_writelane_b32 v127, s30, 0
	v_writelane_b32 v127, s31, 1
	v_dual_mov_b32 v103, v31 :: v_dual_mov_b32 v102, v1
	s_trap 2
	flat_load_b64 v[8:9], v[2:3]
	v_mov_b32_e32 v112, v0
	ds_load_b64 v[0:1], v0
                                        ; implicit-def: $vgpr6_vgpr7
                                        ; implicit-def: $vgpr116_vgpr117
                                        ; implicit-def: $vgpr114_vgpr115
	s_wait_dscnt 0x0
	v_readfirstlane_b32 s0, v0
	v_readfirstlane_b32 s1, v1
	ds_load_b32 v10, v0
	flat_load_u16 v5, v[2:3] offset:8
	flat_load_b32 v14, v1, s[0:1] offset:-4 scale_offset
	s_wait_xcnt 0x0
	s_mov_b32 s0, exec_lo
	s_wait_loadcnt 0x2
	v_and_b32_e32 v1, 0xff, v8
	v_mov_b32_e32 v4, v9
	s_wait_dscnt 0x2
	s_delay_alu instid0(VALU_DEP_2)
	v_cmpx_ne_u32_e64 v10, v1
	s_xor_b32 s0, exec_lo, s0
	s_cbranch_execz .LBB6_6
; %bb.1:
	v_bfe_u32 v8, v8, 8, 8
	v_not_b32_e32 v1, v1
	s_mov_b32 s1, exec_lo
                                        ; implicit-def: $vgpr6_vgpr7
                                        ; implicit-def: $vgpr116_vgpr117
                                        ; implicit-def: $vgpr114_vgpr115
	s_delay_alu instid0(VALU_DEP_2)
	v_cmpx_ne_u32_e64 v10, v8
	s_xor_b32 s1, exec_lo, s1
	s_cbranch_execz .LBB6_3
; %bb.2:
	s_clause 0x1
	flat_load_b128 v[6:9], v[2:3] offset:72
	flat_load_b64 v[12:13], v[2:3] offset:96
	v_add_nc_u32_e32 v1, v10, v1
	s_wait_loadcnt_dscnt 0x101
	s_delay_alu instid0(VALU_DEP_1) | instskip(SKIP_1) | instid1(VALU_DEP_2)
	v_mad_nc_u64_u32 v[114:115], v8, v1, v[6:7]
	v_mov_b64_e32 v[116:117], v[8:9]
	v_mad_u32 v6, v9, v1, v115
	v_ashrrev_i32_e32 v1, 31, v1
	s_delay_alu instid0(VALU_DEP_1)
	v_mad_u32 v115, v8, v1, v6
	s_wait_loadcnt_dscnt 0x0
	v_lshrrev_b64 v[6:7], 12, v[12:13]
                                        ; implicit-def: $vgpr8
                                        ; implicit-def: $vgpr1
.LBB6_3:
	s_wait_xcnt 0x0
	s_and_not1_saveexec_b32 s1, s1
	s_cbranch_execz .LBB6_5
; %bb.4:
	s_clause 0x1
	flat_load_b128 v[10:13], v[2:3] offset:72
	flat_load_b128 v[116:119], v[2:3] offset:88
	v_add_nc_u32_e32 v1, v8, v1
	s_wait_loadcnt_dscnt 0x101
	s_delay_alu instid0(VALU_DEP_1) | instskip(NEXT) | instid1(VALU_DEP_1)
	v_mad_nc_u64_u32 v[114:115], v12, v1, v[10:11]
	v_mad_u32 v6, v13, v1, v115
	v_ashrrev_i32_e32 v1, 31, v1
	s_delay_alu instid0(VALU_DEP_1)
	v_mad_u32 v115, v12, v1, v6
	s_wait_loadcnt_dscnt 0x0
	v_lshrrev_b32_e32 v6, 1, v119
.LBB6_5:
	s_wait_xcnt 0x0
	s_or_b32 exec_lo, exec_lo, s1
.LBB6_6:
	s_and_not1_saveexec_b32 s0, s0
	s_cbranch_execz .LBB6_8
; %bb.7:
	s_clause 0x1
	flat_load_b64 v[6:7], v[2:3] offset:96
	flat_load_b64 v[116:117], v[2:3] offset:72
	v_mov_b64_e32 v[114:115], 0
	s_wait_loadcnt_dscnt 0x101
	v_lshlrev_b64_e32 v[6:7], 9, v[6:7]
.LBB6_8:
	s_wait_xcnt 0x0
	s_or_b32 exec_lo, exec_lo, s0
	s_trap 2
	ds_load_b64 v[8:9], v0
	s_mov_b32 s1, 0
	s_mov_b32 s2, exec_lo
	s_wait_dscnt 0x0
	v_cmp_ne_u32_e32 vcc_lo, -1, v8
	v_cndmask_b32_e64 v7, 0, 1, vcc_lo
	v_cmp_ne_u32_e32 vcc_lo, -1, v9
	s_delay_alu instid0(VALU_DEP_2) | instskip(NEXT) | instid1(VALU_DEP_1)
	v_add_co_ci_u32_e64 v15, null, 0, v7, vcc_lo
	v_lshlrev_b32_e32 v1, 1, v15
	s_delay_alu instid0(VALU_DEP_1)
	v_cmpx_le_u32_e64 v1, v102
	s_xor_b32 s20, exec_lo, s2
	s_cbranch_execnz .LBB6_9
; %bb.15090:
	s_add_pc_i64 .LBB6_15073-.Lpost_addpc11
.Lpost_addpc11:
.LBB6_9:
	s_clause 0x1
	flat_load_b128 v[10:13], v[2:3] offset:16
	flat_load_b64 v[8:9], v[2:3] offset:104
	s_trap 2
	s_load_b32 s0, s[8:9], 0x0
	s_bfe_u32 s2, ttmp6, 0x4000c
	s_and_b32 s3, ttmp6, 15
	s_add_co_i32 s2, s2, 1
	s_getreg_b32 s4, hwreg(HW_REG_IB_STS2, 6, 4)
	s_mul_i32 s2, ttmp9, s2
	v_dual_mov_b32 v1, 0 :: v_dual_mov_b32 v58, 4
	s_add_co_i32 s3, s3, s2
	s_cmp_eq_u32 s4, 0
	ds_load_b32 v2, v0
	s_cselect_b32 s2, ttmp9, s3
	s_wait_kmcnt 0x0
	s_cmp_lt_u32 s2, s0
	s_cselect_b32 s0, 12, 18
	s_delay_alu instid0(SALU_CYCLE_1)
	s_add_nc_u64 s[0:1], s[8:9], s[0:1]
	global_load_u16 v1, v1, s[0:1]
	s_wait_xcnt 0x0
	s_mov_b32 s1, exec_lo
	s_wait_dscnt 0x0
	v_readfirstlane_b32 s21, v2
	v_cmpx_ge_u32_e64 v112, v7
	s_cbranch_execz .LBB6_19
; %bb.10:
	v_cmp_ge_u32_e64 s0, v112, v15
                                        ; implicit-def: $vgpr58
	s_and_saveexec_b32 s2, s0
	s_delay_alu instid0(SALU_CYCLE_1)
	s_xor_b32 s0, exec_lo, s2
	s_cbranch_execz .LBB6_16
; %bb.11:
	v_cndmask_b32_e64 v2, 0, 1, vcc_lo
	s_mov_b32 s2, exec_lo
	s_delay_alu instid0(VALU_DEP_1) | instskip(NEXT) | instid1(VALU_DEP_1)
	v_sub_nc_u32_e32 v2, v102, v2
	v_cmpx_ge_u32_e64 v112, v2
	s_xor_b32 s2, exec_lo, s2
; %bb.12:
                                        ; implicit-def: $vgpr15
; %bb.13:
	s_delay_alu instid0(SALU_CYCLE_1)
	s_or_saveexec_b32 s2, s2
	v_mov_b32_e32 v58, 16
	s_xor_b32 exec_lo, exec_lo, s2
; %bb.14:
	v_sub_nc_u32_e32 v2, v102, v15
	s_delay_alu instid0(VALU_DEP_1)
	v_cmp_lt_i32_e32 vcc_lo, v112, v2
	v_cndmask_b32_e64 v58, 32, 0, vcc_lo
; %bb.15:
	s_or_b32 exec_lo, exec_lo, s2
.LBB6_16:
	s_and_not1_saveexec_b32 s0, s0
; %bb.17:
	v_mov_b32_e32 v58, 8
; %bb.18:
	s_or_b32 exec_lo, exec_lo, s0
.LBB6_19:
	s_delay_alu instid0(SALU_CYCLE_1) | instskip(NEXT) | instid1(VALU_DEP_1)
	s_or_b32 exec_lo, exec_lo, s1
	v_dual_mov_b32 v15, -1 :: v_dual_bitop2_b32 v2, 36, v58 bitop3:0x40
	s_delay_alu instid0(VALU_DEP_1)
	v_cmp_ne_u32_e32 vcc_lo, 0, v2
	s_and_saveexec_b32 s0, vcc_lo
	s_cbranch_execz .LBB6_21
; %bb.20:
	s_trap 2
	ds_load_b32 v15, v0
.LBB6_21:
	s_or_b32 exec_lo, exec_lo, s0
	v_and_b32_e32 v2, 24, v58
	s_mov_b32 s1, exec_lo
	s_delay_alu instid0(VALU_DEP_1)
	v_cmpx_ne_u32_e32 0, v2
	s_cbranch_execz .LBB6_23
; %bb.22:
	s_trap 2
	s_wait_dscnt 0x0
	ds_load_b32 v15, v0
.LBB6_23:
	s_or_b32 exec_lo, exec_lo, s1
	s_wait_loadcnt 0x4
	v_lshrrev_b64 v[2:3], 31, v[4:5]
	v_mov_b64_e32 v[72:73], 0
	v_mov_b64_e32 v[60:61], 0
                                        ; implicit-def: $vgpr44
                                        ; implicit-def: $vgpr46_vgpr47
	s_delay_alu instid0(VALU_DEP_3) | instskip(NEXT) | instid1(VALU_DEP_1)
	v_and_b32_e32 v2, 3, v2
	v_and_b32_e32 v5, 0xffff, v2
                                        ; implicit-def: $vgpr2_vgpr3
                                        ; kill: killed $vgpr2_vgpr3
                                        ; implicit-def: $vgpr2_vgpr3
                                        ; kill: killed $vgpr2_vgpr3
	;; [unrolled: 2-line block ×3, first 2 shown]
	s_and_saveexec_b32 s0, vcc_lo
	s_cbranch_execz .LBB6_33
; %bb.24:
	s_trap 2
	ds_load_b64 v[2:3], v0
	s_wait_dscnt 0x0
	v_readfirstlane_b32 s2, v2
	v_readfirstlane_b32 s3, v3
	flat_load_b64 v[2:3], v15, s[2:3] scale_offset
	s_wait_loadcnt_dscnt 0x0
	v_mad_nc_u64_u32 v[2:3], 0xa8, v5, v[2:3]
	flat_load_b32 v16, v[2:3] offset:640
	s_wait_loadcnt_dscnt 0x0
	v_cmp_eq_u32_e32 vcc_lo, 1, v16
                                        ; implicit-def: $vgpr16_vgpr17
                                        ; kill: killed $vgpr16_vgpr17
	s_wait_xcnt 0x0
	s_and_saveexec_b32 s1, vcc_lo
	s_cbranch_execz .LBB6_26
; %bb.25:
	flat_load_b64 v[18:19], v[2:3] offset:648
	v_or_b32_e32 v58, 0x2000, v58
	s_wait_loadcnt_dscnt 0x0
	flat_load_b64 v[16:17], v[18:19]
	s_trap 2
	scratch_store_b64 off, v[18:19], s33 offset:368 ; 8-byte Folded Spill
	s_wait_loadcnt_dscnt 0x0
	ds_store_b64 v0, v[16:17]
	flat_load_b64 v[16:17], v[18:19] offset:8
	s_wait_loadcnt_dscnt 0x0
	ds_store_b64 v0, v[16:17]
	flat_load_b64 v[16:17], v[18:19] offset:16
	s_wait_loadcnt_dscnt 0x0
	ds_store_b64 v0, v[16:17]
.LBB6_26:
	s_wait_xcnt 0x0
	s_or_b32 exec_lo, exec_lo, s1
	flat_load_b64 v[62:63], v[2:3] offset:608
	v_and_b32_e32 v16, 32, v58
	s_mov_b32 s1, exec_lo
                                        ; implicit-def: $vgpr46_vgpr47
	s_wait_xcnt 0x0
	s_delay_alu instid0(VALU_DEP_1)
	v_cmpx_ne_u32_e32 0, v16
	s_cbranch_execz .LBB6_28
; %bb.27:
	flat_load_b64 v[46:47], v[2:3] offset:560
	global_wb scope:SCOPE_SYS
	s_wait_storecnt 0x0
	s_wait_xcnt 0x0
	s_wait_loadcnt_dscnt 0x0
	flat_store_b64 v[46:47], v[62:63] scope:SCOPE_SYS
.LBB6_28:
	s_wait_xcnt 0x0
	s_or_b32 exec_lo, exec_lo, s1
	v_and_b32_e32 v16, 4, v58
	v_add_nc_u64_e32 v[72:73], 0x1f8, v[2:3]
	v_mov_b64_e32 v[60:61], 0
                                        ; implicit-def: $vgpr44
	s_delay_alu instid0(VALU_DEP_3)
	v_cmp_ne_u32_e32 vcc_lo, 0, v16
                                        ; implicit-def: $vgpr16_vgpr17
                                        ; kill: killed $vgpr16_vgpr17
                                        ; implicit-def: $vgpr16_vgpr17
                                        ; kill: killed $vgpr16_vgpr17
	s_and_saveexec_b32 s1, vcc_lo
	s_cbranch_execz .LBB6_32
; %bb.29:
	v_and_b32_e32 v16, 0x800, v58
	s_mov_b32 s2, exec_lo
	s_delay_alu instid0(VALU_DEP_1)
	v_cmpx_eq_u32_e32 0, v16
	s_cbranch_execz .LBB6_31
; %bb.30:
	s_trap 2
	ds_store_b64 v0, v[72:73]
.LBB6_31:
	s_or_b32 exec_lo, exec_lo, s2
	flat_load_b64 v[46:47], v[2:3] offset:552
                                        ; kill: killed $vgpr2_vgpr3
	s_wait_loadcnt_dscnt 0x0
	flat_load_b64 v[16:17], v[46:47] scope:SCOPE_SYS
	s_wait_loadcnt_dscnt 0x0
	scratch_store_b64 off, v[16:17], s33 offset:188 ; 8-byte Folded Spill
	s_clause 0x2
	flat_load_b64 v[60:61], v[2:3] offset:600
	flat_load_b32 v44, v[2:3] offset:576
	flat_load_b64 v[16:17], v[2:3] offset:520
	s_wait_xcnt 0x0
	v_or_b32_e32 v2, 0x100, v58
	s_wait_loadcnt_dscnt 0x202
	v_cmp_eq_u64_e32 vcc_lo, 0, v[60:61]
	s_wait_loadcnt_dscnt 0x0
	scratch_store_b64 off, v[16:17], s33 offset:268 ; 8-byte Folded Spill
	v_cndmask_b32_e32 v58, v2, v58, vcc_lo
.LBB6_32:
	s_wait_xcnt 0x0
	s_or_b32 exec_lo, exec_lo, s1
.LBB6_33:
	s_delay_alu instid0(SALU_CYCLE_1) | instskip(NEXT) | instid1(VALU_DEP_1)
	s_or_b32 exec_lo, exec_lo, s0
	v_and_b32_e32 v2, 24, v58
	s_mov_b32 s0, exec_lo
                                        ; implicit-def: $vgpr74_vgpr75
	s_delay_alu instid0(VALU_DEP_1)
	v_cmpx_ne_u32_e32 0, v2
	s_cbranch_execz .LBB6_41
; %bb.34:
	s_trap 2
	ds_load_b64 v[2:3], v0
	s_mov_b32 s1, exec_lo
                                        ; implicit-def: $vgpr74_vgpr75
	s_wait_dscnt 0x0
	v_readfirstlane_b32 s2, v2
	v_readfirstlane_b32 s3, v3
	flat_load_b64 v[2:3], v15, s[2:3] scale_offset
	s_wait_loadcnt_dscnt 0x0
	v_mad_nc_u64_u32 v[72:73], 0xa8, v5, v[2:3]
	v_or_b32_e32 v2, 0x100, v58
	flat_load_b128 v[60:63], v[72:73] offset:96
	s_wait_loadcnt_dscnt 0x0
	v_cmp_eq_u64_e32 vcc_lo, 0, v[60:61]
	v_cndmask_b32_e32 v58, v2, v58, vcc_lo
	s_delay_alu instid0(VALU_DEP_1) | instskip(SKIP_1) | instid1(VALU_DEP_1)
	v_and_b32_e32 v2, 16, v58
	s_wait_xcnt 0x0
	v_cmpx_ne_u32_e32 0, v2
	s_cbranch_execz .LBB6_36
; %bb.35:
	s_clause 0x2
	flat_load_b64 v[46:47], v[72:73] offset:48
	flat_load_b64 v[74:75], v[72:73] offset:120
	;; [unrolled: 1-line block ×3, first 2 shown]
	s_wait_loadcnt_dscnt 0x0
	scratch_store_b64 off, v[2:3], s33 offset:268 ; 8-byte Folded Spill
.LBB6_36:
	s_wait_xcnt 0x0
	s_or_b32 exec_lo, exec_lo, s1
	v_and_b32_e32 v2, 8, v58
	s_mov_b32 s1, exec_lo
	s_delay_alu instid0(VALU_DEP_1)
	v_cmpx_ne_u32_e32 0, v2
	s_cbranch_execz .LBB6_40
; %bb.37:
	v_and_b32_e32 v2, 0x800, v58
	s_mov_b32 s2, exec_lo
	s_delay_alu instid0(VALU_DEP_1)
	v_cmpx_eq_u32_e32 0, v2
	s_cbranch_execz .LBB6_39
; %bb.38:
	s_trap 2
	ds_store_b64 v0, v[72:73]
.LBB6_39:
	s_or_b32 exec_lo, exec_lo, s2
	flat_load_b64 v[46:47], v[72:73] offset:56
	s_wait_loadcnt_dscnt 0x0
	flat_load_b64 v[2:3], v[46:47] scope:SCOPE_SYS
	s_wait_loadcnt_dscnt 0x0
	scratch_store_b64 off, v[2:3], s33 offset:188 ; 8-byte Folded Spill
	s_clause 0x1
	flat_load_b32 v44, v[72:73] offset:72
	flat_load_b64 v[2:3], v[72:73] offset:16
	s_wait_loadcnt_dscnt 0x0
	scratch_store_b64 off, v[2:3], s33 offset:268 ; 8-byte Folded Spill
.LBB6_40:
	s_wait_xcnt 0x0
	s_or_b32 exec_lo, exec_lo, s1
.LBB6_41:
	s_delay_alu instid0(SALU_CYCLE_1)
	s_or_b32 exec_lo, exec_lo, s0
	v_cmp_eq_u32_e64 s0, 0, v112
	s_and_saveexec_b32 s1, s0
	s_cbranch_execz .LBB6_43
; %bb.42:
	s_wait_loadcnt 0x2
	v_dual_mov_b32 v2, v12 :: v_dual_mov_b32 v3, v13
	v_mov_b64_e32 v[12:13], 0
	ds_store_2addr_b64 v0, v[2:3], v[10:11] offset1:1
	s_trap 2
	ds_store_b64 v0, v[12:13]
	s_wait_loadcnt 0x1
	ds_store_b64 v0, v[8:9]
.LBB6_43:
	s_or_b32 exec_lo, exec_lo, s1
	v_bfe_u32 v2, v4, 1, 30
	v_and_b32_e32 v4, 0x3ffffe00, v6
	v_mov_b32_e32 v5, 0
	s_wait_loadcnt 0x0
	v_and_b32_e32 v59, 0xffff, v1
	s_mov_b32 s1, exec_lo
	scratch_store_b64 off, v[4:5], s33 offset:204 ; 8-byte Folded Spill
                                        ; implicit-def: $vgpr4_vgpr5
                                        ; kill: killed $vgpr4_vgpr5
	s_wait_xcnt 0x0
	v_cmpx_ne_u32_e64 v14, v2
	s_xor_b32 s22, exec_lo, s1
	s_cbranch_execnz .LBB6_44
; %bb.15092:
	s_add_pc_i64 .LBB6_14867-.Lpost_addpc12
.Lpost_addpc12:
.LBB6_44:
	v_cmp_ne_u32_e32 vcc_lo, v0, v2
                                        ; implicit-def: $vgpr0_vgpr1
                                        ; kill: killed $vgpr0_vgpr1
	s_and_saveexec_b32 s1, vcc_lo
	s_delay_alu instid0(SALU_CYCLE_1)
	s_xor_b32 s23, exec_lo, s1
	s_cbranch_execnz .LBB6_45
; %bb.15094:
	s_add_pc_i64 .LBB6_7462-.Lpost_addpc13
.Lpost_addpc13:
.LBB6_45:
	v_mov_b64_e32 v[0:1], 0
	s_mov_b32 s24, exec_lo
	scratch_store_b64 off, v[0:1], s33 offset:196 ; 8-byte Folded Spill
	s_wait_xcnt 0x0
	v_cmpx_ne_u64_e32 0, v[116:117]
	s_cbranch_execnz .LBB6_46
; %bb.15096:
	s_add_pc_i64 .LBB6_7461-.Lpost_addpc14
.Lpost_addpc14:
.LBB6_46:
	v_dual_ashrrev_i32 v45, 31, v44 :: v_dual_bitop2_b32 v0, 31, v103 bitop3:0x40
	v_dual_mov_b32 v25, 0 :: v_dual_lshrrev_b32 v76, 5, v112
	v_dual_lshrrev_b32 v2, 5, v102 :: v_dual_bitop2_b32 v1, 31, v112 bitop3:0x40
	s_delay_alu instid0(VALU_DEP_3) | instskip(NEXT) | instid1(VALU_DEP_3)
	v_cmp_eq_u32_e64 s4, 0, v0
	v_dual_mov_b32 v3, v25 :: v_dual_lshlrev_b32 v0, 11, v76
	s_delay_alu instid0(VALU_DEP_3)
	v_cmp_le_u32_e64 s5, v1, v7
	v_cmp_lt_u32_e64 s6, v1, v7
	scratch_store_b32 off, v1, s33 offset:452 ; 4-byte Folded Spill
	v_lshl_or_b32 v0, v1, 4, v0
	s_wait_xcnt 0x0
	v_dual_mov_b32 v1, v25 :: v_dual_lshlrev_b32 v78, 11, v2
	v_dual_mov_b32 v89, v25 :: v_dual_mov_b32 v79, v25
	v_lshlrev_b32_e32 v88, 9, v2
	scratch_store_b64 off, v[0:1], s33 offset:456 ; 8-byte Folded Spill
	s_wait_xcnt 0x0
	v_lshlrev_b32_e32 v0, 10, v2
	s_ashr_i32 s2, s21, 31
	v_cmp_eq_u32_e32 vcc_lo, 32, v102
	s_lshr_b32 s2, s2, 24
	v_cmp_eq_u64_e64 s7, 0, v[74:75]
	scratch_store_b64 off, v[0:1], s33 offset:276 ; 8-byte Folded Spill
	s_wait_xcnt 0x0
	v_mov_b64_e32 v[0:1], 0
	scratch_store_b64 off, v[2:3], s33 offset:212 ; 8-byte Folded Spill
	s_add_co_i32 s2, s21, s2
	v_mov_b64_e32 v[94:95], 0
	v_cmp_ge_u32_e64 s1, v112, v102
	s_ashr_i32 s25, s2, 8
	v_cmp_ne_u32_e64 s2, 32, v102
	scratch_store_b64 off, v[0:1], s33 offset:196 ; 8-byte Folded Spill
	s_trap 2
	s_clause 0x3
	scratch_store_b32 off, v112, s33 offset:324
	scratch_store_b64 off, v[114:115], s33 offset:328
	scratch_store_b64 off, v[46:47], s33 offset:336
	scratch_load_b64 v[2:3], off, s33 offset:204
	v_cmp_ne_u32_e64 s3, v102, v59
	v_and_b32_e32 v90, 0x1fe0, v102
	v_dual_mov_b32 v91, v25 :: v_dual_mov_b32 v77, 1
	v_mov_b32_e32 v92, 0x90
	v_mov_b32_e32 v93, 0x7c
	s_mov_b64 s[16:17], 0xffffffffffffff
	s_mov_b64 s[18:19], 0x100000000000000
	s_mov_b32 s26, 0
	s_xor_b32 s27, vcc_lo, -1
	s_brev_b32 s28, 28
	s_clause 0xa
	scratch_store_b32 off, v102, s33 offset:348
	scratch_store_b32 off, v103, s33 offset:352
	scratch_store_b128 off, v[116:119], s33 offset:300
	scratch_store_b64 off, v[72:73], s33 offset:356
	scratch_store_b32 off, v59, s33 offset:364
	scratch_store_b64 off, v[44:45], s33 offset:316
	scratch_store_b64 off, v[74:75], s33 offset:416
	scratch_store_b32 off, v76, s33 offset:424
	scratch_store_b64 off, v[78:79], s33 offset:428
	scratch_store_b64 off, v[88:89], s33 offset:436
	;; [unrolled: 1-line block ×3, first 2 shown]
	s_branch .LBB6_49
.LBB6_47:                               ;   in Loop: Header=BB6_49 Depth=1
	s_wait_xcnt 0x0
	s_or_b32 exec_lo, exec_lo, s10
.LBB6_48:                               ;   in Loop: Header=BB6_49 Depth=1
	s_delay_alu instid0(SALU_CYCLE_1) | instskip(SKIP_3) | instid1(VALU_DEP_1)
	s_or_b32 exec_lo, exec_lo, s11
	scratch_load_b64 v[2:3], off, s33 offset:204 ; 8-byte Folded Reload
	s_wait_loadcnt 0x0
	v_add_nc_u64_e32 v[94:95], v[94:95], v[2:3]
	v_cmp_ge_u64_e32 vcc_lo, v[94:95], v[116:117]
	s_or_b32 s26, vcc_lo, s26
	s_wait_xcnt 0x0
	s_and_not1_b32 exec_lo, exec_lo, s26
	s_cbranch_execnz .LBB6_49
; %bb.15098:
	s_add_pc_i64 .LBB6_7460-.Lpost_addpc15
.Lpost_addpc15:
.LBB6_49:                               ; =>This Loop Header: Depth=1
                                        ;     Child Loop BB6_58 Depth 2
                                        ;     Child Loop BB6_86 Depth 2
	;; [unrolled: 1-line block ×10, first 2 shown]
	s_wait_xcnt 0xf
	v_sub_nc_u64_e32 v[0:1], v[116:117], v[94:95]
	s_wait_loadcnt 0x0
	s_delay_alu instid0(VALU_DEP_1) | instskip(NEXT) | instid1(VALU_DEP_1)
	v_min_u64 v[106:107], v[2:3], v[0:1]
	v_add_nc_u32_e32 v0, 15, v106
	s_delay_alu instid0(VALU_DEP_2) | instskip(NEXT) | instid1(VALU_DEP_2)
	v_cmp_eq_u64_e32 vcc_lo, 0, v[106:107]
	v_and_b32_e32 v0, 0x7ffffff0, v0
	s_or_b32 s29, s1, vcc_lo
	s_delay_alu instid0(SALU_CYCLE_1) | instskip(NEXT) | instid1(VALU_DEP_1)
	s_xor_b32 s10, s29, -1
	v_dual_mov_b32 v0, v25 :: v_dual_max_i32 v108, s25, v0
	s_wait_xcnt 0x0
	s_and_saveexec_b32 s40, s10
	s_cbranch_execnz .LBB6_50
; %bb.15100:                            ;   in Loop: Header=BB6_49 Depth=1
	s_add_pc_i64 .LBB6_7408-.Lpost_addpc16
.Lpost_addpc16:
.LBB6_50:                               ;   in Loop: Header=BB6_49 Depth=1
	s_and_saveexec_b32 s10, s0
	s_cbranch_execz .LBB6_52
; %bb.51:                               ;   in Loop: Header=BB6_49 Depth=1
	s_trap 2
	ds_load_b64 v[0:1], v0
	v_mov_b64_e32 v[2:3], 0
	s_wait_dscnt 0x0
	v_add_nc_u64_e32 v[0:1], v[0:1], v[114:115]
	s_delay_alu instid0(VALU_DEP_1)
	v_add_nc_u64_e32 v[0:1], v[0:1], v[94:95]
	ds_store_b64 v0, v[0:1]
	ds_store_b64 v0, v[2:3]
.LBB6_52:                               ;   in Loop: Header=BB6_49 Depth=1
	s_or_b32 exec_lo, exec_lo, s10
	v_and_b32_e32 v0, 12, v58
	v_min_u32_e32 v108, v108, v106
	s_mov_b32 s11, exec_lo
	s_delay_alu instid0(VALU_DEP_2)
	v_cmpx_ne_u32_e32 0, v0
	s_cbranch_execz .LBB6_78
; %bb.53:                               ;   in Loop: Header=BB6_49 Depth=1
	scratch_load_b64 v[0:1], off, s33 offset:188 ; 8-byte Folded Reload
	v_and_b32_e32 v24, 8, v58
	s_mov_b32 s12, exec_lo
	s_wait_loadcnt 0x0
	s_delay_alu instid0(VALU_DEP_1) | instskip(SKIP_3) | instid1(VALU_DEP_1)
	v_add_nc_u64_e32 v[2:3], v[0:1], v[24:25]
	s_wait_dscnt 0x0
	v_add_nc_u64_e32 v[0:1], 1, v[62:63]
	s_wait_xcnt 0x0
	v_cmpx_lt_u64_e64 v[2:3], v[0:1]
	s_cbranch_execz .LBB6_65
; %bb.54:                               ;   in Loop: Header=BB6_49 Depth=1
	v_and_b32_e32 v2, 64, v58
	s_mov_b32 s13, 0
	s_mov_b32 s42, 0
                                        ; implicit-def: $sgpr14
                                        ; implicit-def: $sgpr15
                                        ; implicit-def: $sgpr41
	s_delay_alu instid0(VALU_DEP_1)
	v_cmp_eq_u32_e32 vcc_lo, 0, v2
	s_branch .LBB6_58
.LBB6_55:                               ;   in Loop: Header=BB6_58 Depth=2
	scratch_load_b64 v[4:5], off, s33 offset:188 ; 8-byte Folded Reload
	s_or_b32 s45, s45, exec_lo
	s_wait_loadcnt 0x0
	v_add_nc_u64_e32 v[4:5], v[4:5], v[24:25]
	s_delay_alu instid0(VALU_DEP_1)
	v_cmp_ge_u64_e64 s10, v[4:5], v[0:1]
	s_or_not1_b32 s44, s10, exec_lo
.LBB6_56:                               ;   in Loop: Header=BB6_58 Depth=2
	s_wait_xcnt 0x0
	s_or_b32 exec_lo, exec_lo, s47
	s_delay_alu instid0(SALU_CYCLE_1)
	s_and_not1_b32 s10, s41, exec_lo
	s_and_b32 s41, s45, exec_lo
	s_and_not1_b32 s15, s15, exec_lo
	s_and_b32 s44, s44, exec_lo
	s_or_b32 s41, s10, s41
	s_or_b32 s15, s15, s44
.LBB6_57:                               ;   in Loop: Header=BB6_58 Depth=2
	s_or_b32 exec_lo, exec_lo, s43
	s_delay_alu instid0(SALU_CYCLE_1) | instskip(NEXT) | instid1(SALU_CYCLE_1)
	s_and_b32 s10, exec_lo, s15
	s_or_b32 s13, s10, s13
	s_and_not1_b32 s10, s14, exec_lo
	s_and_b32 s14, s41, exec_lo
	s_delay_alu instid0(SALU_CYCLE_1)
	s_or_b32 s14, s10, s14
	s_and_not1_b32 exec_lo, exec_lo, s13
	s_cbranch_execz .LBB6_62
.LBB6_58:                               ;   Parent Loop BB6_49 Depth=1
                                        ; =>  This Inner Loop Header: Depth=2
	s_sleep 1
	flat_load_b64 v[2:3], v[46:47] scope:SCOPE_SYS
	s_or_b32 s41, s41, exec_lo
	s_or_b32 s15, s15, exec_lo
	s_wait_loadcnt_dscnt 0x0
	scratch_store_b64 off, v[2:3], s33 offset:188 ; 8-byte Folded Spill
                                        ; implicit-def: $vgpr2
	s_wait_xcnt 0x0
	s_and_saveexec_b32 s43, vcc_lo
	s_cbranch_execz .LBB6_57
; %bb.59:                               ;   in Loop: Header=BB6_58 Depth=2
	s_cmp_lt_i32 s42, 0x270f
	s_mov_b32 s44, -1
	s_cselect_b32 s46, -1, 0
	s_cmp_gt_i32 s42, 0x270e
	s_cbranch_scc0 .LBB6_61
; %bb.60:                               ;   in Loop: Header=BB6_58 Depth=2
	s_trap 2
	ds_load_b64 v[2:3], v0
	s_and_not1_b32 s42, s46, exec_lo
	s_mov_b32 s45, 0
	s_wait_storecnt_dscnt 0x0
	flat_load_b32 v2, v[2:3] scope:SCOPE_SYS
	s_wait_loadcnt_dscnt 0x0
	global_inv scope:SCOPE_SYS
	v_cmp_eq_u32_e64 s10, 0, v2
	s_and_b32 s10, s10, exec_lo
	s_delay_alu instid0(SALU_CYCLE_1)
	s_or_b32 s46, s42, s10
	s_mov_b32 s42, 0
	s_wait_xcnt 0x0
	s_and_saveexec_b32 s47, s46
	s_cbranch_execz .LBB6_56
	s_branch .LBB6_55
.LBB6_61:                               ;   in Loop: Header=BB6_58 Depth=2
	s_add_co_i32 s42, s42, 1
	s_mov_b32 s45, -1
                                        ; implicit-def: $vgpr2
	s_and_saveexec_b32 s47, s46
	s_cbranch_execz .LBB6_56
	s_branch .LBB6_55
.LBB6_62:                               ;   in Loop: Header=BB6_49 Depth=1
	s_or_b32 exec_lo, exec_lo, s13
	s_xor_b32 s10, s14, -1
	s_delay_alu instid0(SALU_CYCLE_1) | instskip(NEXT) | instid1(SALU_CYCLE_1)
	s_and_saveexec_b32 s13, s10
	s_xor_b32 s10, exec_lo, s13
	s_cbranch_execz .LBB6_64
; %bb.63:                               ;   in Loop: Header=BB6_49 Depth=1
	v_or_b32_e32 v58, 64, v58
	s_wait_loadcnt 0x0
	s_wait_storecnt 0x0
	ds_store_b32 v0, v2
	s_trap 2
.LBB6_64:                               ;   in Loop: Header=BB6_49 Depth=1
	s_or_b32 exec_lo, exec_lo, s10
.LBB6_65:                               ;   in Loop: Header=BB6_49 Depth=1
	s_delay_alu instid0(SALU_CYCLE_1) | instskip(SKIP_2) | instid1(VALU_DEP_1)
	s_or_b32 exec_lo, exec_lo, s12
	v_and_b32_e32 v2, 0x108, v58
	;;#ASMSTART
	s_wakeup
	;;#ASMEND
	v_cmp_ne_u32_e32 vcc_lo, 0x108, v2
	v_and_b32_e32 v2, 7, v62
	s_and_saveexec_b32 s10, vcc_lo
	s_delay_alu instid0(SALU_CYCLE_1)
	s_xor_b32 s10, exec_lo, s10
; %bb.66:                               ;   in Loop: Header=BB6_49 Depth=1
	v_mov_b32_e32 v3, v25
; %bb.67:                               ;   in Loop: Header=BB6_49 Depth=1
	s_and_not1_saveexec_b32 s10, s10
	s_cbranch_execz .LBB6_69
; %bb.68:                               ;   in Loop: Header=BB6_49 Depth=1
	v_mad_nc_u64_u32 v[4:5], v2, 24, v[60:61]
	v_dual_mov_b32 v109, v25 :: v_dual_mov_b32 v3, v25
	flat_store_b64 v[4:5], v[108:109] offset:8
.LBB6_69:                               ;   in Loop: Header=BB6_49 Depth=1
	s_wait_xcnt 0x0
	s_or_b32 exec_lo, exec_lo, s10
	v_and_b32_e32 v4, 0x100, v58
	s_mov_b32 s10, -1
	s_delay_alu instid0(VALU_DEP_1)
	v_cmp_ne_u32_e32 vcc_lo, 0, v4
                                        ; implicit-def: $vgpr4_vgpr5
	s_and_saveexec_b32 s12, vcc_lo
	s_cbranch_execz .LBB6_73
; %bb.70:                               ;   in Loop: Header=BB6_49 Depth=1
	v_mad_nc_u64_u32 v[6:7], v2, 24, v[60:61]
	s_delay_alu instid0(VALU_DEP_1)
	v_mad_u32 v7, v3, 24, v7
	flat_load_b32 v4, v[6:7]
	s_wait_loadcnt_dscnt 0x0
	v_cmp_eq_u32_e64 s10, 1, v4
	v_cmp_ne_u32_e32 vcc_lo, 1, v4
                                        ; implicit-def: $vgpr4_vgpr5
	s_wait_xcnt 0x0
	s_and_saveexec_b32 s13, s10
	s_cbranch_execz .LBB6_72
; %bb.71:                               ;   in Loop: Header=BB6_49 Depth=1
	flat_load_b32 v4, v[6:7] offset:4 scope:SCOPE_SYS
	s_wait_loadcnt_dscnt 0x0
	v_ashrrev_i32_e32 v5, 31, v4
.LBB6_72:                               ;   in Loop: Header=BB6_49 Depth=1
	s_wait_xcnt 0x0
	s_or_b32 exec_lo, exec_lo, s13
	s_delay_alu instid0(SALU_CYCLE_1)
	s_or_not1_b32 s10, vcc_lo, exec_lo
.LBB6_73:                               ;   in Loop: Header=BB6_49 Depth=1
	s_or_b32 exec_lo, exec_lo, s12
	s_and_saveexec_b32 s12, s10
; %bb.74:                               ;   in Loop: Header=BB6_49 Depth=1
	v_mul_u64_e32 v[4:5], v[2:3], v[44:45]
; %bb.75:                               ;   in Loop: Header=BB6_49 Depth=1
	s_or_b32 exec_lo, exec_lo, s12
	scratch_load_b64 v[2:3], off, s33 offset:268 ; 8-byte Folded Reload
	v_cmp_eq_u32_e32 vcc_lo, 0, v24
	v_and_b32_e32 v7, 0x2000, v58
	s_mov_b32 s10, exec_lo
	v_cndmask_b32_e32 v6, 0xc8, v92, vcc_lo
	s_wait_loadcnt 0x0
	v_add_nc_u64_e32 v[2:3], v[2:3], v[4:5]
	s_delay_alu instid0(VALU_DEP_2)
	v_add_nc_u32_e32 v4, v0, v6
	ds_store_b64 v4, v[2:3] offset:584
	s_wait_xcnt 0x0
	v_cmpx_ne_u32_e32 0, v7
	s_cbranch_execz .LBB6_77
; %bb.76:                               ;   in Loop: Header=BB6_49 Depth=1
	ds_load_b64 v[2:3], v0 offset:872
	s_wait_dscnt 0x0
	v_add_nc_u64_e32 v[2:3], 1, v[2:3]
	ds_store_b64 v0, v[2:3] offset:872
.LBB6_77:                               ;   in Loop: Header=BB6_49 Depth=1
	s_or_b32 exec_lo, exec_lo, s10
	v_mov_b64_e32 v[62:63], v[0:1]
.LBB6_78:                               ;   in Loop: Header=BB6_49 Depth=1
	s_or_b32 exec_lo, exec_lo, s11
	s_and_saveexec_b32 s10, s2
	s_cbranch_execz .LBB6_97
; %bb.79:                               ;   in Loop: Header=BB6_49 Depth=1
	s_and_saveexec_b32 s11, s3
	s_delay_alu instid0(SALU_CYCLE_1)
	s_xor_b32 s11, exec_lo, s11
	s_cbranch_execz .LBB6_94
; %bb.80:                               ;   in Loop: Header=BB6_49 Depth=1
	s_and_saveexec_b32 s12, s4
	s_cbranch_execz .LBB6_93
; %bb.81:                               ;   in Loop: Header=BB6_49 Depth=1
	s_mov_b32 s14, exec_lo
	s_mov_b32 s13, exec_lo
	v_mbcnt_lo_u32_b32 v0, s14, 0
	global_wb scope:SCOPE_DEV
	s_wait_storecnt_dscnt 0x0
	global_inv scope:SCOPE_DEV
	v_cmpx_eq_u32_e32 0, v0
	s_cbranch_execz .LBB6_83
; %bb.82:                               ;   in Loop: Header=BB6_49 Depth=1
	s_bcnt1_i32_b32 s14, s14
	s_delay_alu instid0(SALU_CYCLE_1)
	v_mov_b32_e32 v24, s14
	s_wait_loadcnt 0x0
	ds_add_u64 v0, v[24:25]
	s_trap 2
.LBB6_83:                               ;   in Loop: Header=BB6_49 Depth=1
	s_or_b32 exec_lo, exec_lo, s13
	s_trap 2
	ds_load_b64 v[0:1], v0
	s_wait_dscnt 0x0
	s_clause 0x1
	scratch_load_b64 v[2:3], off, s33 offset:196 th:TH_LOAD_LU
	scratch_load_b64 v[4:5], off, s33 offset:212
	s_mov_b32 s13, exec_lo
	s_wait_loadcnt 0x0
	v_add_nc_u64_e32 v[2:3], v[2:3], v[4:5]
	scratch_store_b64 off, v[2:3], s33 offset:196 ; 8-byte Folded Spill
	s_wait_xcnt 0x0
	v_cmpx_lt_u64_e64 v[0:1], v[2:3]
	s_cbranch_execz .LBB6_92
; %bb.84:                               ;   in Loop: Header=BB6_49 Depth=1
	s_mov_b32 s14, 0
	s_mov_b32 s42, 0
                                        ; implicit-def: $sgpr15
                                        ; implicit-def: $sgpr41
	s_branch .LBB6_86
.LBB6_85:                               ;   in Loop: Header=BB6_86 Depth=2
	s_wait_xcnt 0x0
	s_or_b32 exec_lo, exec_lo, s44
	s_delay_alu instid0(SALU_CYCLE_1) | instskip(NEXT) | instid1(SALU_CYCLE_1)
	s_and_b32 s43, exec_lo, s45
	s_or_b32 s14, s43, s14
	s_and_not1_b32 s15, s15, exec_lo
	s_and_b32 s43, s41, exec_lo
	s_delay_alu instid0(SALU_CYCLE_1)
	s_or_b32 s15, s15, s43
	s_and_not1_b32 exec_lo, exec_lo, s14
	s_cbranch_execz .LBB6_90
.LBB6_86:                               ;   Parent Loop BB6_49 Depth=1
                                        ; =>  This Inner Loop Header: Depth=2
	s_add_co_i32 s42, s42, 1
	s_delay_alu instid0(SALU_CYCLE_1) | instskip(SKIP_1) | instid1(SALU_CYCLE_1)
	s_cmp_lg_u32 s42, 0x2710
	s_cselect_b32 s43, -1, 0
	s_and_b32 vcc_lo, exec_lo, s43
	s_cbranch_vccz .LBB6_88
; %bb.87:                               ;   in Loop: Header=BB6_86 Depth=2
	s_mov_b32 s45, -1
	s_or_b32 s41, s41, exec_lo
	s_and_saveexec_b32 s44, s43
	s_cbranch_execz .LBB6_85
	s_branch .LBB6_89
.LBB6_88:                               ;   in Loop: Header=BB6_86 Depth=2
	s_trap 2
	ds_load_b64 v[0:1], v0
	s_and_not1_b32 s43, s43, exec_lo
	s_mov_b32 s42, 0
	s_wait_storecnt_dscnt 0x0
	flat_load_b32 v0, v[0:1] scope:SCOPE_SYS
	s_wait_loadcnt_dscnt 0x0
	global_inv scope:SCOPE_SYS
	v_cmp_eq_u32_e32 vcc_lo, 0, v0
	s_and_b32 s44, vcc_lo, exec_lo
	s_delay_alu instid0(SALU_CYCLE_1)
	s_or_b32 s43, s43, s44
	s_mov_b32 s45, -1
	s_or_b32 s41, s41, exec_lo
	s_wait_xcnt 0x0
	s_and_saveexec_b32 s44, s43
	s_cbranch_execz .LBB6_85
.LBB6_89:                               ;   in Loop: Header=BB6_86 Depth=2
	s_sleep 1
	s_trap 2
	ds_load_b64 v[0:1], v0
	s_wait_dscnt 0x0
	scratch_load_b64 v[2:3], off, s33 offset:196 ; 8-byte Folded Reload
	s_and_not1_b32 s41, s41, exec_lo
	s_wait_loadcnt 0x0
	v_cmp_ge_u64_e32 vcc_lo, v[0:1], v[2:3]
	s_or_not1_b32 s45, vcc_lo, exec_lo
	s_branch .LBB6_85
.LBB6_90:                               ;   in Loop: Header=BB6_49 Depth=1
	s_or_b32 exec_lo, exec_lo, s14
	s_and_saveexec_b32 s14, s15
	s_delay_alu instid0(SALU_CYCLE_1)
	s_xor_b32 s14, exec_lo, s14
	s_cbranch_execz .LBB6_92
; %bb.91:                               ;   in Loop: Header=BB6_49 Depth=1
	ds_store_b32 v0, v77
	s_trap 2
.LBB6_92:                               ;   in Loop: Header=BB6_49 Depth=1
	s_or_b32 exec_lo, exec_lo, s13
	;;#ASMSTART
	s_wakeup
	;;#ASMEND
.LBB6_93:                               ;   in Loop: Header=BB6_49 Depth=1
	s_or_b32 exec_lo, exec_lo, s12
.LBB6_94:                               ;   in Loop: Header=BB6_49 Depth=1
	s_and_not1_saveexec_b32 s11, s11
	s_cbranch_execz .LBB6_96
; %bb.95:                               ;   in Loop: Header=BB6_49 Depth=1
	global_wb scope:SCOPE_DEV
	s_wait_storecnt 0x0
	s_wait_loadcnt_dscnt 0x0
	global_inv scope:SCOPE_DEV
	s_barrier_signal -1
	s_barrier_wait -1
.LBB6_96:                               ;   in Loop: Header=BB6_49 Depth=1
	s_or_b32 exec_lo, exec_lo, s11
.LBB6_97:                               ;   in Loop: Header=BB6_49 Depth=1
	s_delay_alu instid0(SALU_CYCLE_1) | instskip(SKIP_3) | instid1(VALU_DEP_1)
	s_or_b32 exec_lo, exec_lo, s10
	s_trap 2
	ds_load_b32 v0, v0
	v_and_b32_e32 v1, 0x4000, v58
	v_cmp_ne_u32_e32 vcc_lo, 0, v1
	s_and_b32 s11, s27, vcc_lo
	s_delay_alu instid0(SALU_CYCLE_1)
	s_and_saveexec_b32 s10, s11
	s_cbranch_execz .LBB6_116
; %bb.98:                               ;   in Loop: Header=BB6_49 Depth=1
	s_and_saveexec_b32 s11, s3
	s_delay_alu instid0(SALU_CYCLE_1)
	s_xor_b32 s11, exec_lo, s11
	s_cbranch_execz .LBB6_113
; %bb.99:                               ;   in Loop: Header=BB6_49 Depth=1
	s_and_saveexec_b32 s12, s4
	s_cbranch_execz .LBB6_112
; %bb.100:                              ;   in Loop: Header=BB6_49 Depth=1
	s_mov_b32 s14, exec_lo
	s_mov_b32 s13, exec_lo
	v_mbcnt_lo_u32_b32 v1, s14, 0
	global_wb scope:SCOPE_DEV
	s_wait_storecnt 0x0
	s_wait_loadcnt_dscnt 0x0
	global_inv scope:SCOPE_DEV
	v_cmpx_eq_u32_e32 0, v1
	s_cbranch_execz .LBB6_102
; %bb.101:                              ;   in Loop: Header=BB6_49 Depth=1
	s_bcnt1_i32_b32 s14, s14
	s_delay_alu instid0(SALU_CYCLE_1)
	v_mov_b32_e32 v24, s14
	s_wait_loadcnt 0x0
	ds_add_u64 v0, v[24:25]
	s_trap 2
.LBB6_102:                              ;   in Loop: Header=BB6_49 Depth=1
	s_or_b32 exec_lo, exec_lo, s13
	s_trap 2
	ds_load_b64 v[2:3], v0
	s_wait_dscnt 0x0
	s_clause 0x1
	scratch_load_b64 v[4:5], off, s33 offset:196 th:TH_LOAD_LU
	scratch_load_b64 v[6:7], off, s33 offset:212
	s_mov_b32 s13, exec_lo
	s_wait_loadcnt 0x0
	v_add_nc_u64_e32 v[4:5], v[4:5], v[6:7]
	scratch_store_b64 off, v[4:5], s33 offset:196 ; 8-byte Folded Spill
	s_wait_xcnt 0x0
	v_cmpx_lt_u64_e64 v[2:3], v[4:5]
	s_cbranch_execz .LBB6_111
; %bb.103:                              ;   in Loop: Header=BB6_49 Depth=1
	s_mov_b32 s14, 0
	s_mov_b32 s42, 0
                                        ; implicit-def: $sgpr15
                                        ; implicit-def: $sgpr41
	s_branch .LBB6_105
.LBB6_104:                              ;   in Loop: Header=BB6_105 Depth=2
	s_wait_xcnt 0x0
	s_or_b32 exec_lo, exec_lo, s44
	s_delay_alu instid0(SALU_CYCLE_1) | instskip(NEXT) | instid1(SALU_CYCLE_1)
	s_and_b32 s43, exec_lo, s45
	s_or_b32 s14, s43, s14
	s_and_not1_b32 s15, s15, exec_lo
	s_and_b32 s43, s41, exec_lo
	s_delay_alu instid0(SALU_CYCLE_1)
	s_or_b32 s15, s15, s43
	s_and_not1_b32 exec_lo, exec_lo, s14
	s_cbranch_execz .LBB6_109
.LBB6_105:                              ;   Parent Loop BB6_49 Depth=1
                                        ; =>  This Inner Loop Header: Depth=2
	s_add_co_i32 s42, s42, 1
	s_delay_alu instid0(SALU_CYCLE_1) | instskip(SKIP_1) | instid1(SALU_CYCLE_1)
	s_cmp_lg_u32 s42, 0x2710
	s_cselect_b32 s43, -1, 0
	s_and_b32 vcc_lo, exec_lo, s43
	s_cbranch_vccz .LBB6_107
; %bb.106:                              ;   in Loop: Header=BB6_105 Depth=2
	s_mov_b32 s45, -1
	s_or_b32 s41, s41, exec_lo
	s_and_saveexec_b32 s44, s43
	s_cbranch_execz .LBB6_104
	s_branch .LBB6_108
.LBB6_107:                              ;   in Loop: Header=BB6_105 Depth=2
	s_trap 2
	ds_load_b64 v[2:3], v0
	s_and_not1_b32 s43, s43, exec_lo
	s_mov_b32 s42, 0
	s_wait_storecnt_dscnt 0x0
	flat_load_b32 v1, v[2:3] scope:SCOPE_SYS
	s_wait_loadcnt_dscnt 0x0
	global_inv scope:SCOPE_SYS
	v_cmp_eq_u32_e32 vcc_lo, 0, v1
	s_and_b32 s44, vcc_lo, exec_lo
	s_delay_alu instid0(SALU_CYCLE_1)
	s_or_b32 s43, s43, s44
	s_mov_b32 s45, -1
	s_or_b32 s41, s41, exec_lo
	s_wait_xcnt 0x0
	s_and_saveexec_b32 s44, s43
	s_cbranch_execz .LBB6_104
.LBB6_108:                              ;   in Loop: Header=BB6_105 Depth=2
	s_sleep 1
	s_trap 2
	ds_load_b64 v[2:3], v0
	s_wait_dscnt 0x0
	scratch_load_b64 v[4:5], off, s33 offset:196 ; 8-byte Folded Reload
	s_and_not1_b32 s41, s41, exec_lo
	s_wait_loadcnt 0x0
	v_cmp_ge_u64_e32 vcc_lo, v[2:3], v[4:5]
	s_or_not1_b32 s45, vcc_lo, exec_lo
	s_branch .LBB6_104
.LBB6_109:                              ;   in Loop: Header=BB6_49 Depth=1
	s_or_b32 exec_lo, exec_lo, s14
	s_and_saveexec_b32 s14, s15
	s_delay_alu instid0(SALU_CYCLE_1)
	s_xor_b32 s14, exec_lo, s14
	s_cbranch_execz .LBB6_111
; %bb.110:                              ;   in Loop: Header=BB6_49 Depth=1
	ds_store_b32 v0, v77
	s_trap 2
.LBB6_111:                              ;   in Loop: Header=BB6_49 Depth=1
	s_or_b32 exec_lo, exec_lo, s13
	;;#ASMSTART
	s_wakeup
	;;#ASMEND
.LBB6_112:                              ;   in Loop: Header=BB6_49 Depth=1
	s_or_b32 exec_lo, exec_lo, s12
.LBB6_113:                              ;   in Loop: Header=BB6_49 Depth=1
	s_and_not1_saveexec_b32 s11, s11
	s_cbranch_execz .LBB6_115
; %bb.114:                              ;   in Loop: Header=BB6_49 Depth=1
	global_wb scope:SCOPE_DEV
	s_wait_storecnt 0x0
	s_wait_loadcnt_dscnt 0x0
	global_inv scope:SCOPE_DEV
	s_barrier_signal -1
	s_barrier_wait -1
.LBB6_115:                              ;   in Loop: Header=BB6_49 Depth=1
	s_or_b32 exec_lo, exec_lo, s11
.LBB6_116:                              ;   in Loop: Header=BB6_49 Depth=1
	s_delay_alu instid0(SALU_CYCLE_1)
	s_or_b32 exec_lo, exec_lo, s10
	s_trap 2
	s_wait_dscnt 0x0
	ds_load_b64 v[42:43], v0
	s_wait_dscnt 0x0
	v_cmp_eq_u64_e32 vcc_lo, 0, v[42:43]
	s_cbranch_vccnz .LBB6_124
; %bb.117:                              ;   in Loop: Header=BB6_49 Depth=1
	scratch_store_b128 off, v[60:63], s33 offset:284 ; 16-byte Folded Spill
	s_trap 2
	ds_load_b64 v[104:105], v0
	s_wait_dscnt 0x0
	v_cmp_eq_u64_e32 vcc_lo, 0, v[104:105]
	s_cbranch_vccnz .LBB6_125
; %bb.118:                              ;   in Loop: Header=BB6_49 Depth=1
	s_trap 2
	ds_load_b64 v[2:3], v0
	s_mov_b32 s10, -1
	s_wait_dscnt 0x0
	v_readfirstlane_b32 s41, v2
	s_wait_xcnt 0x0
	s_and_saveexec_b32 s11, s5
	s_cbranch_execz .LBB6_120
; %bb.119:                              ;   in Loop: Header=BB6_49 Depth=1
	ds_load_b32 v1, v0 offset:720
	s_wait_dscnt 0x0
	v_and_b32_e32 v1, 15, v1
	s_delay_alu instid0(VALU_DEP_1)
	v_cmp_eq_u32_e32 vcc_lo, 0, v1
	s_or_not1_b32 s10, vcc_lo, exec_lo
.LBB6_120:                              ;   in Loop: Header=BB6_49 Depth=1
	s_or_b32 exec_lo, exec_lo, s11
	v_mov_b32_e32 v44, 0x7f800000
	s_and_saveexec_b32 s11, s6
	s_cbranch_execz .LBB6_122
; %bb.121:                              ;   in Loop: Header=BB6_49 Depth=1
	ds_load_b32 v1, v0 offset:784
	s_wait_dscnt 0x0
	v_and_b32_e32 v1, 15, v1
	s_delay_alu instid0(VALU_DEP_1) | instskip(SKIP_3) | instid1(SALU_CYCLE_1)
	v_cmp_eq_u32_e32 vcc_lo, 0, v1
	s_and_b32 s12, s10, vcc_lo
	s_and_not1_b32 s10, s10, exec_lo
	s_and_b32 s12, s12, exec_lo
	s_or_b32 s10, s10, s12
.LBB6_122:                              ;   in Loop: Header=BB6_49 Depth=1
	s_or_b32 exec_lo, exec_lo, s11
	v_cmp_eq_u32_e32 vcc_lo, 0, v0
	s_xor_b32 s10, s10, -1
	v_mov_b32_e32 v9, 0
	v_cndmask_b32_e64 v1, 0, 1, s10
	s_mov_b32 s10, -1
	v_dual_cndmask_b32 v45, 0, v108 :: v_dual_mov_b32 v4, v112
	s_delay_alu instid0(VALU_DEP_2) | instskip(NEXT) | instid1(VALU_DEP_2)
	v_cmp_ne_u32_e32 vcc_lo, 0, v1
	v_mov_b32_e32 v3, v45
	s_cbranch_vccz .LBB6_126
; %bb.123:                              ;   in Loop: Header=BB6_49 Depth=1
	s_and_saveexec_b32 s13, s10
	s_cbranch_execnz .LBB6_5129
; %bb.15076:                            ;   in Loop: Header=BB6_49 Depth=1
	s_add_pc_i64 .LBB6_7381-.Lpost_addpc4
.Lpost_addpc4:
.LBB6_124:                              ;   in Loop: Header=BB6_49 Depth=1
	s_mov_b32 s10, 0
	s_and_saveexec_b32 s11, s2
	s_cbranch_execz .LBB6_15078
; %bb.15102:                            ;   in Loop: Header=BB6_49 Depth=1
	s_add_pc_i64 .LBB6_7383-.Lpost_addpc17
.Lpost_addpc17:
.LBB6_15078:                            ;   in Loop: Header=BB6_49 Depth=1
	s_add_pc_i64 .LBB6_7401-.Lpost_addpc5
.Lpost_addpc5:
.LBB6_125:                              ;   in Loop: Header=BB6_49 Depth=1
	s_mov_b32 s10, 0
; %bb.15080:                            ;   in Loop: Header=BB6_49 Depth=1
	s_add_pc_i64 .LBB6_7382-.Lpost_addpc6
.Lpost_addpc6:
.LBB6_126:                              ;   in Loop: Header=BB6_49 Depth=1
	v_lshrrev_b32_e32 v0, 11, v45
	s_mov_b32 s12, exec_lo
	s_delay_alu instid0(VALU_DEP_1) | instskip(NEXT) | instid1(VALU_DEP_1)
	v_sub_nc_u32_e32 v22, v0, v76
	v_cmpx_lt_i32_e32 0, v22
	s_cbranch_execz .LBB6_4226
; %bb.127:                              ;   in Loop: Header=BB6_49 Depth=1
	s_trap 2
	scratch_load_b64 v[2:3], off, s33 offset:456 ; 8-byte Folded Reload
	ds_load_b64 v[0:1], v0
	v_dual_mov_b32 v41, v59 :: v_dual_mov_b32 v40, v58
	v_mov_b64_e32 v[60:61], v[72:73]
	v_dual_mov_b32 v119, v103 :: v_dual_mov_b32 v118, v102
	v_mov_b32_e32 v62, 0x7f800000
	s_bitcmp1_b32 s41, 0
	s_mov_b32 s13, 0
	s_cselect_b32 s14, -1, 0
	s_wait_loadcnt 0x0
	v_add_nc_u64_e32 v[46:47], v[42:43], v[2:3]
	s_wait_dscnt 0x0
	v_add_nc_u64_e32 v[56:57], v[0:1], v[2:3]
	v_add_nc_u64_e32 v[58:59], v[104:105], v[2:3]
	s_branch .LBB6_130
.LBB6_128:                              ;   in Loop: Header=BB6_130 Depth=2
	s_or_b32 exec_lo, exec_lo, s11
.LBB6_129:                              ;   in Loop: Header=BB6_130 Depth=2
	s_delay_alu instid0(SALU_CYCLE_1)
	s_or_b32 exec_lo, exec_lo, s10
	v_lshl_or_b32 v1, v8, 8, v85
	v_dual_lshlrev_b32 v2, 16, v9 :: v_dual_lshlrev_b32 v3, 24, v18
	v_lshl_or_b32 v8, v34, 8, v29
	v_dual_lshlrev_b32 v9, 16, v35 :: v_dual_lshlrev_b32 v12, 24, v96
	v_dual_lshlrev_b32 v13, 24, v20 :: v_dual_lshlrev_b32 v7, 16, v7
	s_delay_alu instid0(VALU_DEP_4)
	v_or3_b32 v17, v1, v2, v3
	v_lshlrev_b32_e32 v1, 24, v84
	v_lshl_or_b32 v2, v86, 8, v19
	v_lshlrev_b32_e32 v3, 16, v87
	v_lshl_or_b32 v6, v6, 8, v97
	v_lshl_or_b32 v20, v70, 8, v69
	v_dual_lshlrev_b32 v24, 16, v71 :: v_dual_lshlrev_b32 v26, 24, v26
	v_lshl_or_b32 v29, v50, 8, v39
	v_dual_lshlrev_b32 v34, 16, v51 :: v_dual_lshlrev_b32 v35, 24, v68
	v_or3_b32 v16, v8, v9, v1
	v_or3_b32 v18, v2, v3, v12
	v_lshl_or_b32 v1, v32, 8, v27
	v_dual_lshlrev_b32 v2, 16, v33 :: v_dual_lshlrev_b32 v3, 24, v80
	v_or3_b32 v19, v6, v7, v13
	v_or3_b32 v7, v20, v24, v26
	;; [unrolled: 1-line block ×3, first 2 shown]
	v_dual_lshlrev_b32 v9, 24, v28 :: v_dual_lshlrev_b32 v12, 16, v83
	v_lshl_or_b32 v20, v54, 8, v53
	v_dual_lshlrev_b32 v24, 16, v55 :: v_dual_lshlrev_b32 v26, 24, v36
	v_lshl_or_b32 v23, v30, 8, v23
	;; [unrolled: 2-line block ×3, first 2 shown]
	v_dual_lshlrev_b32 v31, 16, v49 :: v_dual_lshlrev_b32 v32, 24, v64
	v_or3_b32 v8, v1, v2, v3
	v_dual_lshlrev_b32 v1, 24, v38 :: v_dual_lshlrev_b32 v2, 16, v67
	v_lshl_or_b32 v3, v66, 8, v65
	v_lshl_or_b32 v13, v82, 8, v81
	v_or3_b32 v27, v20, v24, v26
	v_or3_b32 v26, v23, v28, v29
	;; [unrolled: 1-line block ×5, first 2 shown]
	v_dual_lshlrev_b32 v24, 24, v0 :: v_dual_lshlrev_b32 v5, 16, v5
	v_lshl_or_b32 v4, v4, 8, v113
	s_clause 0x1
	global_store_b128 v[58:59], v[26:29], off th:TH_STORE_NT
	global_store_b128 v[58:59], v[6:9], off offset:512 th:TH_STORE_NT
	v_lshl_or_b32 v12, v102, 8, v101
	v_dual_lshlrev_b32 v13, 16, v103 :: v_dual_lshlrev_b32 v10, 24, v10
	v_or3_b32 v3, v4, v5, v24
	scratch_load_b64 v[4:5], off, s33 offset:212 ; 8-byte Folded Reload
	v_lshl_or_b32 v20, v98, 8, v21
	v_dual_lshlrev_b32 v21, 16, v99 :: v_dual_lshlrev_b32 v23, 24, v100
	v_lshl_or_b32 v11, v14, 8, v11
	v_dual_lshlrev_b32 v14, 16, v15 :: v_dual_lshlrev_b32 v15, 24, v112
	v_or3_b32 v1, v12, v13, v10
	s_delay_alu instid0(VALU_DEP_4)
	v_or3_b32 v0, v20, v21, v23
	v_add_nc_u64_e32 v[46:47], v[46:47], v[78:79]
	v_add_nc_u64_e32 v[56:57], v[56:57], v[78:79]
	v_or3_b32 v2, v11, v14, v15
	s_clause 0x1
	global_store_b128 v[58:59], v[16:19], off offset:1024 th:TH_STORE_NT
	global_store_b128 v[58:59], v[0:3], off offset:1536 th:TH_STORE_NT
	s_wait_xcnt 0x0
	v_add_nc_u64_e32 v[58:59], v[58:59], v[78:79]
	s_wait_loadcnt 0x0
	v_sub_nc_u32_e32 v22, v22, v4
	s_delay_alu instid0(VALU_DEP_1) | instskip(SKIP_1) | instid1(SALU_CYCLE_1)
	v_cmp_gt_i32_e32 vcc_lo, 1, v22
	s_or_b32 s13, vcc_lo, s13
	s_and_not1_b32 exec_lo, exec_lo, s13
	s_cbranch_execz .LBB6_4225
.LBB6_130:                              ;   Parent Loop BB6_49 Depth=1
                                        ; =>  This Inner Loop Header: Depth=2
	global_load_b128 v[48:51], v[46:47], off th:TH_LOAD_NT
	global_load_b128 v[36:39], v[56:57], off th:TH_LOAD_NT
	s_clause 0x2
	global_load_b128 v[32:35], v[46:47], off offset:512 th:TH_LOAD_NT
	global_load_b128 v[2:5], v[46:47], off offset:1024 th:TH_LOAD_NT
	;; [unrolled: 1-line block ×3, first 2 shown]
	s_clause 0x2
	global_load_b128 v[26:29], v[56:57], off offset:512 th:TH_LOAD_NT
	global_load_b128 v[18:21], v[56:57], off offset:1024 th:TH_LOAD_NT
	;; [unrolled: 1-line block ×3, first 2 shown]
	s_and_b32 vcc_lo, exec_lo, s14
	s_mov_b32 s11, -1
	s_wait_loadcnt 0x7
	v_and_b32_e32 v6, 0xff, v48
	v_bfe_i32 v1, v48, 0, 8
	s_wait_loadcnt 0x6
	v_bfe_i32 v0, v36, 0, 8
	s_delay_alu instid0(VALU_DEP_3)
	v_cmp_ne_u16_e64 s10, 0, v6
                                        ; implicit-def: $vgpr6
	s_cbranch_vccz .LBB6_152
; %bb.131:                              ;   in Loop: Header=BB6_130 Depth=2
	v_dual_mov_b32 v7, 0 :: v_dual_mov_b32 v6, 0
	s_wait_xcnt 0x0
	s_and_saveexec_b32 s11, s10
	s_cbranch_execz .LBB6_141
; %bb.132:                              ;   in Loop: Header=BB6_130 Depth=2
	v_bfrev_b32_e32 v6, 1
	s_mov_b32 s15, exec_lo
	v_cmpx_ne_u16_e32 0xff80, v1
	s_cbranch_execz .LBB6_140
; %bb.133:                              ;   in Loop: Header=BB6_130 Depth=2
	v_and_b32_e32 v6, 0x7c, v48
	v_and_b32_e32 v8, 3, v48
	s_delay_alu instid0(VALU_DEP_2) | instskip(SKIP_1) | instid1(SALU_CYCLE_1)
	v_cmp_ne_u32_e32 vcc_lo, 0x7c, v6
                                        ; implicit-def: $vgpr6
	s_and_saveexec_b32 s42, vcc_lo
	s_xor_b32 s42, exec_lo, s42
	s_cbranch_execz .LBB6_137
; %bb.134:                              ;   in Loop: Header=BB6_130 Depth=2
	v_bfe_u32 v6, v48, 2, 5
	s_mov_b32 s43, exec_lo
	s_delay_alu instid0(VALU_DEP_1)
	v_cmpx_eq_u32_e32 0, v6
; %bb.135:                              ;   in Loop: Header=BB6_130 Depth=2
	v_clz_i32_u32_e32 v6, v8
	s_delay_alu instid0(VALU_DEP_1) | instskip(NEXT) | instid1(VALU_DEP_1)
	v_min_u32_e32 v6, 32, v6
	v_subrev_nc_u32_e32 v8, 29, v6
	s_delay_alu instid0(VALU_DEP_1) | instskip(NEXT) | instid1(VALU_DEP_1)
	v_lshlrev_b64_e32 v[8:9], v8, v[48:49]
	v_dual_sub_nc_u32 v6, 30, v6 :: v_dual_bitop2_b32 v8, 3, v8 bitop3:0x40
; %bb.136:                              ;   in Loop: Header=BB6_130 Depth=2
	s_or_b32 exec_lo, exec_lo, s43
	v_lshlrev_b32_e32 v9, 24, v48
	s_delay_alu instid0(VALU_DEP_1) | instskip(NEXT) | instid1(VALU_DEP_1)
	v_and_b32_e32 v9, 0x80000000, v9
	v_lshl_add_u32 v6, v6, 23, v9
	s_delay_alu instid0(VALU_DEP_1) | instskip(NEXT) | instid1(VALU_DEP_1)
	v_lshl_or_b32 v6, v8, 21, v6
                                        ; implicit-def: $vgpr8
	v_add_nc_u32_e32 v6, 0x38000000, v6
.LBB6_137:                              ;   in Loop: Header=BB6_130 Depth=2
	s_and_not1_saveexec_b32 s42, s42
; %bb.138:                              ;   in Loop: Header=BB6_130 Depth=2
	v_cmp_lt_i16_e32 vcc_lo, -1, v1
	v_cndmask_b32_e32 v6, 0xff800000, v62, vcc_lo
	v_cmp_eq_u32_e32 vcc_lo, 0, v8
	s_delay_alu instid0(VALU_DEP_2)
	v_cndmask_b32_e32 v6, 0x7f800001, v6, vcc_lo
; %bb.139:                              ;   in Loop: Header=BB6_130 Depth=2
	s_or_b32 exec_lo, exec_lo, s42
.LBB6_140:                              ;   in Loop: Header=BB6_130 Depth=2
	s_delay_alu instid0(SALU_CYCLE_1)
	s_or_b32 exec_lo, exec_lo, s15
.LBB6_141:                              ;   in Loop: Header=BB6_130 Depth=2
	s_delay_alu instid0(SALU_CYCLE_1) | instskip(NEXT) | instid1(SALU_CYCLE_1)
	s_or_b32 exec_lo, exec_lo, s11
	s_mov_b32 s11, exec_lo
	v_cmpx_ne_u16_e32 0, v0
	s_cbranch_execz .LBB6_151
; %bb.142:                              ;   in Loop: Header=BB6_130 Depth=2
	v_bfrev_b32_e32 v7, 1
	s_mov_b32 s15, exec_lo
	v_cmpx_ne_u16_e32 0xff80, v0
	s_cbranch_execz .LBB6_150
; %bb.143:                              ;   in Loop: Header=BB6_130 Depth=2
	v_and_b32_e32 v7, 0x7c, v36
	v_and_b32_e32 v8, 3, v36
	s_delay_alu instid0(VALU_DEP_2) | instskip(SKIP_1) | instid1(SALU_CYCLE_1)
	v_cmp_ne_u32_e32 vcc_lo, 0x7c, v7
                                        ; implicit-def: $vgpr7
	s_and_saveexec_b32 s42, vcc_lo
	s_xor_b32 s42, exec_lo, s42
	s_cbranch_execz .LBB6_147
; %bb.144:                              ;   in Loop: Header=BB6_130 Depth=2
	v_bfe_u32 v7, v36, 2, 5
	s_mov_b32 s43, exec_lo
	s_delay_alu instid0(VALU_DEP_1)
	v_cmpx_eq_u32_e32 0, v7
; %bb.145:                              ;   in Loop: Header=BB6_130 Depth=2
	v_clz_i32_u32_e32 v7, v8
	s_delay_alu instid0(VALU_DEP_1) | instskip(NEXT) | instid1(VALU_DEP_1)
	v_min_u32_e32 v7, 32, v7
	v_subrev_nc_u32_e32 v8, 29, v7
	s_delay_alu instid0(VALU_DEP_1) | instskip(NEXT) | instid1(VALU_DEP_1)
	v_lshlrev_b64_e32 v[8:9], v8, v[36:37]
	v_dual_sub_nc_u32 v7, 30, v7 :: v_dual_bitop2_b32 v8, 3, v8 bitop3:0x40
; %bb.146:                              ;   in Loop: Header=BB6_130 Depth=2
	s_or_b32 exec_lo, exec_lo, s43
	v_lshlrev_b32_e32 v9, 24, v36
	s_delay_alu instid0(VALU_DEP_1) | instskip(NEXT) | instid1(VALU_DEP_1)
	v_and_b32_e32 v9, 0x80000000, v9
	v_lshl_add_u32 v7, v7, 23, v9
	s_delay_alu instid0(VALU_DEP_1) | instskip(NEXT) | instid1(VALU_DEP_1)
	v_lshl_or_b32 v7, v8, 21, v7
                                        ; implicit-def: $vgpr8
	v_add_nc_u32_e32 v7, 0x38000000, v7
.LBB6_147:                              ;   in Loop: Header=BB6_130 Depth=2
	s_and_not1_saveexec_b32 s42, s42
; %bb.148:                              ;   in Loop: Header=BB6_130 Depth=2
	v_cmp_lt_i16_e32 vcc_lo, -1, v0
	v_cndmask_b32_e32 v7, 0xff800000, v62, vcc_lo
	v_cmp_eq_u32_e32 vcc_lo, 0, v8
	s_delay_alu instid0(VALU_DEP_2)
	v_cndmask_b32_e32 v7, 0x7f800001, v7, vcc_lo
; %bb.149:                              ;   in Loop: Header=BB6_130 Depth=2
	s_or_b32 exec_lo, exec_lo, s42
.LBB6_150:                              ;   in Loop: Header=BB6_130 Depth=2
	s_delay_alu instid0(SALU_CYCLE_1)
	s_or_b32 exec_lo, exec_lo, s15
.LBB6_151:                              ;   in Loop: Header=BB6_130 Depth=2
	s_delay_alu instid0(SALU_CYCLE_1) | instskip(NEXT) | instid1(VALU_DEP_1)
	s_or_b32 exec_lo, exec_lo, s11
	v_dual_max_num_f32 v7, v7, v7 :: v_dual_max_num_f32 v6, v6, v6
	s_mov_b32 s11, 0
	s_delay_alu instid0(VALU_DEP_1)
	v_max_num_f32_e32 v6, v6, v7
.LBB6_152:                              ;   in Loop: Header=BB6_130 Depth=2
	s_and_b32 vcc_lo, exec_lo, s11
	s_cbranch_vccz .LBB6_174
; %bb.153:                              ;   in Loop: Header=BB6_130 Depth=2
	v_dual_mov_b32 v7, 0 :: v_dual_mov_b32 v6, 0
	s_wait_xcnt 0x0
	s_and_saveexec_b32 s11, s10
	s_cbranch_execz .LBB6_163
; %bb.154:                              ;   in Loop: Header=BB6_130 Depth=2
	v_bfrev_b32_e32 v6, 1
	s_mov_b32 s10, exec_lo
	v_cmpx_ne_u16_e32 0xff80, v1
	s_cbranch_execz .LBB6_162
; %bb.155:                              ;   in Loop: Header=BB6_130 Depth=2
	v_and_b32_e32 v6, 0x7c, v48
	v_and_b32_e32 v8, 3, v48
	s_delay_alu instid0(VALU_DEP_2) | instskip(SKIP_1) | instid1(SALU_CYCLE_1)
	v_cmp_ne_u32_e32 vcc_lo, 0x7c, v6
                                        ; implicit-def: $vgpr6
	s_and_saveexec_b32 s15, vcc_lo
	s_xor_b32 s15, exec_lo, s15
	s_cbranch_execz .LBB6_159
; %bb.156:                              ;   in Loop: Header=BB6_130 Depth=2
	v_bfe_u32 v1, v48, 2, 5
	s_mov_b32 s42, exec_lo
	s_delay_alu instid0(VALU_DEP_1)
	v_cmpx_eq_u32_e32 0, v1
; %bb.157:                              ;   in Loop: Header=BB6_130 Depth=2
	v_clz_i32_u32_e32 v1, v8
	s_delay_alu instid0(VALU_DEP_1) | instskip(NEXT) | instid1(VALU_DEP_1)
	v_min_u32_e32 v1, 32, v1
	v_subrev_nc_u32_e32 v6, 29, v1
	s_delay_alu instid0(VALU_DEP_1) | instskip(NEXT) | instid1(VALU_DEP_1)
	v_lshlrev_b64_e32 v[8:9], v6, v[48:49]
	v_dual_sub_nc_u32 v1, 30, v1 :: v_dual_bitop2_b32 v8, 3, v8 bitop3:0x40
; %bb.158:                              ;   in Loop: Header=BB6_130 Depth=2
	s_or_b32 exec_lo, exec_lo, s42
	v_lshlrev_b32_e32 v6, 24, v48
	s_delay_alu instid0(VALU_DEP_1) | instskip(NEXT) | instid1(VALU_DEP_1)
	v_and_b32_e32 v6, 0x80000000, v6
	v_lshl_add_u32 v1, v1, 23, v6
	s_delay_alu instid0(VALU_DEP_1) | instskip(NEXT) | instid1(VALU_DEP_1)
	v_lshl_or_b32 v1, v8, 21, v1
                                        ; implicit-def: $vgpr8
	v_add_nc_u32_e32 v6, 0x38000000, v1
                                        ; implicit-def: $vgpr1
.LBB6_159:                              ;   in Loop: Header=BB6_130 Depth=2
	s_and_not1_saveexec_b32 s15, s15
; %bb.160:                              ;   in Loop: Header=BB6_130 Depth=2
	v_cmp_lt_i16_e32 vcc_lo, -1, v1
	v_cndmask_b32_e32 v1, 0xff800000, v62, vcc_lo
	v_cmp_eq_u32_e32 vcc_lo, 0, v8
	s_delay_alu instid0(VALU_DEP_2)
	v_cndmask_b32_e32 v6, 0x7f800001, v1, vcc_lo
; %bb.161:                              ;   in Loop: Header=BB6_130 Depth=2
	s_or_b32 exec_lo, exec_lo, s15
.LBB6_162:                              ;   in Loop: Header=BB6_130 Depth=2
	s_delay_alu instid0(SALU_CYCLE_1)
	s_or_b32 exec_lo, exec_lo, s10
.LBB6_163:                              ;   in Loop: Header=BB6_130 Depth=2
	s_delay_alu instid0(SALU_CYCLE_1) | instskip(NEXT) | instid1(SALU_CYCLE_1)
	s_or_b32 exec_lo, exec_lo, s11
	s_mov_b32 s10, exec_lo
	v_cmpx_ne_u16_e32 0, v0
	s_cbranch_execz .LBB6_173
; %bb.164:                              ;   in Loop: Header=BB6_130 Depth=2
	v_bfrev_b32_e32 v7, 1
	s_mov_b32 s11, exec_lo
	v_cmpx_ne_u16_e32 0xff80, v0
	s_cbranch_execz .LBB6_172
; %bb.165:                              ;   in Loop: Header=BB6_130 Depth=2
	v_and_b32_e32 v7, 0x7c, v36
	v_and_b32_e32 v1, 3, v36
	s_delay_alu instid0(VALU_DEP_2) | instskip(SKIP_1) | instid1(SALU_CYCLE_1)
	v_cmp_ne_u32_e32 vcc_lo, 0x7c, v7
                                        ; implicit-def: $vgpr7
	s_and_saveexec_b32 s15, vcc_lo
	s_xor_b32 s15, exec_lo, s15
	s_cbranch_execz .LBB6_169
; %bb.166:                              ;   in Loop: Header=BB6_130 Depth=2
	v_bfe_u32 v0, v36, 2, 5
	s_mov_b32 s42, exec_lo
	s_delay_alu instid0(VALU_DEP_1)
	v_cmpx_eq_u32_e32 0, v0
; %bb.167:                              ;   in Loop: Header=BB6_130 Depth=2
	v_clz_i32_u32_e32 v0, v1
	s_delay_alu instid0(VALU_DEP_1) | instskip(NEXT) | instid1(VALU_DEP_1)
	v_min_u32_e32 v0, 32, v0
	v_subrev_nc_u32_e32 v1, 29, v0
	v_sub_nc_u32_e32 v0, 30, v0
	s_delay_alu instid0(VALU_DEP_2) | instskip(NEXT) | instid1(VALU_DEP_1)
	v_lshlrev_b64_e32 v[8:9], v1, v[36:37]
	v_and_b32_e32 v1, 3, v8
; %bb.168:                              ;   in Loop: Header=BB6_130 Depth=2
	s_or_b32 exec_lo, exec_lo, s42
	v_lshlrev_b32_e32 v7, 24, v36
	s_delay_alu instid0(VALU_DEP_1) | instskip(NEXT) | instid1(VALU_DEP_1)
	v_and_b32_e32 v7, 0x80000000, v7
	v_lshl_add_u32 v0, v0, 23, v7
	s_delay_alu instid0(VALU_DEP_1) | instskip(NEXT) | instid1(VALU_DEP_1)
	v_lshl_or_b32 v0, v1, 21, v0
                                        ; implicit-def: $vgpr1
	v_add_nc_u32_e32 v7, 0x38000000, v0
                                        ; implicit-def: $vgpr0
.LBB6_169:                              ;   in Loop: Header=BB6_130 Depth=2
	s_and_not1_saveexec_b32 s15, s15
; %bb.170:                              ;   in Loop: Header=BB6_130 Depth=2
	v_cmp_lt_i16_e32 vcc_lo, -1, v0
	v_cndmask_b32_e32 v0, 0xff800000, v62, vcc_lo
	v_cmp_eq_u32_e32 vcc_lo, 0, v1
	s_delay_alu instid0(VALU_DEP_2)
	v_cndmask_b32_e32 v7, 0x7f800001, v0, vcc_lo
; %bb.171:                              ;   in Loop: Header=BB6_130 Depth=2
	s_or_b32 exec_lo, exec_lo, s15
.LBB6_172:                              ;   in Loop: Header=BB6_130 Depth=2
	s_delay_alu instid0(SALU_CYCLE_1)
	s_or_b32 exec_lo, exec_lo, s11
.LBB6_173:                              ;   in Loop: Header=BB6_130 Depth=2
	s_delay_alu instid0(SALU_CYCLE_1) | instskip(NEXT) | instid1(VALU_DEP_1)
	s_or_b32 exec_lo, exec_lo, s10
	v_dual_max_num_f32 v0, v7, v7 :: v_dual_max_num_f32 v1, v6, v6
	s_delay_alu instid0(VALU_DEP_1)
	v_min_num_f32_e32 v6, v1, v0
.LBB6_174:                              ;   in Loop: Header=BB6_130 Depth=2
	s_delay_alu instid0(VALU_DEP_1) | instskip(SKIP_2) | instid1(VALU_DEP_2)
	v_and_b32_e32 v0, 0x7f800000, v6
	v_mov_b32_e32 v1, v25
	v_and_b32_e32 v24, 0x7fffff, v6
                                        ; implicit-def: $vgpr23
	v_cmp_ne_u64_e32 vcc_lo, 0x7f800000, v[0:1]
	v_lshrrev_b32_e32 v0, 24, v6
	s_wait_xcnt 0x0
	s_and_saveexec_b32 s10, vcc_lo
	s_delay_alu instid0(SALU_CYCLE_1)
	s_xor_b32 s11, exec_lo, s10
	s_cbranch_execz .LBB6_188
; %bb.175:                              ;   in Loop: Header=BB6_130 Depth=2
	v_and_b32_e32 v8, 0x7fffffff, v6
	v_mov_b32_e32 v9, v25
                                        ; implicit-def: $vgpr23
	s_delay_alu instid0(VALU_DEP_1) | instskip(SKIP_2) | instid1(SALU_CYCLE_1)
	v_cmp_gt_u64_e32 vcc_lo, 0x47600001, v[8:9]
	v_and_b32_e32 v8, 0x80, v0
	s_and_saveexec_b32 s10, vcc_lo
	s_xor_b32 s15, exec_lo, s10
	s_cbranch_execz .LBB6_185
; %bb.176:                              ;   in Loop: Header=BB6_130 Depth=2
	v_mov_b32_e32 v23, 0
	s_mov_b32 s42, exec_lo
	v_cmpx_ne_u32_e32 0, v6
	s_cbranch_execz .LBB6_184
; %bb.177:                              ;   in Loop: Header=BB6_130 Depth=2
	v_bfe_u32 v9, v6, 23, 8
	v_or_b32_e32 v6, 0x800000, v24
	s_delay_alu instid0(VALU_DEP_2) | instskip(SKIP_1) | instid1(VALU_DEP_2)
	v_sub_nc_u32_e32 v0, 0x71, v9
	v_cmp_gt_u32_e32 vcc_lo, 0x72, v9
	v_cndmask_b32_e32 v0, 0, v0, vcc_lo
	v_cmp_eq_u32_e32 vcc_lo, 0, v9
	s_delay_alu instid0(VALU_DEP_2) | instskip(NEXT) | instid1(VALU_DEP_1)
	v_cndmask_b32_e64 v23, v0, 0x70, vcc_lo
	v_dual_cndmask_b32 v24, v6, v24, vcc_lo :: v_dual_add_nc_u32 v0, 21, v23
	v_add_nc_u32_e32 v7, 20, v23
	s_delay_alu instid0(VALU_DEP_2) | instskip(NEXT) | instid1(VALU_DEP_2)
	v_lshlrev_b64_e64 v[0:1], v0, -1
	v_lshlrev_b64_e64 v[6:7], v7, 1
	s_delay_alu instid0(VALU_DEP_2) | instskip(NEXT) | instid1(VALU_DEP_3)
	v_bfi_b32 v31, v1, 0, 0
	v_bfi_b32 v30, v0, 0, v24
	v_lshrrev_b64 v[0:1], v23, v[24:25]
	s_delay_alu instid0(VALU_DEP_2) | instskip(NEXT) | instid1(VALU_DEP_2)
	v_cmp_eq_u64_e64 s10, v[30:31], v[6:7]
	v_mov_b64_e32 v[6:7], v[0:1]
	s_and_saveexec_b32 s43, s10
; %bb.178:                              ;   in Loop: Header=BB6_130 Depth=2
	v_bfe_u32 v24, v0, 21, 1
	s_delay_alu instid0(VALU_DEP_1) | instskip(NEXT) | instid1(VALU_DEP_1)
	v_add_nc_u64_e32 v[6:7], v[0:1], v[24:25]
	v_add_nc_u64_e32 v[6:7], -1, v[6:7]
; %bb.179:                              ;   in Loop: Header=BB6_130 Depth=2
	s_or_b32 exec_lo, exec_lo, s43
	v_add_nc_u32_e32 v1, 0xffffff81, v9
	v_lshrrev_b32_e32 v7, 23, v0
	s_mov_b32 s10, exec_lo
	s_delay_alu instid0(VALU_DEP_2) | instskip(NEXT) | instid1(VALU_DEP_1)
	v_cndmask_b32_e64 v1, v1, 0xffffff82, vcc_lo
	v_add3_u32 v7, v23, v1, v7
	v_and_b32_e32 v1, 0x1fffff, v6
                                        ; implicit-def: $vgpr6
	s_delay_alu instid0(VALU_DEP_1) | instskip(NEXT) | instid1(VALU_DEP_1)
	v_dual_add_nc_u32 v9, 14, v7 :: v_dual_add_nc_u32 v24, v1, v0
                                        ; implicit-def: $vgpr0_vgpr1
	v_cmpx_ne_u32_e32 0, v9
	s_xor_b32 s10, exec_lo, s10
; %bb.180:                              ;   in Loop: Header=BB6_130 Depth=2
	s_delay_alu instid0(VALU_DEP_2) | instskip(SKIP_1) | instid1(VALU_DEP_1)
	v_cmp_lt_u64_e32 vcc_lo, 0xffffff, v[24:25]
	v_add_nc_u32_e32 v0, 15, v7
	v_cndmask_b32_e32 v6, v9, v0, vcc_lo
	v_cndmask_b32_e64 v0, 0, 1, vcc_lo
	s_delay_alu instid0(VALU_DEP_1)
	v_lshrrev_b64 v[0:1], v0, v[24:25]
; %bb.181:                              ;   in Loop: Header=BB6_130 Depth=2
	s_and_not1_saveexec_b32 s10, s10
; %bb.182:                              ;   in Loop: Header=BB6_130 Depth=2
	v_mov_b64_e32 v[0:1], v[24:25]
	v_bfe_u32 v6, v24, 23, 1
; %bb.183:                              ;   in Loop: Header=BB6_130 Depth=2
	s_or_b32 exec_lo, exec_lo, s10
	s_delay_alu instid0(VALU_DEP_2) | instskip(NEXT) | instid1(VALU_DEP_2)
	v_lshrrev_b64 v[0:1], 21, v[0:1]
	v_cmp_gt_i32_e32 vcc_lo, 32, v6
	v_min_i32_e32 v7, 31, v6
	v_cmp_eq_u32_e64 s10, 0, v6
	s_delay_alu instid0(VALU_DEP_2) | instskip(SKIP_1) | instid1(VALU_DEP_2)
	v_dual_cndmask_b32 v1, 0, v1, vcc_lo :: v_dual_lshlrev_b32 v7, 2, v7
	v_cndmask_b32_e32 v0, 3, v0, vcc_lo
	v_and_b32_e32 v7, 0xfc, v7
	s_delay_alu instid0(VALU_DEP_2) | instskip(NEXT) | instid1(VALU_DEP_2)
	v_cmp_eq_u64_e32 vcc_lo, 0, v[0:1]
	v_and_or_b32 v0, v0, 3, v7
	s_and_b32 s10, s10, vcc_lo
	s_delay_alu instid0(VALU_DEP_1) | instid1(SALU_CYCLE_1)
	v_cndmask_b32_e64 v0, v0, 0, s10
	s_delay_alu instid0(VALU_DEP_1)
	v_or_b32_e32 v23, v0, v8
.LBB6_184:                              ;   in Loop: Header=BB6_130 Depth=2
	s_or_b32 exec_lo, exec_lo, s42
                                        ; implicit-def: $vgpr8
.LBB6_185:                              ;   in Loop: Header=BB6_130 Depth=2
	s_and_not1_saveexec_b32 s10, s15
; %bb.186:                              ;   in Loop: Header=BB6_130 Depth=2
	v_or_b32_e32 v23, 0x7b, v8
; %bb.187:                              ;   in Loop: Header=BB6_130 Depth=2
	s_or_b32 exec_lo, exec_lo, s10
                                        ; implicit-def: $vgpr6
                                        ; implicit-def: $vgpr0
.LBB6_188:                              ;   in Loop: Header=BB6_130 Depth=2
	s_and_not1_saveexec_b32 s10, s11
	s_cbranch_execz .LBB6_194
; %bb.189:                              ;   in Loop: Header=BB6_130 Depth=2
	s_mov_b32 s11, exec_lo
                                        ; implicit-def: $vgpr23
	v_cmpx_ne_u64_e32 0, v[24:25]
	s_xor_b32 s11, exec_lo, s11
; %bb.190:                              ;   in Loop: Header=BB6_130 Depth=2
	v_or_b32_e32 v23, 0x7f, v0
                                        ; implicit-def: $vgpr6
; %bb.191:                              ;   in Loop: Header=BB6_130 Depth=2
	s_and_not1_saveexec_b32 s11, s11
; %bb.192:                              ;   in Loop: Header=BB6_130 Depth=2
	v_cmp_lt_i32_e32 vcc_lo, -1, v6
	v_cndmask_b32_e32 v23, 0xfc, v93, vcc_lo
; %bb.193:                              ;   in Loop: Header=BB6_130 Depth=2
	s_or_b32 exec_lo, exec_lo, s11
.LBB6_194:                              ;   in Loop: Header=BB6_130 Depth=2
	s_delay_alu instid0(SALU_CYCLE_1) | instskip(SKIP_4) | instid1(VALU_DEP_2)
	s_or_b32 exec_lo, exec_lo, s10
	v_lshrrev_b16 v24, 8, v48
	v_lshrrev_b16 v0, 8, v36
	s_and_b32 vcc_lo, exec_lo, s14
	s_mov_b32 s11, -1
                                        ; implicit-def: $vgpr1
	v_and_b32_e32 v6, 0xffff, v24
	v_cmp_ne_u16_e64 s10, 0, v24
	s_cbranch_vccz .LBB6_216
; %bb.195:                              ;   in Loop: Header=BB6_130 Depth=2
	v_dual_mov_b32 v1, 0 :: v_dual_mov_b32 v7, 0
	s_and_saveexec_b32 s11, s10
	s_cbranch_execz .LBB6_205
; %bb.196:                              ;   in Loop: Header=BB6_130 Depth=2
	v_bfrev_b32_e32 v7, 1
	s_mov_b32 s15, exec_lo
	v_cmpx_ne_u16_e32 0x80, v24
	s_cbranch_execz .LBB6_204
; %bb.197:                              ;   in Loop: Header=BB6_130 Depth=2
	v_and_b32_e32 v7, 0x7c, v6
	v_and_b32_e32 v8, 3, v6
	s_delay_alu instid0(VALU_DEP_2) | instskip(SKIP_1) | instid1(SALU_CYCLE_1)
	v_cmp_ne_u32_e32 vcc_lo, 0x7c, v7
                                        ; implicit-def: $vgpr7
	s_and_saveexec_b32 s42, vcc_lo
	s_xor_b32 s42, exec_lo, s42
	s_cbranch_execz .LBB6_201
; %bb.198:                              ;   in Loop: Header=BB6_130 Depth=2
	v_bfe_u32 v7, v6, 2, 5
	s_mov_b32 s43, exec_lo
	s_delay_alu instid0(VALU_DEP_1)
	v_cmpx_eq_u32_e32 0, v7
; %bb.199:                              ;   in Loop: Header=BB6_130 Depth=2
	v_clz_i32_u32_e32 v7, v8
	s_delay_alu instid0(VALU_DEP_1) | instskip(NEXT) | instid1(VALU_DEP_1)
	v_min_u32_e32 v7, 32, v7
	v_subrev_nc_u32_e32 v8, 29, v7
	s_delay_alu instid0(VALU_DEP_1) | instskip(NEXT) | instid1(VALU_DEP_1)
	v_lshlrev_b64_e32 v[8:9], v8, v[24:25]
	v_dual_sub_nc_u32 v7, 30, v7 :: v_dual_bitop2_b32 v8, 3, v8 bitop3:0x40
; %bb.200:                              ;   in Loop: Header=BB6_130 Depth=2
	s_or_b32 exec_lo, exec_lo, s43
	v_lshlrev_b32_e32 v9, 16, v48
	s_delay_alu instid0(VALU_DEP_1) | instskip(NEXT) | instid1(VALU_DEP_1)
	v_and_b32_e32 v9, 0x80000000, v9
	v_lshl_add_u32 v7, v7, 23, v9
	s_delay_alu instid0(VALU_DEP_1) | instskip(NEXT) | instid1(VALU_DEP_1)
	v_lshl_or_b32 v7, v8, 21, v7
                                        ; implicit-def: $vgpr8
	v_add_nc_u32_e32 v7, 0x38000000, v7
.LBB6_201:                              ;   in Loop: Header=BB6_130 Depth=2
	s_and_not1_saveexec_b32 s42, s42
; %bb.202:                              ;   in Loop: Header=BB6_130 Depth=2
	v_cmp_lt_i16_e32 vcc_lo, -1, v48
	v_cndmask_b32_e32 v7, 0xff800000, v62, vcc_lo
	v_cmp_eq_u32_e32 vcc_lo, 0, v8
	s_delay_alu instid0(VALU_DEP_2)
	v_cndmask_b32_e32 v7, 0x7f800001, v7, vcc_lo
; %bb.203:                              ;   in Loop: Header=BB6_130 Depth=2
	s_or_b32 exec_lo, exec_lo, s42
.LBB6_204:                              ;   in Loop: Header=BB6_130 Depth=2
	s_delay_alu instid0(SALU_CYCLE_1)
	s_or_b32 exec_lo, exec_lo, s15
.LBB6_205:                              ;   in Loop: Header=BB6_130 Depth=2
	s_delay_alu instid0(SALU_CYCLE_1) | instskip(NEXT) | instid1(SALU_CYCLE_1)
	s_or_b32 exec_lo, exec_lo, s11
	s_mov_b32 s11, exec_lo
	v_cmpx_ne_u16_e32 0, v0
	s_cbranch_execz .LBB6_215
; %bb.206:                              ;   in Loop: Header=BB6_130 Depth=2
	v_bfrev_b32_e32 v1, 1
	s_mov_b32 s15, exec_lo
	v_cmpx_ne_u16_e32 0x80, v0
	s_cbranch_execz .LBB6_214
; %bb.207:                              ;   in Loop: Header=BB6_130 Depth=2
	v_and_b32_e32 v9, 0xffff, v0
	s_delay_alu instid0(VALU_DEP_1) | instskip(SKIP_1) | instid1(VALU_DEP_2)
	v_and_b32_e32 v1, 0x7c, v9
	v_and_b32_e32 v8, 3, v9
	v_cmp_ne_u32_e32 vcc_lo, 0x7c, v1
                                        ; implicit-def: $vgpr1
	s_and_saveexec_b32 s42, vcc_lo
	s_delay_alu instid0(SALU_CYCLE_1)
	s_xor_b32 s42, exec_lo, s42
	s_cbranch_execz .LBB6_211
; %bb.208:                              ;   in Loop: Header=BB6_130 Depth=2
	v_bfe_u32 v1, v9, 2, 5
	s_mov_b32 s43, exec_lo
	s_delay_alu instid0(VALU_DEP_1)
	v_cmpx_eq_u32_e32 0, v1
; %bb.209:                              ;   in Loop: Header=BB6_130 Depth=2
	v_clz_i32_u32_e32 v1, v8
	s_delay_alu instid0(VALU_DEP_1) | instskip(SKIP_1) | instid1(VALU_DEP_2)
	v_min_u32_e32 v30, 32, v1
	v_mov_b32_e32 v1, v25
	v_subrev_nc_u32_e32 v8, 29, v30
	s_delay_alu instid0(VALU_DEP_1) | instskip(NEXT) | instid1(VALU_DEP_1)
	v_lshlrev_b64_e32 v[8:9], v8, v[0:1]
	v_dual_sub_nc_u32 v1, 30, v30 :: v_dual_bitop2_b32 v8, 3, v8 bitop3:0x40
; %bb.210:                              ;   in Loop: Header=BB6_130 Depth=2
	s_or_b32 exec_lo, exec_lo, s43
	v_lshlrev_b32_e32 v9, 16, v36
	s_delay_alu instid0(VALU_DEP_1) | instskip(NEXT) | instid1(VALU_DEP_1)
	v_and_b32_e32 v9, 0x80000000, v9
	v_lshl_add_u32 v1, v1, 23, v9
	s_delay_alu instid0(VALU_DEP_1) | instskip(NEXT) | instid1(VALU_DEP_1)
	v_lshl_or_b32 v1, v8, 21, v1
                                        ; implicit-def: $vgpr8
	v_add_nc_u32_e32 v1, 0x38000000, v1
.LBB6_211:                              ;   in Loop: Header=BB6_130 Depth=2
	s_and_not1_saveexec_b32 s42, s42
; %bb.212:                              ;   in Loop: Header=BB6_130 Depth=2
	v_cmp_lt_i16_e32 vcc_lo, -1, v36
	v_cndmask_b32_e32 v1, 0xff800000, v62, vcc_lo
	v_cmp_eq_u32_e32 vcc_lo, 0, v8
	s_delay_alu instid0(VALU_DEP_2)
	v_cndmask_b32_e32 v1, 0x7f800001, v1, vcc_lo
; %bb.213:                              ;   in Loop: Header=BB6_130 Depth=2
	s_or_b32 exec_lo, exec_lo, s42
.LBB6_214:                              ;   in Loop: Header=BB6_130 Depth=2
	s_delay_alu instid0(SALU_CYCLE_1)
	s_or_b32 exec_lo, exec_lo, s15
.LBB6_215:                              ;   in Loop: Header=BB6_130 Depth=2
	s_delay_alu instid0(SALU_CYCLE_1) | instskip(NEXT) | instid1(VALU_DEP_1)
	s_or_b32 exec_lo, exec_lo, s11
	v_dual_max_num_f32 v1, v1, v1 :: v_dual_max_num_f32 v7, v7, v7
	s_mov_b32 s11, 0
	s_delay_alu instid0(VALU_DEP_1)
	v_max_num_f32_e32 v1, v7, v1
.LBB6_216:                              ;   in Loop: Header=BB6_130 Depth=2
	s_and_b32 vcc_lo, exec_lo, s11
	s_cbranch_vccz .LBB6_238
; %bb.217:                              ;   in Loop: Header=BB6_130 Depth=2
	v_dual_mov_b32 v1, 0 :: v_dual_mov_b32 v7, 0
	s_and_saveexec_b32 s11, s10
	s_cbranch_execz .LBB6_227
; %bb.218:                              ;   in Loop: Header=BB6_130 Depth=2
	v_bfrev_b32_e32 v7, 1
	s_mov_b32 s10, exec_lo
	v_cmpx_ne_u16_e32 0x80, v24
	s_cbranch_execz .LBB6_226
; %bb.219:                              ;   in Loop: Header=BB6_130 Depth=2
	v_and_b32_e32 v7, 0x7c, v6
	v_and_b32_e32 v8, 3, v6
	s_delay_alu instid0(VALU_DEP_2) | instskip(SKIP_1) | instid1(SALU_CYCLE_1)
	v_cmp_ne_u32_e32 vcc_lo, 0x7c, v7
                                        ; implicit-def: $vgpr7
	s_and_saveexec_b32 s15, vcc_lo
	s_xor_b32 s15, exec_lo, s15
	s_cbranch_execz .LBB6_223
; %bb.220:                              ;   in Loop: Header=BB6_130 Depth=2
	v_bfe_u32 v6, v6, 2, 5
	s_mov_b32 s42, exec_lo
	s_delay_alu instid0(VALU_DEP_1)
	v_cmpx_eq_u32_e32 0, v6
; %bb.221:                              ;   in Loop: Header=BB6_130 Depth=2
	v_clz_i32_u32_e32 v6, v8
	s_delay_alu instid0(VALU_DEP_1) | instskip(NEXT) | instid1(VALU_DEP_1)
	v_min_u32_e32 v6, 32, v6
	v_subrev_nc_u32_e32 v7, 29, v6
	s_delay_alu instid0(VALU_DEP_1) | instskip(NEXT) | instid1(VALU_DEP_1)
	v_lshlrev_b64_e32 v[8:9], v7, v[24:25]
	v_dual_sub_nc_u32 v6, 30, v6 :: v_dual_bitop2_b32 v8, 3, v8 bitop3:0x40
; %bb.222:                              ;   in Loop: Header=BB6_130 Depth=2
	s_or_b32 exec_lo, exec_lo, s42
	v_lshlrev_b32_e32 v7, 16, v48
	s_delay_alu instid0(VALU_DEP_1) | instskip(NEXT) | instid1(VALU_DEP_1)
	v_and_b32_e32 v7, 0x80000000, v7
	v_lshl_add_u32 v6, v6, 23, v7
	s_delay_alu instid0(VALU_DEP_1) | instskip(NEXT) | instid1(VALU_DEP_1)
	v_lshl_or_b32 v6, v8, 21, v6
                                        ; implicit-def: $vgpr8
	v_add_nc_u32_e32 v7, 0x38000000, v6
.LBB6_223:                              ;   in Loop: Header=BB6_130 Depth=2
	s_and_not1_saveexec_b32 s15, s15
; %bb.224:                              ;   in Loop: Header=BB6_130 Depth=2
	v_cmp_lt_i16_e32 vcc_lo, -1, v48
	v_cndmask_b32_e32 v6, 0xff800000, v62, vcc_lo
	v_cmp_eq_u32_e32 vcc_lo, 0, v8
	s_delay_alu instid0(VALU_DEP_2)
	v_cndmask_b32_e32 v7, 0x7f800001, v6, vcc_lo
; %bb.225:                              ;   in Loop: Header=BB6_130 Depth=2
	s_or_b32 exec_lo, exec_lo, s15
.LBB6_226:                              ;   in Loop: Header=BB6_130 Depth=2
	s_delay_alu instid0(SALU_CYCLE_1)
	s_or_b32 exec_lo, exec_lo, s10
.LBB6_227:                              ;   in Loop: Header=BB6_130 Depth=2
	s_delay_alu instid0(SALU_CYCLE_1) | instskip(NEXT) | instid1(SALU_CYCLE_1)
	s_or_b32 exec_lo, exec_lo, s11
	s_mov_b32 s10, exec_lo
	v_cmpx_ne_u16_e32 0, v0
	s_cbranch_execz .LBB6_237
; %bb.228:                              ;   in Loop: Header=BB6_130 Depth=2
	v_bfrev_b32_e32 v1, 1
	s_mov_b32 s11, exec_lo
	v_cmpx_ne_u16_e32 0x80, v0
	s_cbranch_execz .LBB6_236
; %bb.229:                              ;   in Loop: Header=BB6_130 Depth=2
	v_and_b32_e32 v8, 0xffff, v0
	s_delay_alu instid0(VALU_DEP_1) | instskip(SKIP_1) | instid1(VALU_DEP_2)
	v_and_b32_e32 v1, 0x7c, v8
	v_and_b32_e32 v6, 3, v8
	v_cmp_ne_u32_e32 vcc_lo, 0x7c, v1
                                        ; implicit-def: $vgpr1
	s_and_saveexec_b32 s15, vcc_lo
	s_delay_alu instid0(SALU_CYCLE_1)
	s_xor_b32 s15, exec_lo, s15
	s_cbranch_execz .LBB6_233
; %bb.230:                              ;   in Loop: Header=BB6_130 Depth=2
	v_bfe_u32 v1, v8, 2, 5
	s_mov_b32 s42, exec_lo
	s_delay_alu instid0(VALU_DEP_1)
	v_cmpx_eq_u32_e32 0, v1
; %bb.231:                              ;   in Loop: Header=BB6_130 Depth=2
	v_clz_i32_u32_e32 v1, v6
	s_delay_alu instid0(VALU_DEP_1) | instskip(SKIP_1) | instid1(VALU_DEP_2)
	v_min_u32_e32 v6, 32, v1
	v_mov_b32_e32 v1, v25
	v_subrev_nc_u32_e32 v8, 29, v6
	s_delay_alu instid0(VALU_DEP_1) | instskip(NEXT) | instid1(VALU_DEP_1)
	v_lshlrev_b64_e32 v[0:1], v8, v[0:1]
	v_dual_sub_nc_u32 v1, 30, v6 :: v_dual_bitop2_b32 v6, 3, v0 bitop3:0x40
; %bb.232:                              ;   in Loop: Header=BB6_130 Depth=2
	s_or_b32 exec_lo, exec_lo, s42
	v_lshlrev_b32_e32 v0, 16, v36
	s_delay_alu instid0(VALU_DEP_1) | instskip(NEXT) | instid1(VALU_DEP_1)
	v_and_b32_e32 v0, 0x80000000, v0
	v_lshl_add_u32 v0, v1, 23, v0
	s_delay_alu instid0(VALU_DEP_1) | instskip(NEXT) | instid1(VALU_DEP_1)
	v_lshl_or_b32 v0, v6, 21, v0
                                        ; implicit-def: $vgpr6
	v_add_nc_u32_e32 v1, 0x38000000, v0
.LBB6_233:                              ;   in Loop: Header=BB6_130 Depth=2
	s_and_not1_saveexec_b32 s15, s15
; %bb.234:                              ;   in Loop: Header=BB6_130 Depth=2
	v_cmp_lt_i16_e32 vcc_lo, -1, v36
	v_cndmask_b32_e32 v0, 0xff800000, v62, vcc_lo
	v_cmp_eq_u32_e32 vcc_lo, 0, v6
	s_delay_alu instid0(VALU_DEP_2)
	v_cndmask_b32_e32 v1, 0x7f800001, v0, vcc_lo
; %bb.235:                              ;   in Loop: Header=BB6_130 Depth=2
	s_or_b32 exec_lo, exec_lo, s15
.LBB6_236:                              ;   in Loop: Header=BB6_130 Depth=2
	s_delay_alu instid0(SALU_CYCLE_1)
	s_or_b32 exec_lo, exec_lo, s11
.LBB6_237:                              ;   in Loop: Header=BB6_130 Depth=2
	s_delay_alu instid0(SALU_CYCLE_1) | instskip(NEXT) | instid1(VALU_DEP_1)
	s_or_b32 exec_lo, exec_lo, s10
	v_dual_max_num_f32 v0, v1, v1 :: v_dual_max_num_f32 v1, v7, v7
	s_delay_alu instid0(VALU_DEP_1)
	v_min_num_f32_e32 v1, v1, v0
.LBB6_238:                              ;   in Loop: Header=BB6_130 Depth=2
	s_delay_alu instid0(VALU_DEP_1) | instskip(SKIP_3) | instid1(VALU_DEP_2)
	v_and_b32_e32 v6, 0x7f800000, v1
	v_dual_mov_b32 v7, v25 :: v_dual_lshrrev_b32 v0, 24, v1
	v_and_b32_e32 v24, 0x7fffff, v1
                                        ; implicit-def: $vgpr30
	s_mov_b32 s10, exec_lo
	v_cmpx_ne_u64_e32 0x7f800000, v[6:7]
	s_xor_b32 s11, exec_lo, s10
	s_cbranch_execz .LBB6_252
; %bb.239:                              ;   in Loop: Header=BB6_130 Depth=2
	v_and_b32_e32 v6, 0x7fffffff, v1
	v_mov_b32_e32 v7, v25
	v_and_b32_e32 v8, 0x80, v0
                                        ; implicit-def: $vgpr30
	s_mov_b32 s10, exec_lo
	s_delay_alu instid0(VALU_DEP_2)
	v_cmpx_gt_u64_e32 0x47600001, v[6:7]
	s_xor_b32 s15, exec_lo, s10
	s_cbranch_execz .LBB6_249
; %bb.240:                              ;   in Loop: Header=BB6_130 Depth=2
	v_mov_b32_e32 v30, 0
	s_mov_b32 s42, exec_lo
	v_cmpx_ne_u32_e32 0, v1
	s_cbranch_execz .LBB6_248
; %bb.241:                              ;   in Loop: Header=BB6_130 Depth=2
	v_bfe_u32 v9, v1, 23, 8
	v_or_b32_e32 v6, 0x800000, v24
	s_delay_alu instid0(VALU_DEP_2) | instskip(SKIP_1) | instid1(VALU_DEP_2)
	v_sub_nc_u32_e32 v0, 0x71, v9
	v_cmp_gt_u32_e32 vcc_lo, 0x72, v9
	v_cndmask_b32_e32 v0, 0, v0, vcc_lo
	v_cmp_eq_u32_e32 vcc_lo, 0, v9
	s_delay_alu instid0(VALU_DEP_2) | instskip(NEXT) | instid1(VALU_DEP_1)
	v_cndmask_b32_e64 v30, v0, 0x70, vcc_lo
	v_dual_cndmask_b32 v24, v6, v24, vcc_lo :: v_dual_add_nc_u32 v0, 21, v30
	v_add_nc_u32_e32 v7, 20, v30
	s_delay_alu instid0(VALU_DEP_2) | instskip(NEXT) | instid1(VALU_DEP_2)
	v_lshlrev_b64_e64 v[0:1], v0, -1
	v_lshlrev_b64_e64 v[6:7], v7, 1
	s_delay_alu instid0(VALU_DEP_2) | instskip(NEXT) | instid1(VALU_DEP_3)
	v_bfi_b32 v53, v1, 0, 0
	v_bfi_b32 v52, v0, 0, v24
	v_lshrrev_b64 v[0:1], v30, v[24:25]
	s_delay_alu instid0(VALU_DEP_2) | instskip(NEXT) | instid1(VALU_DEP_2)
	v_cmp_eq_u64_e64 s10, v[52:53], v[6:7]
	v_mov_b64_e32 v[6:7], v[0:1]
	s_and_saveexec_b32 s43, s10
; %bb.242:                              ;   in Loop: Header=BB6_130 Depth=2
	v_bfe_u32 v24, v0, 21, 1
	s_delay_alu instid0(VALU_DEP_1) | instskip(NEXT) | instid1(VALU_DEP_1)
	v_add_nc_u64_e32 v[6:7], v[0:1], v[24:25]
	v_add_nc_u64_e32 v[6:7], -1, v[6:7]
; %bb.243:                              ;   in Loop: Header=BB6_130 Depth=2
	s_or_b32 exec_lo, exec_lo, s43
	v_add_nc_u32_e32 v1, 0xffffff81, v9
	v_lshrrev_b32_e32 v7, 23, v0
	s_mov_b32 s10, exec_lo
	s_delay_alu instid0(VALU_DEP_2) | instskip(NEXT) | instid1(VALU_DEP_1)
	v_cndmask_b32_e64 v1, v1, 0xffffff82, vcc_lo
	v_add3_u32 v7, v30, v1, v7
	v_and_b32_e32 v1, 0x1fffff, v6
                                        ; implicit-def: $vgpr6
	s_delay_alu instid0(VALU_DEP_1) | instskip(NEXT) | instid1(VALU_DEP_1)
	v_dual_add_nc_u32 v9, 14, v7 :: v_dual_add_nc_u32 v24, v1, v0
                                        ; implicit-def: $vgpr0_vgpr1
	v_cmpx_ne_u32_e32 0, v9
	s_xor_b32 s10, exec_lo, s10
; %bb.244:                              ;   in Loop: Header=BB6_130 Depth=2
	s_delay_alu instid0(VALU_DEP_2) | instskip(SKIP_1) | instid1(VALU_DEP_1)
	v_cmp_lt_u64_e32 vcc_lo, 0xffffff, v[24:25]
	v_add_nc_u32_e32 v0, 15, v7
	v_cndmask_b32_e32 v6, v9, v0, vcc_lo
	v_cndmask_b32_e64 v0, 0, 1, vcc_lo
	s_delay_alu instid0(VALU_DEP_1)
	v_lshrrev_b64 v[0:1], v0, v[24:25]
; %bb.245:                              ;   in Loop: Header=BB6_130 Depth=2
	s_and_not1_saveexec_b32 s10, s10
; %bb.246:                              ;   in Loop: Header=BB6_130 Depth=2
	v_mov_b64_e32 v[0:1], v[24:25]
	v_bfe_u32 v6, v24, 23, 1
; %bb.247:                              ;   in Loop: Header=BB6_130 Depth=2
	s_or_b32 exec_lo, exec_lo, s10
	s_delay_alu instid0(VALU_DEP_2) | instskip(NEXT) | instid1(VALU_DEP_2)
	v_lshrrev_b64 v[0:1], 21, v[0:1]
	v_cmp_gt_i32_e32 vcc_lo, 32, v6
	v_min_i32_e32 v7, 31, v6
	v_cmp_eq_u32_e64 s10, 0, v6
	s_delay_alu instid0(VALU_DEP_2) | instskip(SKIP_1) | instid1(VALU_DEP_2)
	v_dual_cndmask_b32 v1, 0, v1, vcc_lo :: v_dual_lshlrev_b32 v7, 2, v7
	v_cndmask_b32_e32 v0, 3, v0, vcc_lo
	v_and_b32_e32 v7, 0xfc, v7
	s_delay_alu instid0(VALU_DEP_2) | instskip(NEXT) | instid1(VALU_DEP_2)
	v_cmp_eq_u64_e32 vcc_lo, 0, v[0:1]
	v_and_or_b32 v0, v0, 3, v7
	s_and_b32 s10, s10, vcc_lo
	s_delay_alu instid0(VALU_DEP_1) | instid1(SALU_CYCLE_1)
	v_cndmask_b32_e64 v0, v0, 0, s10
	s_delay_alu instid0(VALU_DEP_1)
	v_or_b32_e32 v30, v0, v8
.LBB6_248:                              ;   in Loop: Header=BB6_130 Depth=2
	s_or_b32 exec_lo, exec_lo, s42
                                        ; implicit-def: $vgpr8
.LBB6_249:                              ;   in Loop: Header=BB6_130 Depth=2
	s_and_not1_saveexec_b32 s10, s15
; %bb.250:                              ;   in Loop: Header=BB6_130 Depth=2
	v_or_b32_e32 v30, 0x7b, v8
; %bb.251:                              ;   in Loop: Header=BB6_130 Depth=2
	s_or_b32 exec_lo, exec_lo, s10
                                        ; implicit-def: $vgpr1
                                        ; implicit-def: $vgpr0
.LBB6_252:                              ;   in Loop: Header=BB6_130 Depth=2
	s_and_not1_saveexec_b32 s10, s11
	s_cbranch_execz .LBB6_258
; %bb.253:                              ;   in Loop: Header=BB6_130 Depth=2
	s_mov_b32 s11, exec_lo
                                        ; implicit-def: $vgpr30
	v_cmpx_ne_u64_e32 0, v[24:25]
	s_xor_b32 s11, exec_lo, s11
; %bb.254:                              ;   in Loop: Header=BB6_130 Depth=2
	v_or_b32_e32 v30, 0x7f, v0
                                        ; implicit-def: $vgpr1
; %bb.255:                              ;   in Loop: Header=BB6_130 Depth=2
	s_and_not1_saveexec_b32 s11, s11
; %bb.256:                              ;   in Loop: Header=BB6_130 Depth=2
	v_cmp_lt_i32_e32 vcc_lo, -1, v1
	v_cndmask_b32_e32 v30, 0xfc, v93, vcc_lo
; %bb.257:                              ;   in Loop: Header=BB6_130 Depth=2
	s_or_b32 exec_lo, exec_lo, s11
.LBB6_258:                              ;   in Loop: Header=BB6_130 Depth=2
	s_delay_alu instid0(SALU_CYCLE_1) | instskip(SKIP_4) | instid1(VALU_DEP_2)
	s_or_b32 exec_lo, exec_lo, s10
	v_lshrrev_b32_e32 v6, 16, v48
	v_lshrrev_b32_e32 v0, 16, v36
	s_and_b32 vcc_lo, exec_lo, s14
	s_mov_b32 s11, -1
                                        ; implicit-def: $vgpr7
	v_and_b32_e32 v1, 0xff, v6
	s_delay_alu instid0(VALU_DEP_1)
	v_cmp_ne_u16_e64 s10, 0, v1
	s_cbranch_vccz .LBB6_280
; %bb.259:                              ;   in Loop: Header=BB6_130 Depth=2
	v_dual_mov_b32 v8, 0 :: v_dual_mov_b32 v7, 0
	s_and_saveexec_b32 s11, s10
	s_cbranch_execz .LBB6_269
; %bb.260:                              ;   in Loop: Header=BB6_130 Depth=2
	v_bfrev_b32_e32 v7, 1
	s_mov_b32 s15, exec_lo
	v_cmpx_ne_u16_e32 0x80, v1
	s_cbranch_execz .LBB6_268
; %bb.261:                              ;   in Loop: Header=BB6_130 Depth=2
	v_and_b32_e32 v7, 0x7c0000, v48
	v_bfe_u32 v9, v48, 16, 2
	s_delay_alu instid0(VALU_DEP_2) | instskip(SKIP_1) | instid1(SALU_CYCLE_1)
	v_cmp_ne_u32_e32 vcc_lo, 0x7c0000, v7
                                        ; implicit-def: $vgpr7
	s_and_saveexec_b32 s42, vcc_lo
	s_xor_b32 s42, exec_lo, s42
	s_cbranch_execz .LBB6_265
; %bb.262:                              ;   in Loop: Header=BB6_130 Depth=2
	v_bfe_u32 v7, v48, 18, 5
	s_mov_b32 s43, exec_lo
	s_delay_alu instid0(VALU_DEP_1)
	v_cmpx_eq_u32_e32 0, v7
; %bb.263:                              ;   in Loop: Header=BB6_130 Depth=2
	v_clz_i32_u32_e32 v7, v9
	s_delay_alu instid0(VALU_DEP_1) | instskip(NEXT) | instid1(VALU_DEP_1)
	v_min_u32_e32 v7, 32, v7
	v_subrev_nc_u32_e32 v9, 29, v7
	s_delay_alu instid0(VALU_DEP_1) | instskip(NEXT) | instid1(VALU_DEP_1)
	v_lshlrev_b64_e32 v[52:53], v9, v[6:7]
	v_dual_sub_nc_u32 v7, 30, v7 :: v_dual_bitop2_b32 v9, 3, v52 bitop3:0x40
; %bb.264:                              ;   in Loop: Header=BB6_130 Depth=2
	s_or_b32 exec_lo, exec_lo, s43
	v_lshlrev_b32_e32 v24, 24, v6
	s_delay_alu instid0(VALU_DEP_1) | instskip(NEXT) | instid1(VALU_DEP_1)
	v_and_b32_e32 v24, 0x80000000, v24
	v_lshl_add_u32 v7, v7, 23, v24
	s_delay_alu instid0(VALU_DEP_1) | instskip(NEXT) | instid1(VALU_DEP_1)
	v_lshl_or_b32 v7, v9, 21, v7
                                        ; implicit-def: $vgpr9
	v_add_nc_u32_e32 v7, 0x38000000, v7
.LBB6_265:                              ;   in Loop: Header=BB6_130 Depth=2
	s_and_not1_saveexec_b32 s42, s42
; %bb.266:                              ;   in Loop: Header=BB6_130 Depth=2
	v_bfe_i32 v7, v6, 0, 8
	s_delay_alu instid0(VALU_DEP_1) | instskip(SKIP_2) | instid1(VALU_DEP_2)
	v_cmp_lt_i16_e32 vcc_lo, -1, v7
	v_cndmask_b32_e32 v7, 0xff800000, v62, vcc_lo
	v_cmp_eq_u32_e32 vcc_lo, 0, v9
	v_cndmask_b32_e32 v7, 0x7f800001, v7, vcc_lo
; %bb.267:                              ;   in Loop: Header=BB6_130 Depth=2
	s_or_b32 exec_lo, exec_lo, s42
.LBB6_268:                              ;   in Loop: Header=BB6_130 Depth=2
	s_delay_alu instid0(SALU_CYCLE_1)
	s_or_b32 exec_lo, exec_lo, s15
.LBB6_269:                              ;   in Loop: Header=BB6_130 Depth=2
	s_delay_alu instid0(SALU_CYCLE_1) | instskip(SKIP_2) | instid1(VALU_DEP_1)
	s_or_b32 exec_lo, exec_lo, s11
	v_and_b32_e32 v9, 0xff, v0
	s_mov_b32 s11, exec_lo
	v_cmpx_ne_u16_e32 0, v9
	s_cbranch_execz .LBB6_279
; %bb.270:                              ;   in Loop: Header=BB6_130 Depth=2
	v_bfrev_b32_e32 v8, 1
	s_mov_b32 s15, exec_lo
	v_cmpx_ne_u16_e32 0x80, v9
	s_cbranch_execz .LBB6_278
; %bb.271:                              ;   in Loop: Header=BB6_130 Depth=2
	v_and_b32_e32 v8, 0x7c0000, v36
	v_bfe_u32 v9, v36, 16, 2
	s_delay_alu instid0(VALU_DEP_2) | instskip(SKIP_1) | instid1(SALU_CYCLE_1)
	v_cmp_ne_u32_e32 vcc_lo, 0x7c0000, v8
                                        ; implicit-def: $vgpr8
	s_and_saveexec_b32 s42, vcc_lo
	s_xor_b32 s42, exec_lo, s42
	s_cbranch_execz .LBB6_275
; %bb.272:                              ;   in Loop: Header=BB6_130 Depth=2
	v_bfe_u32 v8, v36, 18, 5
	s_mov_b32 s43, exec_lo
	s_delay_alu instid0(VALU_DEP_1)
	v_cmpx_eq_u32_e32 0, v8
; %bb.273:                              ;   in Loop: Header=BB6_130 Depth=2
	v_clz_i32_u32_e32 v8, v9
	s_delay_alu instid0(VALU_DEP_1) | instskip(NEXT) | instid1(VALU_DEP_1)
	v_min_u32_e32 v8, 32, v8
	v_subrev_nc_u32_e32 v9, 29, v8
	v_sub_nc_u32_e32 v8, 30, v8
	s_delay_alu instid0(VALU_DEP_2) | instskip(NEXT) | instid1(VALU_DEP_1)
	v_lshlrev_b64_e32 v[52:53], v9, v[0:1]
	v_and_b32_e32 v9, 3, v52
; %bb.274:                              ;   in Loop: Header=BB6_130 Depth=2
	s_or_b32 exec_lo, exec_lo, s43
	v_lshlrev_b32_e32 v24, 24, v0
	s_delay_alu instid0(VALU_DEP_1) | instskip(NEXT) | instid1(VALU_DEP_1)
	v_and_b32_e32 v24, 0x80000000, v24
	v_lshl_add_u32 v8, v8, 23, v24
	s_delay_alu instid0(VALU_DEP_1) | instskip(NEXT) | instid1(VALU_DEP_1)
	v_lshl_or_b32 v8, v9, 21, v8
                                        ; implicit-def: $vgpr9
	v_add_nc_u32_e32 v8, 0x38000000, v8
.LBB6_275:                              ;   in Loop: Header=BB6_130 Depth=2
	s_and_not1_saveexec_b32 s42, s42
; %bb.276:                              ;   in Loop: Header=BB6_130 Depth=2
	v_bfe_i32 v8, v0, 0, 8
	s_delay_alu instid0(VALU_DEP_1) | instskip(SKIP_2) | instid1(VALU_DEP_2)
	v_cmp_lt_i16_e32 vcc_lo, -1, v8
	v_cndmask_b32_e32 v8, 0xff800000, v62, vcc_lo
	v_cmp_eq_u32_e32 vcc_lo, 0, v9
	v_cndmask_b32_e32 v8, 0x7f800001, v8, vcc_lo
; %bb.277:                              ;   in Loop: Header=BB6_130 Depth=2
	s_or_b32 exec_lo, exec_lo, s42
.LBB6_278:                              ;   in Loop: Header=BB6_130 Depth=2
	s_delay_alu instid0(SALU_CYCLE_1)
	s_or_b32 exec_lo, exec_lo, s15
.LBB6_279:                              ;   in Loop: Header=BB6_130 Depth=2
	s_delay_alu instid0(SALU_CYCLE_1) | instskip(NEXT) | instid1(VALU_DEP_1)
	s_or_b32 exec_lo, exec_lo, s11
	v_dual_max_num_f32 v8, v8, v8 :: v_dual_max_num_f32 v7, v7, v7
	s_mov_b32 s11, 0
	s_delay_alu instid0(VALU_DEP_1)
	v_max_num_f32_e32 v7, v7, v8
.LBB6_280:                              ;   in Loop: Header=BB6_130 Depth=2
	s_and_b32 vcc_lo, exec_lo, s11
	s_cbranch_vccz .LBB6_302
; %bb.281:                              ;   in Loop: Header=BB6_130 Depth=2
	v_dual_mov_b32 v8, 0 :: v_dual_mov_b32 v7, 0
	s_and_saveexec_b32 s11, s10
	s_cbranch_execz .LBB6_291
; %bb.282:                              ;   in Loop: Header=BB6_130 Depth=2
	v_bfrev_b32_e32 v7, 1
	s_mov_b32 s10, exec_lo
	v_cmpx_ne_u16_e32 0x80, v1
	s_cbranch_execz .LBB6_290
; %bb.283:                              ;   in Loop: Header=BB6_130 Depth=2
	v_and_b32_e32 v7, 0x7c0000, v48
	v_bfe_u32 v1, v48, 16, 2
	s_delay_alu instid0(VALU_DEP_2) | instskip(SKIP_1) | instid1(SALU_CYCLE_1)
	v_cmp_ne_u32_e32 vcc_lo, 0x7c0000, v7
                                        ; implicit-def: $vgpr7
	s_and_saveexec_b32 s15, vcc_lo
	s_xor_b32 s15, exec_lo, s15
	s_cbranch_execz .LBB6_287
; %bb.284:                              ;   in Loop: Header=BB6_130 Depth=2
	v_bfe_u32 v7, v48, 18, 5
	s_mov_b32 s42, exec_lo
	s_delay_alu instid0(VALU_DEP_1)
	v_cmpx_eq_u32_e32 0, v7
; %bb.285:                              ;   in Loop: Header=BB6_130 Depth=2
	v_clz_i32_u32_e32 v1, v1
	s_delay_alu instid0(VALU_DEP_1) | instskip(NEXT) | instid1(VALU_DEP_1)
	v_min_u32_e32 v1, 32, v1
	v_subrev_nc_u32_e32 v7, 29, v1
	s_delay_alu instid0(VALU_DEP_1) | instskip(NEXT) | instid1(VALU_DEP_1)
	v_lshlrev_b64_e32 v[52:53], v7, v[6:7]
	v_dual_sub_nc_u32 v7, 30, v1 :: v_dual_bitop2_b32 v1, 3, v52 bitop3:0x40
; %bb.286:                              ;   in Loop: Header=BB6_130 Depth=2
	s_or_b32 exec_lo, exec_lo, s42
	v_lshlrev_b32_e32 v6, 24, v6
	s_delay_alu instid0(VALU_DEP_1) | instskip(NEXT) | instid1(VALU_DEP_1)
	v_and_b32_e32 v6, 0x80000000, v6
	v_lshl_add_u32 v6, v7, 23, v6
	s_delay_alu instid0(VALU_DEP_1) | instskip(NEXT) | instid1(VALU_DEP_1)
	v_lshl_or_b32 v1, v1, 21, v6
                                        ; implicit-def: $vgpr6
	v_add_nc_u32_e32 v7, 0x38000000, v1
                                        ; implicit-def: $vgpr1
.LBB6_287:                              ;   in Loop: Header=BB6_130 Depth=2
	s_and_not1_saveexec_b32 s15, s15
; %bb.288:                              ;   in Loop: Header=BB6_130 Depth=2
	v_bfe_i32 v6, v6, 0, 8
	s_delay_alu instid0(VALU_DEP_1) | instskip(SKIP_2) | instid1(VALU_DEP_2)
	v_cmp_lt_i16_e32 vcc_lo, -1, v6
	v_cndmask_b32_e32 v6, 0xff800000, v62, vcc_lo
	v_cmp_eq_u32_e32 vcc_lo, 0, v1
	v_cndmask_b32_e32 v7, 0x7f800001, v6, vcc_lo
; %bb.289:                              ;   in Loop: Header=BB6_130 Depth=2
	s_or_b32 exec_lo, exec_lo, s15
.LBB6_290:                              ;   in Loop: Header=BB6_130 Depth=2
	s_delay_alu instid0(SALU_CYCLE_1)
	s_or_b32 exec_lo, exec_lo, s10
.LBB6_291:                              ;   in Loop: Header=BB6_130 Depth=2
	s_delay_alu instid0(SALU_CYCLE_1) | instskip(SKIP_2) | instid1(VALU_DEP_1)
	s_or_b32 exec_lo, exec_lo, s11
	v_and_b32_e32 v1, 0xff, v0
	s_mov_b32 s10, exec_lo
	v_cmpx_ne_u16_e32 0, v1
	s_cbranch_execz .LBB6_301
; %bb.292:                              ;   in Loop: Header=BB6_130 Depth=2
	v_bfrev_b32_e32 v8, 1
	s_mov_b32 s11, exec_lo
	v_cmpx_ne_u16_e32 0x80, v1
	s_cbranch_execz .LBB6_300
; %bb.293:                              ;   in Loop: Header=BB6_130 Depth=2
	v_and_b32_e32 v6, 0x7c0000, v36
	v_bfe_u32 v1, v36, 16, 2
	s_mov_b32 s15, exec_lo
                                        ; implicit-def: $vgpr8
	s_delay_alu instid0(VALU_DEP_2)
	v_cmpx_ne_u32_e32 0x7c0000, v6
	s_xor_b32 s15, exec_lo, s15
	s_cbranch_execz .LBB6_297
; %bb.294:                              ;   in Loop: Header=BB6_130 Depth=2
	v_bfe_u32 v6, v36, 18, 5
	s_mov_b32 s42, exec_lo
	s_delay_alu instid0(VALU_DEP_1)
	v_cmpx_eq_u32_e32 0, v6
; %bb.295:                              ;   in Loop: Header=BB6_130 Depth=2
	v_clz_i32_u32_e32 v1, v1
	s_delay_alu instid0(VALU_DEP_1) | instskip(NEXT) | instid1(VALU_DEP_1)
	v_min_u32_e32 v1, 32, v1
	v_subrev_nc_u32_e32 v6, 29, v1
	s_delay_alu instid0(VALU_DEP_1) | instskip(NEXT) | instid1(VALU_DEP_1)
	v_lshlrev_b64_e32 v[8:9], v6, v[0:1]
	v_dual_sub_nc_u32 v6, 30, v1 :: v_dual_bitop2_b32 v1, 3, v8 bitop3:0x40
; %bb.296:                              ;   in Loop: Header=BB6_130 Depth=2
	s_or_b32 exec_lo, exec_lo, s42
	v_lshlrev_b32_e32 v0, 24, v0
	s_delay_alu instid0(VALU_DEP_1) | instskip(NEXT) | instid1(VALU_DEP_1)
	v_and_b32_e32 v0, 0x80000000, v0
	v_lshl_add_u32 v0, v6, 23, v0
	s_delay_alu instid0(VALU_DEP_1) | instskip(NEXT) | instid1(VALU_DEP_1)
	v_lshl_or_b32 v0, v1, 21, v0
                                        ; implicit-def: $vgpr1
	v_add_nc_u32_e32 v8, 0x38000000, v0
                                        ; implicit-def: $vgpr0
.LBB6_297:                              ;   in Loop: Header=BB6_130 Depth=2
	s_and_not1_saveexec_b32 s15, s15
; %bb.298:                              ;   in Loop: Header=BB6_130 Depth=2
	v_bfe_i32 v0, v0, 0, 8
	s_delay_alu instid0(VALU_DEP_1) | instskip(SKIP_2) | instid1(VALU_DEP_2)
	v_cmp_lt_i16_e32 vcc_lo, -1, v0
	v_cndmask_b32_e32 v0, 0xff800000, v62, vcc_lo
	v_cmp_eq_u32_e32 vcc_lo, 0, v1
	v_cndmask_b32_e32 v8, 0x7f800001, v0, vcc_lo
; %bb.299:                              ;   in Loop: Header=BB6_130 Depth=2
	s_or_b32 exec_lo, exec_lo, s15
.LBB6_300:                              ;   in Loop: Header=BB6_130 Depth=2
	s_delay_alu instid0(SALU_CYCLE_1)
	s_or_b32 exec_lo, exec_lo, s11
.LBB6_301:                              ;   in Loop: Header=BB6_130 Depth=2
	s_delay_alu instid0(SALU_CYCLE_1) | instskip(NEXT) | instid1(VALU_DEP_1)
	s_or_b32 exec_lo, exec_lo, s10
	v_dual_max_num_f32 v0, v8, v8 :: v_dual_max_num_f32 v1, v7, v7
	s_delay_alu instid0(VALU_DEP_1)
	v_min_num_f32_e32 v7, v1, v0
.LBB6_302:                              ;   in Loop: Header=BB6_130 Depth=2
	s_delay_alu instid0(VALU_DEP_1) | instskip(SKIP_2) | instid1(VALU_DEP_2)
	v_and_b32_e32 v0, 0x7f800000, v7
	v_mov_b32_e32 v1, v25
	v_and_b32_e32 v24, 0x7fffff, v7
                                        ; implicit-def: $vgpr31
	v_cmp_ne_u64_e32 vcc_lo, 0x7f800000, v[0:1]
	v_lshrrev_b32_e32 v0, 24, v7
	s_and_saveexec_b32 s10, vcc_lo
	s_delay_alu instid0(SALU_CYCLE_1)
	s_xor_b32 s11, exec_lo, s10
	s_cbranch_execz .LBB6_316
; %bb.303:                              ;   in Loop: Header=BB6_130 Depth=2
	v_and_b32_e32 v8, 0x7fffffff, v7
	v_mov_b32_e32 v9, v25
                                        ; implicit-def: $vgpr31
	s_delay_alu instid0(VALU_DEP_1) | instskip(SKIP_2) | instid1(SALU_CYCLE_1)
	v_cmp_gt_u64_e32 vcc_lo, 0x47600001, v[8:9]
	v_and_b32_e32 v8, 0x80, v0
	s_and_saveexec_b32 s10, vcc_lo
	s_xor_b32 s15, exec_lo, s10
	s_cbranch_execz .LBB6_313
; %bb.304:                              ;   in Loop: Header=BB6_130 Depth=2
	v_mov_b32_e32 v31, 0
	s_mov_b32 s42, exec_lo
	v_cmpx_ne_u32_e32 0, v7
	s_cbranch_execz .LBB6_312
; %bb.305:                              ;   in Loop: Header=BB6_130 Depth=2
	v_bfe_u32 v9, v7, 23, 8
	v_or_b32_e32 v6, 0x800000, v24
	s_delay_alu instid0(VALU_DEP_2) | instskip(SKIP_1) | instid1(VALU_DEP_2)
	v_sub_nc_u32_e32 v0, 0x71, v9
	v_cmp_gt_u32_e32 vcc_lo, 0x72, v9
	v_cndmask_b32_e32 v0, 0, v0, vcc_lo
	v_cmp_eq_u32_e32 vcc_lo, 0, v9
	s_delay_alu instid0(VALU_DEP_2) | instskip(NEXT) | instid1(VALU_DEP_1)
	v_cndmask_b32_e64 v31, v0, 0x70, vcc_lo
	v_dual_cndmask_b32 v24, v6, v24, vcc_lo :: v_dual_add_nc_u32 v0, 21, v31
	v_add_nc_u32_e32 v7, 20, v31
	s_delay_alu instid0(VALU_DEP_2) | instskip(NEXT) | instid1(VALU_DEP_2)
	v_lshlrev_b64_e64 v[0:1], v0, -1
	v_lshlrev_b64_e64 v[6:7], v7, 1
	s_delay_alu instid0(VALU_DEP_2) | instskip(NEXT) | instid1(VALU_DEP_3)
	v_bfi_b32 v53, v1, 0, 0
	v_bfi_b32 v52, v0, 0, v24
	v_lshrrev_b64 v[0:1], v31, v[24:25]
	s_delay_alu instid0(VALU_DEP_2) | instskip(NEXT) | instid1(VALU_DEP_2)
	v_cmp_eq_u64_e64 s10, v[52:53], v[6:7]
	v_mov_b64_e32 v[6:7], v[0:1]
	s_and_saveexec_b32 s43, s10
; %bb.306:                              ;   in Loop: Header=BB6_130 Depth=2
	v_bfe_u32 v24, v0, 21, 1
	s_delay_alu instid0(VALU_DEP_1) | instskip(NEXT) | instid1(VALU_DEP_1)
	v_add_nc_u64_e32 v[6:7], v[0:1], v[24:25]
	v_add_nc_u64_e32 v[6:7], -1, v[6:7]
; %bb.307:                              ;   in Loop: Header=BB6_130 Depth=2
	s_or_b32 exec_lo, exec_lo, s43
	v_add_nc_u32_e32 v1, 0xffffff81, v9
	v_lshrrev_b32_e32 v7, 23, v0
	s_mov_b32 s10, exec_lo
	s_delay_alu instid0(VALU_DEP_2) | instskip(NEXT) | instid1(VALU_DEP_1)
	v_cndmask_b32_e64 v1, v1, 0xffffff82, vcc_lo
	v_add3_u32 v7, v31, v1, v7
	v_and_b32_e32 v1, 0x1fffff, v6
                                        ; implicit-def: $vgpr6
	s_delay_alu instid0(VALU_DEP_1) | instskip(NEXT) | instid1(VALU_DEP_1)
	v_dual_add_nc_u32 v9, 14, v7 :: v_dual_add_nc_u32 v24, v1, v0
                                        ; implicit-def: $vgpr0_vgpr1
	v_cmpx_ne_u32_e32 0, v9
	s_xor_b32 s10, exec_lo, s10
; %bb.308:                              ;   in Loop: Header=BB6_130 Depth=2
	s_delay_alu instid0(VALU_DEP_2) | instskip(SKIP_1) | instid1(VALU_DEP_1)
	v_cmp_lt_u64_e32 vcc_lo, 0xffffff, v[24:25]
	v_add_nc_u32_e32 v0, 15, v7
	v_cndmask_b32_e32 v6, v9, v0, vcc_lo
	v_cndmask_b32_e64 v0, 0, 1, vcc_lo
	s_delay_alu instid0(VALU_DEP_1)
	v_lshrrev_b64 v[0:1], v0, v[24:25]
; %bb.309:                              ;   in Loop: Header=BB6_130 Depth=2
	s_and_not1_saveexec_b32 s10, s10
; %bb.310:                              ;   in Loop: Header=BB6_130 Depth=2
	v_mov_b64_e32 v[0:1], v[24:25]
	v_bfe_u32 v6, v24, 23, 1
; %bb.311:                              ;   in Loop: Header=BB6_130 Depth=2
	s_or_b32 exec_lo, exec_lo, s10
	s_delay_alu instid0(VALU_DEP_2) | instskip(NEXT) | instid1(VALU_DEP_2)
	v_lshrrev_b64 v[0:1], 21, v[0:1]
	v_cmp_gt_i32_e32 vcc_lo, 32, v6
	v_min_i32_e32 v7, 31, v6
	v_cmp_eq_u32_e64 s10, 0, v6
	s_delay_alu instid0(VALU_DEP_2) | instskip(SKIP_1) | instid1(VALU_DEP_2)
	v_dual_cndmask_b32 v1, 0, v1, vcc_lo :: v_dual_lshlrev_b32 v7, 2, v7
	v_cndmask_b32_e32 v0, 3, v0, vcc_lo
	v_and_b32_e32 v7, 0xfc, v7
	s_delay_alu instid0(VALU_DEP_2) | instskip(NEXT) | instid1(VALU_DEP_2)
	v_cmp_eq_u64_e32 vcc_lo, 0, v[0:1]
	v_and_or_b32 v0, v0, 3, v7
	s_and_b32 s10, s10, vcc_lo
	s_delay_alu instid0(VALU_DEP_1) | instid1(SALU_CYCLE_1)
	v_cndmask_b32_e64 v0, v0, 0, s10
	s_delay_alu instid0(VALU_DEP_1)
	v_or_b32_e32 v31, v0, v8
.LBB6_312:                              ;   in Loop: Header=BB6_130 Depth=2
	s_or_b32 exec_lo, exec_lo, s42
                                        ; implicit-def: $vgpr8
.LBB6_313:                              ;   in Loop: Header=BB6_130 Depth=2
	s_and_not1_saveexec_b32 s10, s15
; %bb.314:                              ;   in Loop: Header=BB6_130 Depth=2
	v_or_b32_e32 v31, 0x7b, v8
; %bb.315:                              ;   in Loop: Header=BB6_130 Depth=2
	s_or_b32 exec_lo, exec_lo, s10
                                        ; implicit-def: $vgpr7
                                        ; implicit-def: $vgpr0
.LBB6_316:                              ;   in Loop: Header=BB6_130 Depth=2
	s_and_not1_saveexec_b32 s10, s11
	s_cbranch_execz .LBB6_322
; %bb.317:                              ;   in Loop: Header=BB6_130 Depth=2
	s_mov_b32 s11, exec_lo
                                        ; implicit-def: $vgpr31
	v_cmpx_ne_u64_e32 0, v[24:25]
	s_xor_b32 s11, exec_lo, s11
; %bb.318:                              ;   in Loop: Header=BB6_130 Depth=2
	v_or_b32_e32 v31, 0x7f, v0
                                        ; implicit-def: $vgpr7
; %bb.319:                              ;   in Loop: Header=BB6_130 Depth=2
	s_and_not1_saveexec_b32 s11, s11
; %bb.320:                              ;   in Loop: Header=BB6_130 Depth=2
	v_cmp_lt_i32_e32 vcc_lo, -1, v7
	v_cndmask_b32_e32 v31, 0xfc, v93, vcc_lo
; %bb.321:                              ;   in Loop: Header=BB6_130 Depth=2
	s_or_b32 exec_lo, exec_lo, s11
.LBB6_322:                              ;   in Loop: Header=BB6_130 Depth=2
	s_delay_alu instid0(SALU_CYCLE_1)
	s_or_b32 exec_lo, exec_lo, s10
	v_lshrrev_b32_e32 v6, 24, v48
	v_lshrrev_b32_e32 v0, 24, v36
	v_cmp_lt_u32_e64 s10, 0xffffff, v48
	s_and_b32 vcc_lo, exec_lo, s14
	s_mov_b32 s11, -1
                                        ; implicit-def: $vgpr1
	s_cbranch_vccz .LBB6_344
; %bb.323:                              ;   in Loop: Header=BB6_130 Depth=2
	v_dual_mov_b32 v7, 0 :: v_dual_mov_b32 v1, 0
	s_and_saveexec_b32 s11, s10
	s_cbranch_execz .LBB6_333
; %bb.324:                              ;   in Loop: Header=BB6_130 Depth=2
	v_bfrev_b32_e32 v1, 1
	s_mov_b32 s15, exec_lo
	v_cmpx_ne_u32_e32 0x80, v6
	s_cbranch_execz .LBB6_332
; %bb.325:                              ;   in Loop: Header=BB6_130 Depth=2
	v_and_b32_e32 v1, 0x7c000000, v48
	v_bfe_u32 v8, v48, 24, 2
	s_delay_alu instid0(VALU_DEP_2) | instskip(SKIP_1) | instid1(SALU_CYCLE_1)
	v_cmp_ne_u32_e32 vcc_lo, 0x7c000000, v1
                                        ; implicit-def: $vgpr1
	s_and_saveexec_b32 s42, vcc_lo
	s_xor_b32 s42, exec_lo, s42
	s_cbranch_execz .LBB6_329
; %bb.326:                              ;   in Loop: Header=BB6_130 Depth=2
	v_bfe_u32 v1, v48, 26, 5
	s_mov_b32 s43, exec_lo
	s_delay_alu instid0(VALU_DEP_1)
	v_cmpx_eq_u32_e32 0, v1
; %bb.327:                              ;   in Loop: Header=BB6_130 Depth=2
	v_clz_i32_u32_e32 v1, v8
	s_delay_alu instid0(VALU_DEP_1) | instskip(NEXT) | instid1(VALU_DEP_1)
	v_min_u32_e32 v1, 32, v1
	v_subrev_nc_u32_e32 v8, 29, v1
	s_delay_alu instid0(VALU_DEP_1) | instskip(NEXT) | instid1(VALU_DEP_1)
	v_lshlrev_b64_e32 v[8:9], v8, v[6:7]
	v_dual_sub_nc_u32 v1, 30, v1 :: v_dual_bitop2_b32 v8, 3, v8 bitop3:0x40
; %bb.328:                              ;   in Loop: Header=BB6_130 Depth=2
	s_or_b32 exec_lo, exec_lo, s43
	v_and_b32_e32 v9, 0x80000000, v48
	s_delay_alu instid0(VALU_DEP_1) | instskip(NEXT) | instid1(VALU_DEP_1)
	v_lshl_add_u32 v1, v1, 23, v9
	v_lshl_or_b32 v1, v8, 21, v1
                                        ; implicit-def: $vgpr8
	s_delay_alu instid0(VALU_DEP_1)
	v_add_nc_u32_e32 v1, 0x38000000, v1
.LBB6_329:                              ;   in Loop: Header=BB6_130 Depth=2
	s_and_not1_saveexec_b32 s42, s42
; %bb.330:                              ;   in Loop: Header=BB6_130 Depth=2
	v_cmp_lt_i32_e32 vcc_lo, -1, v48
	v_cndmask_b32_e32 v1, 0xff800000, v62, vcc_lo
	v_cmp_eq_u32_e32 vcc_lo, 0, v8
	s_delay_alu instid0(VALU_DEP_2)
	v_cndmask_b32_e32 v1, 0x7f800001, v1, vcc_lo
; %bb.331:                              ;   in Loop: Header=BB6_130 Depth=2
	s_or_b32 exec_lo, exec_lo, s42
.LBB6_332:                              ;   in Loop: Header=BB6_130 Depth=2
	s_delay_alu instid0(SALU_CYCLE_1)
	s_or_b32 exec_lo, exec_lo, s15
.LBB6_333:                              ;   in Loop: Header=BB6_130 Depth=2
	s_delay_alu instid0(SALU_CYCLE_1) | instskip(NEXT) | instid1(SALU_CYCLE_1)
	s_or_b32 exec_lo, exec_lo, s11
	s_mov_b32 s11, exec_lo
	v_cmpx_lt_u32_e32 0xffffff, v36
	s_cbranch_execz .LBB6_343
; %bb.334:                              ;   in Loop: Header=BB6_130 Depth=2
	v_bfrev_b32_e32 v7, 1
	s_mov_b32 s15, exec_lo
	v_cmpx_ne_u32_e32 0x80, v0
	s_cbranch_execz .LBB6_342
; %bb.335:                              ;   in Loop: Header=BB6_130 Depth=2
	v_and_b32_e32 v7, 0x7c000000, v36
	v_bfe_u32 v8, v36, 24, 2
	s_delay_alu instid0(VALU_DEP_2) | instskip(SKIP_1) | instid1(SALU_CYCLE_1)
	v_cmp_ne_u32_e32 vcc_lo, 0x7c000000, v7
                                        ; implicit-def: $vgpr7
	s_and_saveexec_b32 s42, vcc_lo
	s_xor_b32 s42, exec_lo, s42
	s_cbranch_execz .LBB6_339
; %bb.336:                              ;   in Loop: Header=BB6_130 Depth=2
	v_bfe_u32 v7, v36, 26, 5
	s_mov_b32 s43, exec_lo
	s_delay_alu instid0(VALU_DEP_1)
	v_cmpx_eq_u32_e32 0, v7
; %bb.337:                              ;   in Loop: Header=BB6_130 Depth=2
	v_clz_i32_u32_e32 v7, v8
	s_delay_alu instid0(VALU_DEP_1) | instskip(NEXT) | instid1(VALU_DEP_1)
	v_min_u32_e32 v7, 32, v7
	v_subrev_nc_u32_e32 v8, 29, v7
	s_delay_alu instid0(VALU_DEP_1) | instskip(NEXT) | instid1(VALU_DEP_1)
	v_lshlrev_b64_e32 v[8:9], v8, v[0:1]
	v_dual_sub_nc_u32 v7, 30, v7 :: v_dual_bitop2_b32 v8, 3, v8 bitop3:0x40
; %bb.338:                              ;   in Loop: Header=BB6_130 Depth=2
	s_or_b32 exec_lo, exec_lo, s43
	v_and_b32_e32 v9, 0x80000000, v36
	s_delay_alu instid0(VALU_DEP_1) | instskip(NEXT) | instid1(VALU_DEP_1)
	v_lshl_add_u32 v7, v7, 23, v9
	v_lshl_or_b32 v7, v8, 21, v7
                                        ; implicit-def: $vgpr8
	s_delay_alu instid0(VALU_DEP_1)
	v_add_nc_u32_e32 v7, 0x38000000, v7
.LBB6_339:                              ;   in Loop: Header=BB6_130 Depth=2
	s_and_not1_saveexec_b32 s42, s42
; %bb.340:                              ;   in Loop: Header=BB6_130 Depth=2
	v_cmp_lt_i32_e32 vcc_lo, -1, v36
	v_cndmask_b32_e32 v7, 0xff800000, v62, vcc_lo
	v_cmp_eq_u32_e32 vcc_lo, 0, v8
	s_delay_alu instid0(VALU_DEP_2)
	v_cndmask_b32_e32 v7, 0x7f800001, v7, vcc_lo
; %bb.341:                              ;   in Loop: Header=BB6_130 Depth=2
	s_or_b32 exec_lo, exec_lo, s42
.LBB6_342:                              ;   in Loop: Header=BB6_130 Depth=2
	s_delay_alu instid0(SALU_CYCLE_1)
	s_or_b32 exec_lo, exec_lo, s15
.LBB6_343:                              ;   in Loop: Header=BB6_130 Depth=2
	s_delay_alu instid0(SALU_CYCLE_1) | instskip(NEXT) | instid1(VALU_DEP_1)
	s_or_b32 exec_lo, exec_lo, s11
	v_dual_max_num_f32 v7, v7, v7 :: v_dual_max_num_f32 v1, v1, v1
	s_mov_b32 s11, 0
	s_delay_alu instid0(VALU_DEP_1)
	v_max_num_f32_e32 v1, v1, v7
.LBB6_344:                              ;   in Loop: Header=BB6_130 Depth=2
	s_and_b32 vcc_lo, exec_lo, s11
	s_cbranch_vccz .LBB6_366
; %bb.345:                              ;   in Loop: Header=BB6_130 Depth=2
	v_dual_mov_b32 v7, 0 :: v_dual_mov_b32 v1, 0
	s_and_saveexec_b32 s11, s10
	s_cbranch_execz .LBB6_355
; %bb.346:                              ;   in Loop: Header=BB6_130 Depth=2
	v_bfrev_b32_e32 v1, 1
	s_mov_b32 s10, exec_lo
	v_cmpx_ne_u32_e32 0x80, v6
	s_cbranch_execz .LBB6_354
; %bb.347:                              ;   in Loop: Header=BB6_130 Depth=2
	v_and_b32_e32 v1, 0x7c000000, v48
	v_bfe_u32 v8, v48, 24, 2
	s_delay_alu instid0(VALU_DEP_2) | instskip(SKIP_1) | instid1(SALU_CYCLE_1)
	v_cmp_ne_u32_e32 vcc_lo, 0x7c000000, v1
                                        ; implicit-def: $vgpr1
	s_and_saveexec_b32 s15, vcc_lo
	s_xor_b32 s15, exec_lo, s15
	s_cbranch_execz .LBB6_351
; %bb.348:                              ;   in Loop: Header=BB6_130 Depth=2
	v_bfe_u32 v1, v48, 26, 5
	s_mov_b32 s42, exec_lo
	s_delay_alu instid0(VALU_DEP_1)
	v_cmpx_eq_u32_e32 0, v1
; %bb.349:                              ;   in Loop: Header=BB6_130 Depth=2
	v_clz_i32_u32_e32 v1, v8
	s_delay_alu instid0(VALU_DEP_1) | instskip(NEXT) | instid1(VALU_DEP_1)
	v_min_u32_e32 v1, 32, v1
	v_subrev_nc_u32_e32 v8, 29, v1
	s_delay_alu instid0(VALU_DEP_1) | instskip(NEXT) | instid1(VALU_DEP_1)
	v_lshlrev_b64_e32 v[8:9], v8, v[6:7]
	v_dual_sub_nc_u32 v1, 30, v1 :: v_dual_bitop2_b32 v8, 3, v8 bitop3:0x40
; %bb.350:                              ;   in Loop: Header=BB6_130 Depth=2
	s_or_b32 exec_lo, exec_lo, s42
	v_and_b32_e32 v6, 0x80000000, v48
	s_delay_alu instid0(VALU_DEP_1) | instskip(NEXT) | instid1(VALU_DEP_1)
	v_lshl_add_u32 v1, v1, 23, v6
	v_lshl_or_b32 v1, v8, 21, v1
                                        ; implicit-def: $vgpr8
	s_delay_alu instid0(VALU_DEP_1)
	v_add_nc_u32_e32 v1, 0x38000000, v1
.LBB6_351:                              ;   in Loop: Header=BB6_130 Depth=2
	s_and_not1_saveexec_b32 s15, s15
; %bb.352:                              ;   in Loop: Header=BB6_130 Depth=2
	v_cmp_lt_i32_e32 vcc_lo, -1, v48
	v_cndmask_b32_e32 v1, 0xff800000, v62, vcc_lo
	v_cmp_eq_u32_e32 vcc_lo, 0, v8
	s_delay_alu instid0(VALU_DEP_2)
	v_cndmask_b32_e32 v1, 0x7f800001, v1, vcc_lo
; %bb.353:                              ;   in Loop: Header=BB6_130 Depth=2
	s_or_b32 exec_lo, exec_lo, s15
.LBB6_354:                              ;   in Loop: Header=BB6_130 Depth=2
	s_delay_alu instid0(SALU_CYCLE_1)
	s_or_b32 exec_lo, exec_lo, s10
.LBB6_355:                              ;   in Loop: Header=BB6_130 Depth=2
	s_delay_alu instid0(SALU_CYCLE_1) | instskip(NEXT) | instid1(SALU_CYCLE_1)
	s_or_b32 exec_lo, exec_lo, s11
	s_mov_b32 s10, exec_lo
	v_cmpx_lt_u32_e32 0xffffff, v36
	s_cbranch_execz .LBB6_365
; %bb.356:                              ;   in Loop: Header=BB6_130 Depth=2
	v_bfrev_b32_e32 v7, 1
	s_mov_b32 s11, exec_lo
	v_cmpx_ne_u32_e32 0x80, v0
	s_cbranch_execz .LBB6_364
; %bb.357:                              ;   in Loop: Header=BB6_130 Depth=2
	v_and_b32_e32 v7, 0x7c000000, v36
	v_bfe_u32 v6, v36, 24, 2
	s_delay_alu instid0(VALU_DEP_2) | instskip(SKIP_1) | instid1(SALU_CYCLE_1)
	v_cmp_ne_u32_e32 vcc_lo, 0x7c000000, v7
                                        ; implicit-def: $vgpr7
	s_and_saveexec_b32 s15, vcc_lo
	s_xor_b32 s15, exec_lo, s15
	s_cbranch_execz .LBB6_361
; %bb.358:                              ;   in Loop: Header=BB6_130 Depth=2
	v_bfe_u32 v7, v36, 26, 5
	s_mov_b32 s42, exec_lo
	s_delay_alu instid0(VALU_DEP_1)
	v_cmpx_eq_u32_e32 0, v7
; %bb.359:                              ;   in Loop: Header=BB6_130 Depth=2
	v_clz_i32_u32_e32 v6, v6
	s_delay_alu instid0(VALU_DEP_1) | instskip(NEXT) | instid1(VALU_DEP_1)
	v_min_u32_e32 v8, 32, v6
	v_subrev_nc_u32_e32 v6, 29, v8
	s_delay_alu instid0(VALU_DEP_1) | instskip(NEXT) | instid1(VALU_DEP_1)
	v_lshlrev_b64_e32 v[6:7], v6, v[0:1]
	v_dual_sub_nc_u32 v7, 30, v8 :: v_dual_bitop2_b32 v6, 3, v6 bitop3:0x40
; %bb.360:                              ;   in Loop: Header=BB6_130 Depth=2
	s_or_b32 exec_lo, exec_lo, s42
	v_and_b32_e32 v0, 0x80000000, v36
	s_delay_alu instid0(VALU_DEP_1) | instskip(NEXT) | instid1(VALU_DEP_1)
	v_lshl_add_u32 v0, v7, 23, v0
	v_lshl_or_b32 v0, v6, 21, v0
                                        ; implicit-def: $vgpr6
	s_delay_alu instid0(VALU_DEP_1)
	v_add_nc_u32_e32 v7, 0x38000000, v0
.LBB6_361:                              ;   in Loop: Header=BB6_130 Depth=2
	s_and_not1_saveexec_b32 s15, s15
; %bb.362:                              ;   in Loop: Header=BB6_130 Depth=2
	v_cmp_lt_i32_e32 vcc_lo, -1, v36
	v_cndmask_b32_e32 v0, 0xff800000, v62, vcc_lo
	v_cmp_eq_u32_e32 vcc_lo, 0, v6
	s_delay_alu instid0(VALU_DEP_2)
	v_cndmask_b32_e32 v7, 0x7f800001, v0, vcc_lo
; %bb.363:                              ;   in Loop: Header=BB6_130 Depth=2
	s_or_b32 exec_lo, exec_lo, s15
.LBB6_364:                              ;   in Loop: Header=BB6_130 Depth=2
	s_delay_alu instid0(SALU_CYCLE_1)
	s_or_b32 exec_lo, exec_lo, s11
.LBB6_365:                              ;   in Loop: Header=BB6_130 Depth=2
	s_delay_alu instid0(SALU_CYCLE_1) | instskip(NEXT) | instid1(VALU_DEP_1)
	s_or_b32 exec_lo, exec_lo, s10
	v_dual_max_num_f32 v0, v7, v7 :: v_dual_max_num_f32 v1, v1, v1
	s_delay_alu instid0(VALU_DEP_1)
	v_min_num_f32_e32 v1, v1, v0
.LBB6_366:                              ;   in Loop: Header=BB6_130 Depth=2
	s_delay_alu instid0(VALU_DEP_1) | instskip(SKIP_3) | instid1(VALU_DEP_2)
	v_and_b32_e32 v6, 0x7f800000, v1
	v_dual_mov_b32 v7, v25 :: v_dual_lshrrev_b32 v0, 24, v1
	v_and_b32_e32 v24, 0x7fffff, v1
                                        ; implicit-def: $vgpr52
	s_mov_b32 s10, exec_lo
	v_cmpx_ne_u64_e32 0x7f800000, v[6:7]
	s_xor_b32 s11, exec_lo, s10
	s_cbranch_execz .LBB6_380
; %bb.367:                              ;   in Loop: Header=BB6_130 Depth=2
	v_and_b32_e32 v6, 0x7fffffff, v1
	v_mov_b32_e32 v7, v25
	v_and_b32_e32 v8, 0x80, v0
                                        ; implicit-def: $vgpr52
	s_mov_b32 s10, exec_lo
	s_delay_alu instid0(VALU_DEP_2)
	v_cmpx_gt_u64_e32 0x47600001, v[6:7]
	s_xor_b32 s15, exec_lo, s10
	s_cbranch_execz .LBB6_377
; %bb.368:                              ;   in Loop: Header=BB6_130 Depth=2
	v_mov_b32_e32 v52, 0
	s_mov_b32 s42, exec_lo
	v_cmpx_ne_u32_e32 0, v1
	s_cbranch_execz .LBB6_376
; %bb.369:                              ;   in Loop: Header=BB6_130 Depth=2
	v_bfe_u32 v9, v1, 23, 8
	v_or_b32_e32 v6, 0x800000, v24
	s_delay_alu instid0(VALU_DEP_2) | instskip(SKIP_1) | instid1(VALU_DEP_2)
	v_sub_nc_u32_e32 v0, 0x71, v9
	v_cmp_gt_u32_e32 vcc_lo, 0x72, v9
	v_cndmask_b32_e32 v0, 0, v0, vcc_lo
	v_cmp_eq_u32_e32 vcc_lo, 0, v9
	s_delay_alu instid0(VALU_DEP_2) | instskip(SKIP_1) | instid1(VALU_DEP_2)
	v_cndmask_b32_e64 v52, v0, 0x70, vcc_lo
	v_cndmask_b32_e32 v24, v6, v24, vcc_lo
	v_dual_add_nc_u32 v0, 21, v52 :: v_dual_add_nc_u32 v7, 20, v52
	s_delay_alu instid0(VALU_DEP_1) | instskip(NEXT) | instid1(VALU_DEP_2)
	v_lshlrev_b64_e64 v[0:1], v0, -1
	v_lshlrev_b64_e64 v[6:7], v7, 1
	s_delay_alu instid0(VALU_DEP_2) | instskip(NEXT) | instid1(VALU_DEP_3)
	v_bfi_b32 v55, v1, 0, 0
	v_bfi_b32 v54, v0, 0, v24
	v_lshrrev_b64 v[0:1], v52, v[24:25]
	s_delay_alu instid0(VALU_DEP_2) | instskip(NEXT) | instid1(VALU_DEP_2)
	v_cmp_eq_u64_e64 s10, v[54:55], v[6:7]
	v_mov_b64_e32 v[6:7], v[0:1]
	s_and_saveexec_b32 s43, s10
; %bb.370:                              ;   in Loop: Header=BB6_130 Depth=2
	v_bfe_u32 v24, v0, 21, 1
	s_delay_alu instid0(VALU_DEP_1) | instskip(NEXT) | instid1(VALU_DEP_1)
	v_add_nc_u64_e32 v[6:7], v[0:1], v[24:25]
	v_add_nc_u64_e32 v[6:7], -1, v[6:7]
; %bb.371:                              ;   in Loop: Header=BB6_130 Depth=2
	s_or_b32 exec_lo, exec_lo, s43
	v_add_nc_u32_e32 v1, 0xffffff81, v9
	v_lshrrev_b32_e32 v7, 23, v0
	s_mov_b32 s10, exec_lo
	s_delay_alu instid0(VALU_DEP_2) | instskip(NEXT) | instid1(VALU_DEP_1)
	v_cndmask_b32_e64 v1, v1, 0xffffff82, vcc_lo
	v_add3_u32 v7, v52, v1, v7
	v_and_b32_e32 v1, 0x1fffff, v6
                                        ; implicit-def: $vgpr6
	s_delay_alu instid0(VALU_DEP_1) | instskip(NEXT) | instid1(VALU_DEP_1)
	v_dual_add_nc_u32 v9, 14, v7 :: v_dual_add_nc_u32 v24, v1, v0
                                        ; implicit-def: $vgpr0_vgpr1
	v_cmpx_ne_u32_e32 0, v9
	s_xor_b32 s10, exec_lo, s10
; %bb.372:                              ;   in Loop: Header=BB6_130 Depth=2
	s_delay_alu instid0(VALU_DEP_2) | instskip(SKIP_1) | instid1(VALU_DEP_1)
	v_cmp_lt_u64_e32 vcc_lo, 0xffffff, v[24:25]
	v_add_nc_u32_e32 v0, 15, v7
	v_cndmask_b32_e32 v6, v9, v0, vcc_lo
	v_cndmask_b32_e64 v0, 0, 1, vcc_lo
	s_delay_alu instid0(VALU_DEP_1)
	v_lshrrev_b64 v[0:1], v0, v[24:25]
; %bb.373:                              ;   in Loop: Header=BB6_130 Depth=2
	s_and_not1_saveexec_b32 s10, s10
; %bb.374:                              ;   in Loop: Header=BB6_130 Depth=2
	v_mov_b64_e32 v[0:1], v[24:25]
	v_bfe_u32 v6, v24, 23, 1
; %bb.375:                              ;   in Loop: Header=BB6_130 Depth=2
	s_or_b32 exec_lo, exec_lo, s10
	s_delay_alu instid0(VALU_DEP_2) | instskip(NEXT) | instid1(VALU_DEP_2)
	v_lshrrev_b64 v[0:1], 21, v[0:1]
	v_cmp_gt_i32_e32 vcc_lo, 32, v6
	v_min_i32_e32 v7, 31, v6
	v_cmp_eq_u32_e64 s10, 0, v6
	s_delay_alu instid0(VALU_DEP_2) | instskip(SKIP_1) | instid1(VALU_DEP_2)
	v_dual_cndmask_b32 v1, 0, v1, vcc_lo :: v_dual_lshlrev_b32 v7, 2, v7
	v_cndmask_b32_e32 v0, 3, v0, vcc_lo
	v_and_b32_e32 v7, 0xfc, v7
	s_delay_alu instid0(VALU_DEP_2) | instskip(NEXT) | instid1(VALU_DEP_2)
	v_cmp_eq_u64_e32 vcc_lo, 0, v[0:1]
	v_and_or_b32 v0, v0, 3, v7
	s_and_b32 s10, s10, vcc_lo
	s_delay_alu instid0(VALU_DEP_1) | instid1(SALU_CYCLE_1)
	v_cndmask_b32_e64 v0, v0, 0, s10
	s_delay_alu instid0(VALU_DEP_1)
	v_or_b32_e32 v52, v0, v8
.LBB6_376:                              ;   in Loop: Header=BB6_130 Depth=2
	s_or_b32 exec_lo, exec_lo, s42
                                        ; implicit-def: $vgpr8
.LBB6_377:                              ;   in Loop: Header=BB6_130 Depth=2
	s_and_not1_saveexec_b32 s10, s15
; %bb.378:                              ;   in Loop: Header=BB6_130 Depth=2
	v_or_b32_e32 v52, 0x7b, v8
; %bb.379:                              ;   in Loop: Header=BB6_130 Depth=2
	s_or_b32 exec_lo, exec_lo, s10
                                        ; implicit-def: $vgpr1
                                        ; implicit-def: $vgpr0
.LBB6_380:                              ;   in Loop: Header=BB6_130 Depth=2
	s_and_not1_saveexec_b32 s10, s11
	s_cbranch_execz .LBB6_386
; %bb.381:                              ;   in Loop: Header=BB6_130 Depth=2
	s_mov_b32 s11, exec_lo
                                        ; implicit-def: $vgpr52
	v_cmpx_ne_u64_e32 0, v[24:25]
	s_xor_b32 s11, exec_lo, s11
; %bb.382:                              ;   in Loop: Header=BB6_130 Depth=2
	v_or_b32_e32 v52, 0x7f, v0
                                        ; implicit-def: $vgpr1
; %bb.383:                              ;   in Loop: Header=BB6_130 Depth=2
	s_and_not1_saveexec_b32 s11, s11
; %bb.384:                              ;   in Loop: Header=BB6_130 Depth=2
	v_cmp_lt_i32_e32 vcc_lo, -1, v1
	v_cndmask_b32_e32 v52, 0xfc, v93, vcc_lo
; %bb.385:                              ;   in Loop: Header=BB6_130 Depth=2
	s_or_b32 exec_lo, exec_lo, s11
.LBB6_386:                              ;   in Loop: Header=BB6_130 Depth=2
	s_delay_alu instid0(SALU_CYCLE_1) | instskip(SKIP_4) | instid1(VALU_DEP_3)
	s_or_b32 exec_lo, exec_lo, s10
	v_and_b32_e32 v6, 0xff, v49
	v_dual_mov_b32 v24, v49 :: v_dual_mov_b32 v0, v37
	v_mov_b32_e32 v1, v25
	s_and_b32 vcc_lo, exec_lo, s14
	v_cmp_ne_u16_e64 s10, 0, v6
	s_mov_b32 s11, -1
                                        ; implicit-def: $vgpr8
	s_cbranch_vccz .LBB6_408
; %bb.387:                              ;   in Loop: Header=BB6_130 Depth=2
	v_dual_mov_b32 v8, 0 :: v_dual_mov_b32 v7, 0
	s_and_saveexec_b32 s11, s10
	s_cbranch_execz .LBB6_397
; %bb.388:                              ;   in Loop: Header=BB6_130 Depth=2
	v_bfrev_b32_e32 v7, 1
	s_mov_b32 s15, exec_lo
	v_cmpx_ne_u16_e32 0x80, v6
	s_cbranch_execz .LBB6_396
; %bb.389:                              ;   in Loop: Header=BB6_130 Depth=2
	v_and_b32_e32 v7, 0x7c, v49
	v_and_b32_e32 v9, 3, v49
	s_delay_alu instid0(VALU_DEP_2) | instskip(SKIP_1) | instid1(SALU_CYCLE_1)
	v_cmp_ne_u32_e32 vcc_lo, 0x7c, v7
                                        ; implicit-def: $vgpr7
	s_and_saveexec_b32 s42, vcc_lo
	s_xor_b32 s42, exec_lo, s42
	s_cbranch_execz .LBB6_393
; %bb.390:                              ;   in Loop: Header=BB6_130 Depth=2
	v_bfe_u32 v7, v49, 2, 5
	s_mov_b32 s43, exec_lo
	s_delay_alu instid0(VALU_DEP_1)
	v_cmpx_eq_u32_e32 0, v7
; %bb.391:                              ;   in Loop: Header=BB6_130 Depth=2
	v_clz_i32_u32_e32 v7, v9
	s_delay_alu instid0(VALU_DEP_1) | instskip(NEXT) | instid1(VALU_DEP_1)
	v_min_u32_e32 v7, 32, v7
	v_subrev_nc_u32_e32 v9, 29, v7
	s_delay_alu instid0(VALU_DEP_1) | instskip(NEXT) | instid1(VALU_DEP_1)
	v_lshlrev_b64_e32 v[54:55], v9, v[24:25]
	v_dual_sub_nc_u32 v7, 30, v7 :: v_dual_bitop2_b32 v9, 3, v54 bitop3:0x40
; %bb.392:                              ;   in Loop: Header=BB6_130 Depth=2
	s_or_b32 exec_lo, exec_lo, s43
	v_lshlrev_b32_e32 v53, 24, v49
	s_delay_alu instid0(VALU_DEP_1) | instskip(NEXT) | instid1(VALU_DEP_1)
	v_and_b32_e32 v53, 0x80000000, v53
	v_lshl_add_u32 v7, v7, 23, v53
	s_delay_alu instid0(VALU_DEP_1) | instskip(NEXT) | instid1(VALU_DEP_1)
	v_lshl_or_b32 v7, v9, 21, v7
                                        ; implicit-def: $vgpr9
	v_add_nc_u32_e32 v7, 0x38000000, v7
.LBB6_393:                              ;   in Loop: Header=BB6_130 Depth=2
	s_and_not1_saveexec_b32 s42, s42
; %bb.394:                              ;   in Loop: Header=BB6_130 Depth=2
	v_bfe_i32 v7, v49, 0, 8
	s_delay_alu instid0(VALU_DEP_1) | instskip(SKIP_2) | instid1(VALU_DEP_2)
	v_cmp_lt_i16_e32 vcc_lo, -1, v7
	v_cndmask_b32_e32 v7, 0xff800000, v62, vcc_lo
	v_cmp_eq_u32_e32 vcc_lo, 0, v9
	v_cndmask_b32_e32 v7, 0x7f800001, v7, vcc_lo
; %bb.395:                              ;   in Loop: Header=BB6_130 Depth=2
	s_or_b32 exec_lo, exec_lo, s42
.LBB6_396:                              ;   in Loop: Header=BB6_130 Depth=2
	s_delay_alu instid0(SALU_CYCLE_1)
	s_or_b32 exec_lo, exec_lo, s15
.LBB6_397:                              ;   in Loop: Header=BB6_130 Depth=2
	s_delay_alu instid0(SALU_CYCLE_1) | instskip(SKIP_2) | instid1(VALU_DEP_1)
	s_or_b32 exec_lo, exec_lo, s11
	v_and_b32_e32 v9, 0xff, v37
	s_mov_b32 s11, exec_lo
	v_cmpx_ne_u16_e32 0, v9
	s_cbranch_execz .LBB6_407
; %bb.398:                              ;   in Loop: Header=BB6_130 Depth=2
	v_bfrev_b32_e32 v8, 1
	s_mov_b32 s15, exec_lo
	v_cmpx_ne_u16_e32 0x80, v9
	s_cbranch_execz .LBB6_406
; %bb.399:                              ;   in Loop: Header=BB6_130 Depth=2
	v_and_b32_e32 v8, 0x7c, v37
	v_and_b32_e32 v9, 3, v37
	s_delay_alu instid0(VALU_DEP_2) | instskip(SKIP_1) | instid1(SALU_CYCLE_1)
	v_cmp_ne_u32_e32 vcc_lo, 0x7c, v8
                                        ; implicit-def: $vgpr8
	s_and_saveexec_b32 s42, vcc_lo
	s_xor_b32 s42, exec_lo, s42
	s_cbranch_execz .LBB6_403
; %bb.400:                              ;   in Loop: Header=BB6_130 Depth=2
	v_bfe_u32 v8, v37, 2, 5
	s_mov_b32 s43, exec_lo
	s_delay_alu instid0(VALU_DEP_1)
	v_cmpx_eq_u32_e32 0, v8
; %bb.401:                              ;   in Loop: Header=BB6_130 Depth=2
	v_clz_i32_u32_e32 v8, v9
	s_delay_alu instid0(VALU_DEP_1) | instskip(NEXT) | instid1(VALU_DEP_1)
	v_min_u32_e32 v8, 32, v8
	v_subrev_nc_u32_e32 v9, 29, v8
	s_delay_alu instid0(VALU_DEP_1) | instskip(NEXT) | instid1(VALU_DEP_1)
	v_lshlrev_b64_e32 v[54:55], v9, v[0:1]
	v_dual_sub_nc_u32 v8, 30, v8 :: v_dual_bitop2_b32 v9, 3, v54 bitop3:0x40
; %bb.402:                              ;   in Loop: Header=BB6_130 Depth=2
	s_or_b32 exec_lo, exec_lo, s43
	v_lshlrev_b32_e32 v53, 24, v37
	s_delay_alu instid0(VALU_DEP_1) | instskip(NEXT) | instid1(VALU_DEP_1)
	v_and_b32_e32 v53, 0x80000000, v53
	v_lshl_add_u32 v8, v8, 23, v53
	s_delay_alu instid0(VALU_DEP_1) | instskip(NEXT) | instid1(VALU_DEP_1)
	v_lshl_or_b32 v8, v9, 21, v8
                                        ; implicit-def: $vgpr9
	v_add_nc_u32_e32 v8, 0x38000000, v8
.LBB6_403:                              ;   in Loop: Header=BB6_130 Depth=2
	s_and_not1_saveexec_b32 s42, s42
; %bb.404:                              ;   in Loop: Header=BB6_130 Depth=2
	v_bfe_i32 v8, v37, 0, 8
	s_delay_alu instid0(VALU_DEP_1) | instskip(SKIP_2) | instid1(VALU_DEP_2)
	v_cmp_lt_i16_e32 vcc_lo, -1, v8
	v_cndmask_b32_e32 v8, 0xff800000, v62, vcc_lo
	v_cmp_eq_u32_e32 vcc_lo, 0, v9
	v_cndmask_b32_e32 v8, 0x7f800001, v8, vcc_lo
; %bb.405:                              ;   in Loop: Header=BB6_130 Depth=2
	s_or_b32 exec_lo, exec_lo, s42
.LBB6_406:                              ;   in Loop: Header=BB6_130 Depth=2
	s_delay_alu instid0(SALU_CYCLE_1)
	s_or_b32 exec_lo, exec_lo, s15
.LBB6_407:                              ;   in Loop: Header=BB6_130 Depth=2
	s_delay_alu instid0(SALU_CYCLE_1) | instskip(NEXT) | instid1(VALU_DEP_1)
	s_or_b32 exec_lo, exec_lo, s11
	v_dual_max_num_f32 v8, v8, v8 :: v_dual_max_num_f32 v7, v7, v7
	s_mov_b32 s11, 0
	s_delay_alu instid0(VALU_DEP_1)
	v_max_num_f32_e32 v8, v7, v8
.LBB6_408:                              ;   in Loop: Header=BB6_130 Depth=2
	s_and_b32 vcc_lo, exec_lo, s11
	s_cbranch_vccz .LBB6_430
; %bb.409:                              ;   in Loop: Header=BB6_130 Depth=2
	v_dual_mov_b32 v8, 0 :: v_dual_mov_b32 v7, 0
	s_and_saveexec_b32 s11, s10
	s_cbranch_execz .LBB6_419
; %bb.410:                              ;   in Loop: Header=BB6_130 Depth=2
	v_bfrev_b32_e32 v7, 1
	s_mov_b32 s10, exec_lo
	v_cmpx_ne_u16_e32 0x80, v6
	s_cbranch_execz .LBB6_418
; %bb.411:                              ;   in Loop: Header=BB6_130 Depth=2
	v_and_b32_e32 v7, 0x7c, v49
	v_and_b32_e32 v6, 3, v49
	s_delay_alu instid0(VALU_DEP_2) | instskip(SKIP_1) | instid1(SALU_CYCLE_1)
	v_cmp_ne_u32_e32 vcc_lo, 0x7c, v7
                                        ; implicit-def: $vgpr7
	s_and_saveexec_b32 s15, vcc_lo
	s_xor_b32 s15, exec_lo, s15
	s_cbranch_execz .LBB6_415
; %bb.412:                              ;   in Loop: Header=BB6_130 Depth=2
	v_bfe_u32 v7, v49, 2, 5
	s_mov_b32 s42, exec_lo
	s_delay_alu instid0(VALU_DEP_1)
	v_cmpx_eq_u32_e32 0, v7
; %bb.413:                              ;   in Loop: Header=BB6_130 Depth=2
	v_clz_i32_u32_e32 v6, v6
	s_delay_alu instid0(VALU_DEP_1) | instskip(NEXT) | instid1(VALU_DEP_1)
	v_min_u32_e32 v9, 32, v6
	v_subrev_nc_u32_e32 v6, 29, v9
	s_delay_alu instid0(VALU_DEP_1) | instskip(NEXT) | instid1(VALU_DEP_1)
	v_lshlrev_b64_e32 v[6:7], v6, v[24:25]
	v_dual_sub_nc_u32 v7, 30, v9 :: v_dual_bitop2_b32 v6, 3, v6 bitop3:0x40
; %bb.414:                              ;   in Loop: Header=BB6_130 Depth=2
	s_or_b32 exec_lo, exec_lo, s42
	v_lshlrev_b32_e32 v9, 24, v49
	s_delay_alu instid0(VALU_DEP_1) | instskip(NEXT) | instid1(VALU_DEP_1)
	v_and_b32_e32 v9, 0x80000000, v9
	v_lshl_add_u32 v7, v7, 23, v9
	s_delay_alu instid0(VALU_DEP_1) | instskip(NEXT) | instid1(VALU_DEP_1)
	v_lshl_or_b32 v6, v6, 21, v7
	v_add_nc_u32_e32 v7, 0x38000000, v6
                                        ; implicit-def: $vgpr6
.LBB6_415:                              ;   in Loop: Header=BB6_130 Depth=2
	s_and_not1_saveexec_b32 s15, s15
; %bb.416:                              ;   in Loop: Header=BB6_130 Depth=2
	v_bfe_i32 v7, v49, 0, 8
	s_delay_alu instid0(VALU_DEP_1) | instskip(SKIP_2) | instid1(VALU_DEP_2)
	v_cmp_lt_i16_e32 vcc_lo, -1, v7
	v_cndmask_b32_e32 v7, 0xff800000, v62, vcc_lo
	v_cmp_eq_u32_e32 vcc_lo, 0, v6
	v_cndmask_b32_e32 v7, 0x7f800001, v7, vcc_lo
; %bb.417:                              ;   in Loop: Header=BB6_130 Depth=2
	s_or_b32 exec_lo, exec_lo, s15
.LBB6_418:                              ;   in Loop: Header=BB6_130 Depth=2
	s_delay_alu instid0(SALU_CYCLE_1)
	s_or_b32 exec_lo, exec_lo, s10
.LBB6_419:                              ;   in Loop: Header=BB6_130 Depth=2
	s_delay_alu instid0(SALU_CYCLE_1) | instskip(SKIP_2) | instid1(VALU_DEP_1)
	s_or_b32 exec_lo, exec_lo, s11
	v_and_b32_e32 v6, 0xff, v37
	s_mov_b32 s10, exec_lo
	v_cmpx_ne_u16_e32 0, v6
	s_cbranch_execz .LBB6_429
; %bb.420:                              ;   in Loop: Header=BB6_130 Depth=2
	v_bfrev_b32_e32 v8, 1
	s_mov_b32 s11, exec_lo
	v_cmpx_ne_u16_e32 0x80, v6
	s_cbranch_execz .LBB6_428
; %bb.421:                              ;   in Loop: Header=BB6_130 Depth=2
	v_and_b32_e32 v8, 0x7c, v37
	v_and_b32_e32 v6, 3, v37
	s_delay_alu instid0(VALU_DEP_2) | instskip(SKIP_1) | instid1(SALU_CYCLE_1)
	v_cmp_ne_u32_e32 vcc_lo, 0x7c, v8
                                        ; implicit-def: $vgpr8
	s_and_saveexec_b32 s15, vcc_lo
	s_xor_b32 s15, exec_lo, s15
	s_cbranch_execz .LBB6_425
; %bb.422:                              ;   in Loop: Header=BB6_130 Depth=2
	v_bfe_u32 v8, v37, 2, 5
	s_mov_b32 s42, exec_lo
	s_delay_alu instid0(VALU_DEP_1)
	v_cmpx_eq_u32_e32 0, v8
; %bb.423:                              ;   in Loop: Header=BB6_130 Depth=2
	v_clz_i32_u32_e32 v6, v6
	s_delay_alu instid0(VALU_DEP_1) | instskip(NEXT) | instid1(VALU_DEP_1)
	v_min_u32_e32 v6, 32, v6
	v_subrev_nc_u32_e32 v8, 29, v6
	s_delay_alu instid0(VALU_DEP_1) | instskip(SKIP_1) | instid1(VALU_DEP_2)
	v_lshlrev_b64_e32 v[54:55], v8, v[0:1]
	v_sub_nc_u32_e32 v8, 30, v6
	v_and_b32_e32 v6, 3, v54
; %bb.424:                              ;   in Loop: Header=BB6_130 Depth=2
	s_or_b32 exec_lo, exec_lo, s42
	v_lshlrev_b32_e32 v1, 24, v37
	s_delay_alu instid0(VALU_DEP_1) | instskip(NEXT) | instid1(VALU_DEP_1)
	v_and_b32_e32 v1, 0x80000000, v1
	v_lshl_add_u32 v1, v8, 23, v1
	s_delay_alu instid0(VALU_DEP_1) | instskip(NEXT) | instid1(VALU_DEP_1)
	v_lshl_or_b32 v1, v6, 21, v1
                                        ; implicit-def: $vgpr6
	v_add_nc_u32_e32 v8, 0x38000000, v1
.LBB6_425:                              ;   in Loop: Header=BB6_130 Depth=2
	s_and_not1_saveexec_b32 s15, s15
; %bb.426:                              ;   in Loop: Header=BB6_130 Depth=2
	v_bfe_i32 v1, v37, 0, 8
	s_delay_alu instid0(VALU_DEP_1) | instskip(SKIP_2) | instid1(VALU_DEP_2)
	v_cmp_lt_i16_e32 vcc_lo, -1, v1
	v_cndmask_b32_e32 v1, 0xff800000, v62, vcc_lo
	v_cmp_eq_u32_e32 vcc_lo, 0, v6
	v_cndmask_b32_e32 v8, 0x7f800001, v1, vcc_lo
; %bb.427:                              ;   in Loop: Header=BB6_130 Depth=2
	s_or_b32 exec_lo, exec_lo, s15
.LBB6_428:                              ;   in Loop: Header=BB6_130 Depth=2
	s_delay_alu instid0(SALU_CYCLE_1)
	s_or_b32 exec_lo, exec_lo, s11
.LBB6_429:                              ;   in Loop: Header=BB6_130 Depth=2
	s_delay_alu instid0(SALU_CYCLE_1) | instskip(NEXT) | instid1(VALU_DEP_1)
	s_or_b32 exec_lo, exec_lo, s10
	v_dual_max_num_f32 v1, v8, v8 :: v_dual_max_num_f32 v6, v7, v7
	s_delay_alu instid0(VALU_DEP_1)
	v_min_num_f32_e32 v8, v6, v1
.LBB6_430:                              ;   in Loop: Header=BB6_130 Depth=2
	s_delay_alu instid0(VALU_DEP_1) | instskip(SKIP_4) | instid1(VALU_DEP_3)
	v_and_b32_e32 v54, 0x7f800000, v8
	v_dual_mov_b32 v55, v25 :: v_dual_mov_b32 v7, v25
	v_and_b32_e32 v6, 0x7fffff, v8
	v_lshrrev_b32_e32 v1, 24, v8
                                        ; implicit-def: $vgpr53
	s_mov_b32 s10, exec_lo
	v_cmpx_ne_u64_e32 0x7f800000, v[54:55]
	s_xor_b32 s11, exec_lo, s10
	s_cbranch_execz .LBB6_444
; %bb.431:                              ;   in Loop: Header=BB6_130 Depth=2
	v_and_b32_e32 v54, 0x7fffffff, v8
	v_mov_b32_e32 v55, v25
	v_and_b32_e32 v1, 0x80, v1
                                        ; implicit-def: $vgpr53
	s_mov_b32 s10, exec_lo
	s_delay_alu instid0(VALU_DEP_2)
	v_cmpx_gt_u64_e32 0x47600001, v[54:55]
	s_xor_b32 s15, exec_lo, s10
	s_cbranch_execz .LBB6_441
; %bb.432:                              ;   in Loop: Header=BB6_130 Depth=2
	v_mov_b32_e32 v53, 0
	s_mov_b32 s42, exec_lo
	v_cmpx_ne_u32_e32 0, v8
	s_cbranch_execz .LBB6_440
; %bb.433:                              ;   in Loop: Header=BB6_130 Depth=2
	v_bfe_u32 v53, v8, 23, 8
	v_or_b32_e32 v55, 0x800000, v6
	s_delay_alu instid0(VALU_DEP_2) | instskip(SKIP_1) | instid1(VALU_DEP_2)
	v_sub_nc_u32_e32 v8, 0x71, v53
	v_cmp_gt_u32_e32 vcc_lo, 0x72, v53
	v_cndmask_b32_e32 v8, 0, v8, vcc_lo
	v_cmp_eq_u32_e32 vcc_lo, 0, v53
	s_delay_alu instid0(VALU_DEP_2) | instskip(SKIP_1) | instid1(VALU_DEP_2)
	v_cndmask_b32_e64 v54, v8, 0x70, vcc_lo
	v_cndmask_b32_e32 v6, v55, v6, vcc_lo
	v_dual_add_nc_u32 v8, 21, v54 :: v_dual_add_nc_u32 v64, 20, v54
	s_delay_alu instid0(VALU_DEP_1) | instskip(NEXT) | instid1(VALU_DEP_2)
	v_lshlrev_b64_e64 v[8:9], v8, -1
	v_lshlrev_b64_e64 v[64:65], v64, 1
	s_delay_alu instid0(VALU_DEP_2) | instskip(SKIP_1) | instid1(VALU_DEP_4)
	v_bfi_b32 v8, v8, 0, v6
	v_lshrrev_b64 v[6:7], v54, v[6:7]
	v_bfi_b32 v9, v9, 0, 0
	s_delay_alu instid0(VALU_DEP_1) | instskip(NEXT) | instid1(VALU_DEP_3)
	v_cmp_eq_u64_e64 s10, v[8:9], v[64:65]
	v_mov_b64_e32 v[8:9], v[6:7]
	s_and_saveexec_b32 s43, s10
; %bb.434:                              ;   in Loop: Header=BB6_130 Depth=2
	v_bfe_u32 v8, v6, 21, 1
	v_mov_b32_e32 v9, v25
	s_delay_alu instid0(VALU_DEP_1) | instskip(NEXT) | instid1(VALU_DEP_1)
	v_add_nc_u64_e32 v[8:9], v[6:7], v[8:9]
	v_add_nc_u64_e32 v[8:9], -1, v[8:9]
; %bb.435:                              ;   in Loop: Header=BB6_130 Depth=2
	s_or_b32 exec_lo, exec_lo, s43
	v_add_nc_u32_e32 v7, 0xffffff81, v53
	v_lshrrev_b32_e32 v9, 23, v6
	s_mov_b32 s10, exec_lo
	s_delay_alu instid0(VALU_DEP_2) | instskip(NEXT) | instid1(VALU_DEP_1)
	v_cndmask_b32_e64 v7, v7, 0xffffff82, vcc_lo
	v_add3_u32 v9, v54, v7, v9
	v_and_b32_e32 v7, 0x1fffff, v8
                                        ; implicit-def: $vgpr8
	s_delay_alu instid0(VALU_DEP_1) | instskip(SKIP_1) | instid1(VALU_DEP_2)
	v_dual_add_nc_u32 v53, 14, v9 :: v_dual_add_nc_u32 v6, v7, v6
	v_mov_b32_e32 v7, v25
	v_cmpx_ne_u32_e32 0, v53
	s_xor_b32 s10, exec_lo, s10
; %bb.436:                              ;   in Loop: Header=BB6_130 Depth=2
	s_delay_alu instid0(VALU_DEP_2) | instskip(SKIP_2) | instid1(VALU_DEP_2)
	v_cmp_lt_u64_e32 vcc_lo, 0xffffff, v[6:7]
	v_add_nc_u32_e32 v8, 15, v9
	v_cndmask_b32_e64 v9, 0, 1, vcc_lo
	v_cndmask_b32_e32 v8, v53, v8, vcc_lo
	s_delay_alu instid0(VALU_DEP_2)
	v_lshrrev_b64 v[6:7], v9, v[6:7]
; %bb.437:                              ;   in Loop: Header=BB6_130 Depth=2
	s_and_not1_saveexec_b32 s10, s10
; %bb.438:                              ;   in Loop: Header=BB6_130 Depth=2
	s_delay_alu instid0(VALU_DEP_1)
	v_bfe_u32 v8, v6, 23, 1
; %bb.439:                              ;   in Loop: Header=BB6_130 Depth=2
	s_or_b32 exec_lo, exec_lo, s10
	s_delay_alu instid0(VALU_DEP_2) | instskip(NEXT) | instid1(VALU_DEP_2)
	v_lshrrev_b64 v[6:7], 21, v[6:7]
	v_cmp_gt_i32_e32 vcc_lo, 32, v8
	v_min_i32_e32 v9, 31, v8
	v_cmp_eq_u32_e64 s10, 0, v8
	s_delay_alu instid0(VALU_DEP_2) | instskip(SKIP_1) | instid1(VALU_DEP_2)
	v_dual_cndmask_b32 v7, 0, v7, vcc_lo :: v_dual_lshlrev_b32 v9, 2, v9
	v_cndmask_b32_e32 v6, 3, v6, vcc_lo
	v_and_b32_e32 v9, 0xfc, v9
	s_delay_alu instid0(VALU_DEP_2) | instskip(NEXT) | instid1(VALU_DEP_2)
	v_cmp_eq_u64_e32 vcc_lo, 0, v[6:7]
	v_and_or_b32 v6, v6, 3, v9
	s_and_b32 s10, s10, vcc_lo
	s_delay_alu instid0(VALU_DEP_1) | instid1(SALU_CYCLE_1)
	v_cndmask_b32_e64 v6, v6, 0, s10
	s_delay_alu instid0(VALU_DEP_1)
	v_or_b32_e32 v53, v6, v1
.LBB6_440:                              ;   in Loop: Header=BB6_130 Depth=2
	s_or_b32 exec_lo, exec_lo, s42
                                        ; implicit-def: $vgpr1
.LBB6_441:                              ;   in Loop: Header=BB6_130 Depth=2
	s_and_not1_saveexec_b32 s10, s15
; %bb.442:                              ;   in Loop: Header=BB6_130 Depth=2
	v_or_b32_e32 v53, 0x7b, v1
; %bb.443:                              ;   in Loop: Header=BB6_130 Depth=2
	s_or_b32 exec_lo, exec_lo, s10
                                        ; implicit-def: $vgpr8
                                        ; implicit-def: $vgpr6_vgpr7
                                        ; implicit-def: $vgpr1
.LBB6_444:                              ;   in Loop: Header=BB6_130 Depth=2
	s_and_not1_saveexec_b32 s10, s11
	s_cbranch_execz .LBB6_450
; %bb.445:                              ;   in Loop: Header=BB6_130 Depth=2
	s_mov_b32 s11, exec_lo
                                        ; implicit-def: $vgpr53
	v_cmpx_ne_u64_e32 0, v[6:7]
	s_xor_b32 s11, exec_lo, s11
; %bb.446:                              ;   in Loop: Header=BB6_130 Depth=2
	v_or_b32_e32 v53, 0x7f, v1
                                        ; implicit-def: $vgpr8
; %bb.447:                              ;   in Loop: Header=BB6_130 Depth=2
	s_and_not1_saveexec_b32 s11, s11
; %bb.448:                              ;   in Loop: Header=BB6_130 Depth=2
	v_cmp_lt_i32_e32 vcc_lo, -1, v8
	v_cndmask_b32_e32 v53, 0xfc, v93, vcc_lo
; %bb.449:                              ;   in Loop: Header=BB6_130 Depth=2
	s_or_b32 exec_lo, exec_lo, s11
.LBB6_450:                              ;   in Loop: Header=BB6_130 Depth=2
	s_delay_alu instid0(SALU_CYCLE_1) | instskip(SKIP_4) | instid1(VALU_DEP_2)
	s_or_b32 exec_lo, exec_lo, s10
	v_lshrrev_b16 v8, 8, v24
	v_lshrrev_b16 v6, 8, v0
	s_and_b32 vcc_lo, exec_lo, s14
	s_mov_b32 s11, -1
                                        ; implicit-def: $vgpr7
	v_and_b32_e32 v1, 0xffff, v8
	v_cmp_ne_u16_e64 s10, 0, v8
	s_cbranch_vccz .LBB6_472
; %bb.451:                              ;   in Loop: Header=BB6_130 Depth=2
	v_dual_mov_b32 v7, 0 :: v_dual_mov_b32 v9, 0
	s_and_saveexec_b32 s11, s10
	s_cbranch_execz .LBB6_461
; %bb.452:                              ;   in Loop: Header=BB6_130 Depth=2
	v_bfrev_b32_e32 v9, 1
	s_mov_b32 s15, exec_lo
	v_cmpx_ne_u16_e32 0x80, v8
	s_cbranch_execz .LBB6_460
; %bb.453:                              ;   in Loop: Header=BB6_130 Depth=2
	v_and_b32_e32 v9, 0x7c, v1
	v_and_b32_e32 v54, 3, v1
	s_delay_alu instid0(VALU_DEP_2) | instskip(SKIP_1) | instid1(SALU_CYCLE_1)
	v_cmp_ne_u32_e32 vcc_lo, 0x7c, v9
                                        ; implicit-def: $vgpr9
	s_and_saveexec_b32 s42, vcc_lo
	s_xor_b32 s42, exec_lo, s42
	s_cbranch_execz .LBB6_457
; %bb.454:                              ;   in Loop: Header=BB6_130 Depth=2
	v_bfe_u32 v9, v1, 2, 5
	s_mov_b32 s43, exec_lo
	s_delay_alu instid0(VALU_DEP_1)
	v_cmpx_eq_u32_e32 0, v9
; %bb.455:                              ;   in Loop: Header=BB6_130 Depth=2
	v_clz_i32_u32_e32 v9, v54
	s_delay_alu instid0(VALU_DEP_1) | instskip(SKIP_1) | instid1(VALU_DEP_2)
	v_min_u32_e32 v64, 32, v9
	v_mov_b32_e32 v9, v25
	v_subrev_nc_u32_e32 v54, 29, v64
	s_delay_alu instid0(VALU_DEP_1) | instskip(NEXT) | instid1(VALU_DEP_1)
	v_lshlrev_b64_e32 v[54:55], v54, v[8:9]
	v_dual_sub_nc_u32 v9, 30, v64 :: v_dual_bitop2_b32 v54, 3, v54 bitop3:0x40
; %bb.456:                              ;   in Loop: Header=BB6_130 Depth=2
	s_or_b32 exec_lo, exec_lo, s43
	v_lshlrev_b32_e32 v55, 16, v24
	s_delay_alu instid0(VALU_DEP_1) | instskip(NEXT) | instid1(VALU_DEP_1)
	v_and_b32_e32 v55, 0x80000000, v55
	v_lshl_add_u32 v9, v9, 23, v55
	s_delay_alu instid0(VALU_DEP_1) | instskip(NEXT) | instid1(VALU_DEP_1)
	v_lshl_or_b32 v9, v54, 21, v9
                                        ; implicit-def: $vgpr54
	v_add_nc_u32_e32 v9, 0x38000000, v9
.LBB6_457:                              ;   in Loop: Header=BB6_130 Depth=2
	s_and_not1_saveexec_b32 s42, s42
; %bb.458:                              ;   in Loop: Header=BB6_130 Depth=2
	v_cmp_lt_i16_e32 vcc_lo, -1, v24
	v_cndmask_b32_e32 v9, 0xff800000, v62, vcc_lo
	v_cmp_eq_u32_e32 vcc_lo, 0, v54
	s_delay_alu instid0(VALU_DEP_2)
	v_cndmask_b32_e32 v9, 0x7f800001, v9, vcc_lo
; %bb.459:                              ;   in Loop: Header=BB6_130 Depth=2
	s_or_b32 exec_lo, exec_lo, s42
.LBB6_460:                              ;   in Loop: Header=BB6_130 Depth=2
	s_delay_alu instid0(SALU_CYCLE_1)
	s_or_b32 exec_lo, exec_lo, s15
.LBB6_461:                              ;   in Loop: Header=BB6_130 Depth=2
	s_delay_alu instid0(SALU_CYCLE_1) | instskip(NEXT) | instid1(SALU_CYCLE_1)
	s_or_b32 exec_lo, exec_lo, s11
	s_mov_b32 s11, exec_lo
	v_cmpx_ne_u16_e32 0, v6
	s_cbranch_execz .LBB6_471
; %bb.462:                              ;   in Loop: Header=BB6_130 Depth=2
	v_bfrev_b32_e32 v7, 1
	s_mov_b32 s15, exec_lo
	v_cmpx_ne_u16_e32 0x80, v6
	s_cbranch_execz .LBB6_470
; %bb.463:                              ;   in Loop: Header=BB6_130 Depth=2
	v_and_b32_e32 v55, 0xffff, v6
	s_delay_alu instid0(VALU_DEP_1) | instskip(SKIP_1) | instid1(VALU_DEP_2)
	v_and_b32_e32 v7, 0x7c, v55
	v_and_b32_e32 v54, 3, v55
	v_cmp_ne_u32_e32 vcc_lo, 0x7c, v7
                                        ; implicit-def: $vgpr7
	s_and_saveexec_b32 s42, vcc_lo
	s_delay_alu instid0(SALU_CYCLE_1)
	s_xor_b32 s42, exec_lo, s42
	s_cbranch_execz .LBB6_467
; %bb.464:                              ;   in Loop: Header=BB6_130 Depth=2
	v_bfe_u32 v7, v55, 2, 5
	s_mov_b32 s43, exec_lo
	s_delay_alu instid0(VALU_DEP_1)
	v_cmpx_eq_u32_e32 0, v7
; %bb.465:                              ;   in Loop: Header=BB6_130 Depth=2
	v_clz_i32_u32_e32 v7, v54
	s_delay_alu instid0(VALU_DEP_1) | instskip(SKIP_1) | instid1(VALU_DEP_2)
	v_min_u32_e32 v64, 32, v7
	v_mov_b32_e32 v7, v25
	v_subrev_nc_u32_e32 v54, 29, v64
	s_delay_alu instid0(VALU_DEP_1) | instskip(NEXT) | instid1(VALU_DEP_1)
	v_lshlrev_b64_e32 v[54:55], v54, v[6:7]
	v_dual_sub_nc_u32 v7, 30, v64 :: v_dual_bitop2_b32 v54, 3, v54 bitop3:0x40
; %bb.466:                              ;   in Loop: Header=BB6_130 Depth=2
	s_or_b32 exec_lo, exec_lo, s43
	v_lshlrev_b32_e32 v55, 16, v0
	s_delay_alu instid0(VALU_DEP_1) | instskip(NEXT) | instid1(VALU_DEP_1)
	v_and_b32_e32 v55, 0x80000000, v55
	v_lshl_add_u32 v7, v7, 23, v55
	s_delay_alu instid0(VALU_DEP_1) | instskip(NEXT) | instid1(VALU_DEP_1)
	v_lshl_or_b32 v7, v54, 21, v7
                                        ; implicit-def: $vgpr54
	v_add_nc_u32_e32 v7, 0x38000000, v7
.LBB6_467:                              ;   in Loop: Header=BB6_130 Depth=2
	s_and_not1_saveexec_b32 s42, s42
; %bb.468:                              ;   in Loop: Header=BB6_130 Depth=2
	v_cmp_lt_i16_e32 vcc_lo, -1, v0
	v_cndmask_b32_e32 v7, 0xff800000, v62, vcc_lo
	v_cmp_eq_u32_e32 vcc_lo, 0, v54
	s_delay_alu instid0(VALU_DEP_2)
	v_cndmask_b32_e32 v7, 0x7f800001, v7, vcc_lo
; %bb.469:                              ;   in Loop: Header=BB6_130 Depth=2
	s_or_b32 exec_lo, exec_lo, s42
.LBB6_470:                              ;   in Loop: Header=BB6_130 Depth=2
	s_delay_alu instid0(SALU_CYCLE_1)
	s_or_b32 exec_lo, exec_lo, s15
.LBB6_471:                              ;   in Loop: Header=BB6_130 Depth=2
	s_delay_alu instid0(SALU_CYCLE_1) | instskip(NEXT) | instid1(VALU_DEP_1)
	s_or_b32 exec_lo, exec_lo, s11
	v_dual_max_num_f32 v7, v7, v7 :: v_dual_max_num_f32 v9, v9, v9
	s_mov_b32 s11, 0
	s_delay_alu instid0(VALU_DEP_1)
	v_max_num_f32_e32 v7, v9, v7
.LBB6_472:                              ;   in Loop: Header=BB6_130 Depth=2
	s_and_b32 vcc_lo, exec_lo, s11
	s_cbranch_vccz .LBB6_494
; %bb.473:                              ;   in Loop: Header=BB6_130 Depth=2
	v_dual_mov_b32 v7, 0 :: v_dual_mov_b32 v9, 0
	s_and_saveexec_b32 s11, s10
	s_cbranch_execz .LBB6_483
; %bb.474:                              ;   in Loop: Header=BB6_130 Depth=2
	v_bfrev_b32_e32 v9, 1
	s_mov_b32 s10, exec_lo
	v_cmpx_ne_u16_e32 0x80, v8
	s_cbranch_execz .LBB6_482
; %bb.475:                              ;   in Loop: Header=BB6_130 Depth=2
	v_and_b32_e32 v9, 0x7c, v1
	v_and_b32_e32 v54, 3, v1
	s_delay_alu instid0(VALU_DEP_2) | instskip(SKIP_1) | instid1(SALU_CYCLE_1)
	v_cmp_ne_u32_e32 vcc_lo, 0x7c, v9
                                        ; implicit-def: $vgpr9
	s_and_saveexec_b32 s15, vcc_lo
	s_xor_b32 s15, exec_lo, s15
	s_cbranch_execz .LBB6_479
; %bb.476:                              ;   in Loop: Header=BB6_130 Depth=2
	v_bfe_u32 v1, v1, 2, 5
	s_mov_b32 s42, exec_lo
	s_delay_alu instid0(VALU_DEP_1)
	v_cmpx_eq_u32_e32 0, v1
	s_cbranch_execz .LBB6_478
; %bb.477:                              ;   in Loop: Header=BB6_130 Depth=2
	v_clz_i32_u32_e32 v1, v54
	s_delay_alu instid0(VALU_DEP_1) | instskip(SKIP_1) | instid1(VALU_DEP_2)
	v_min_u32_e32 v1, 32, v1
	v_mov_b32_e32 v9, v25
	v_subrev_nc_u32_e32 v54, 29, v1
	v_sub_nc_u32_e32 v1, 30, v1
	s_delay_alu instid0(VALU_DEP_2) | instskip(NEXT) | instid1(VALU_DEP_1)
	v_lshlrev_b64_e32 v[8:9], v54, v[8:9]
	v_and_b32_e32 v54, 3, v8
.LBB6_478:                              ;   in Loop: Header=BB6_130 Depth=2
	s_or_b32 exec_lo, exec_lo, s42
	v_lshlrev_b32_e32 v8, 16, v24
	s_delay_alu instid0(VALU_DEP_1) | instskip(NEXT) | instid1(VALU_DEP_1)
	v_and_b32_e32 v8, 0x80000000, v8
	v_lshl_add_u32 v1, v1, 23, v8
	s_delay_alu instid0(VALU_DEP_1) | instskip(NEXT) | instid1(VALU_DEP_1)
	v_lshl_or_b32 v1, v54, 21, v1
                                        ; implicit-def: $vgpr54
	v_add_nc_u32_e32 v9, 0x38000000, v1
.LBB6_479:                              ;   in Loop: Header=BB6_130 Depth=2
	s_and_not1_saveexec_b32 s15, s15
; %bb.480:                              ;   in Loop: Header=BB6_130 Depth=2
	v_cmp_lt_i16_e32 vcc_lo, -1, v24
	v_cndmask_b32_e32 v1, 0xff800000, v62, vcc_lo
	v_cmp_eq_u32_e32 vcc_lo, 0, v54
	s_delay_alu instid0(VALU_DEP_2)
	v_cndmask_b32_e32 v9, 0x7f800001, v1, vcc_lo
; %bb.481:                              ;   in Loop: Header=BB6_130 Depth=2
	s_or_b32 exec_lo, exec_lo, s15
.LBB6_482:                              ;   in Loop: Header=BB6_130 Depth=2
	s_delay_alu instid0(SALU_CYCLE_1)
	s_or_b32 exec_lo, exec_lo, s10
.LBB6_483:                              ;   in Loop: Header=BB6_130 Depth=2
	s_delay_alu instid0(SALU_CYCLE_1) | instskip(NEXT) | instid1(SALU_CYCLE_1)
	s_or_b32 exec_lo, exec_lo, s11
	s_mov_b32 s10, exec_lo
	v_cmpx_ne_u16_e32 0, v6
	s_cbranch_execz .LBB6_493
; %bb.484:                              ;   in Loop: Header=BB6_130 Depth=2
	v_bfrev_b32_e32 v7, 1
	s_mov_b32 s11, exec_lo
	v_cmpx_ne_u16_e32 0x80, v6
	s_cbranch_execz .LBB6_492
; %bb.485:                              ;   in Loop: Header=BB6_130 Depth=2
	v_and_b32_e32 v1, 0xffff, v6
	s_delay_alu instid0(VALU_DEP_1) | instskip(SKIP_1) | instid1(VALU_DEP_2)
	v_and_b32_e32 v7, 0x7c, v1
	v_and_b32_e32 v8, 3, v1
	v_cmp_ne_u32_e32 vcc_lo, 0x7c, v7
                                        ; implicit-def: $vgpr7
	s_and_saveexec_b32 s15, vcc_lo
	s_delay_alu instid0(SALU_CYCLE_1)
	s_xor_b32 s15, exec_lo, s15
	s_cbranch_execz .LBB6_489
; %bb.486:                              ;   in Loop: Header=BB6_130 Depth=2
	v_bfe_u32 v1, v1, 2, 5
	s_mov_b32 s42, exec_lo
	s_delay_alu instid0(VALU_DEP_1)
	v_cmpx_eq_u32_e32 0, v1
	s_cbranch_execz .LBB6_488
; %bb.487:                              ;   in Loop: Header=BB6_130 Depth=2
	v_clz_i32_u32_e32 v1, v8
	s_delay_alu instid0(VALU_DEP_1) | instskip(SKIP_1) | instid1(VALU_DEP_2)
	v_min_u32_e32 v1, 32, v1
	v_mov_b32_e32 v7, v25
	v_subrev_nc_u32_e32 v8, 29, v1
	v_sub_nc_u32_e32 v1, 30, v1
	s_delay_alu instid0(VALU_DEP_2) | instskip(NEXT) | instid1(VALU_DEP_1)
	v_lshlrev_b64_e32 v[6:7], v8, v[6:7]
	v_and_b32_e32 v8, 3, v6
.LBB6_488:                              ;   in Loop: Header=BB6_130 Depth=2
	s_or_b32 exec_lo, exec_lo, s42
	v_lshlrev_b32_e32 v0, 16, v0
	s_delay_alu instid0(VALU_DEP_1) | instskip(NEXT) | instid1(VALU_DEP_1)
	v_and_b32_e32 v0, 0x80000000, v0
	v_lshl_add_u32 v0, v1, 23, v0
	s_delay_alu instid0(VALU_DEP_1) | instskip(NEXT) | instid1(VALU_DEP_1)
	v_lshl_or_b32 v0, v8, 21, v0
                                        ; implicit-def: $vgpr8
	v_add_nc_u32_e32 v7, 0x38000000, v0
                                        ; implicit-def: $vgpr0_vgpr1
.LBB6_489:                              ;   in Loop: Header=BB6_130 Depth=2
	s_and_not1_saveexec_b32 s15, s15
; %bb.490:                              ;   in Loop: Header=BB6_130 Depth=2
	v_cmp_lt_i16_e32 vcc_lo, -1, v0
	v_cndmask_b32_e32 v0, 0xff800000, v62, vcc_lo
	v_cmp_eq_u32_e32 vcc_lo, 0, v8
	s_delay_alu instid0(VALU_DEP_2)
	v_cndmask_b32_e32 v7, 0x7f800001, v0, vcc_lo
; %bb.491:                              ;   in Loop: Header=BB6_130 Depth=2
	s_or_b32 exec_lo, exec_lo, s15
.LBB6_492:                              ;   in Loop: Header=BB6_130 Depth=2
	s_delay_alu instid0(SALU_CYCLE_1)
	s_or_b32 exec_lo, exec_lo, s11
.LBB6_493:                              ;   in Loop: Header=BB6_130 Depth=2
	s_delay_alu instid0(SALU_CYCLE_1) | instskip(NEXT) | instid1(VALU_DEP_1)
	s_or_b32 exec_lo, exec_lo, s10
	v_dual_max_num_f32 v0, v7, v7 :: v_dual_max_num_f32 v1, v9, v9
	s_delay_alu instid0(VALU_DEP_1)
	v_min_num_f32_e32 v7, v1, v0
.LBB6_494:                              ;   in Loop: Header=BB6_130 Depth=2
	s_delay_alu instid0(VALU_DEP_1) | instskip(SKIP_2) | instid1(VALU_DEP_2)
	v_and_b32_e32 v0, 0x7f800000, v7
	v_mov_b32_e32 v1, v25
	v_and_b32_e32 v24, 0x7fffff, v7
                                        ; implicit-def: $vgpr54
	v_cmp_ne_u64_e32 vcc_lo, 0x7f800000, v[0:1]
	v_lshrrev_b32_e32 v0, 24, v7
	s_and_saveexec_b32 s10, vcc_lo
	s_delay_alu instid0(SALU_CYCLE_1)
	s_xor_b32 s11, exec_lo, s10
	s_cbranch_execz .LBB6_508
; %bb.495:                              ;   in Loop: Header=BB6_130 Depth=2
	v_and_b32_e32 v8, 0x7fffffff, v7
	v_mov_b32_e32 v9, v25
                                        ; implicit-def: $vgpr54
	s_delay_alu instid0(VALU_DEP_1) | instskip(SKIP_2) | instid1(SALU_CYCLE_1)
	v_cmp_gt_u64_e32 vcc_lo, 0x47600001, v[8:9]
	v_and_b32_e32 v8, 0x80, v0
	s_and_saveexec_b32 s10, vcc_lo
	s_xor_b32 s15, exec_lo, s10
	s_cbranch_execz .LBB6_505
; %bb.496:                              ;   in Loop: Header=BB6_130 Depth=2
	v_mov_b32_e32 v54, 0
	s_mov_b32 s42, exec_lo
	v_cmpx_ne_u32_e32 0, v7
	s_cbranch_execz .LBB6_504
; %bb.497:                              ;   in Loop: Header=BB6_130 Depth=2
	v_bfe_u32 v9, v7, 23, 8
	v_or_b32_e32 v6, 0x800000, v24
	s_delay_alu instid0(VALU_DEP_2) | instskip(SKIP_1) | instid1(VALU_DEP_2)
	v_sub_nc_u32_e32 v0, 0x71, v9
	v_cmp_gt_u32_e32 vcc_lo, 0x72, v9
	v_cndmask_b32_e32 v0, 0, v0, vcc_lo
	v_cmp_eq_u32_e32 vcc_lo, 0, v9
	s_delay_alu instid0(VALU_DEP_2) | instskip(NEXT) | instid1(VALU_DEP_1)
	v_cndmask_b32_e64 v54, v0, 0x70, vcc_lo
	v_dual_cndmask_b32 v24, v6, v24, vcc_lo :: v_dual_add_nc_u32 v0, 21, v54
	v_add_nc_u32_e32 v7, 20, v54
	s_delay_alu instid0(VALU_DEP_2) | instskip(NEXT) | instid1(VALU_DEP_2)
	v_lshlrev_b64_e64 v[0:1], v0, -1
	v_lshlrev_b64_e64 v[6:7], v7, 1
	s_delay_alu instid0(VALU_DEP_2) | instskip(NEXT) | instid1(VALU_DEP_3)
	v_bfi_b32 v65, v1, 0, 0
	v_bfi_b32 v64, v0, 0, v24
	v_lshrrev_b64 v[0:1], v54, v[24:25]
	s_delay_alu instid0(VALU_DEP_2) | instskip(NEXT) | instid1(VALU_DEP_2)
	v_cmp_eq_u64_e64 s10, v[64:65], v[6:7]
	v_mov_b64_e32 v[6:7], v[0:1]
	s_and_saveexec_b32 s43, s10
; %bb.498:                              ;   in Loop: Header=BB6_130 Depth=2
	v_bfe_u32 v24, v0, 21, 1
	s_delay_alu instid0(VALU_DEP_1) | instskip(NEXT) | instid1(VALU_DEP_1)
	v_add_nc_u64_e32 v[6:7], v[0:1], v[24:25]
	v_add_nc_u64_e32 v[6:7], -1, v[6:7]
; %bb.499:                              ;   in Loop: Header=BB6_130 Depth=2
	s_or_b32 exec_lo, exec_lo, s43
	v_add_nc_u32_e32 v1, 0xffffff81, v9
	v_lshrrev_b32_e32 v7, 23, v0
	s_mov_b32 s10, exec_lo
	s_delay_alu instid0(VALU_DEP_2) | instskip(NEXT) | instid1(VALU_DEP_1)
	v_cndmask_b32_e64 v1, v1, 0xffffff82, vcc_lo
	v_add3_u32 v7, v54, v1, v7
	v_and_b32_e32 v1, 0x1fffff, v6
                                        ; implicit-def: $vgpr6
	s_delay_alu instid0(VALU_DEP_1) | instskip(NEXT) | instid1(VALU_DEP_1)
	v_dual_add_nc_u32 v9, 14, v7 :: v_dual_add_nc_u32 v24, v1, v0
                                        ; implicit-def: $vgpr0_vgpr1
	v_cmpx_ne_u32_e32 0, v9
	s_xor_b32 s10, exec_lo, s10
; %bb.500:                              ;   in Loop: Header=BB6_130 Depth=2
	s_delay_alu instid0(VALU_DEP_2) | instskip(SKIP_1) | instid1(VALU_DEP_1)
	v_cmp_lt_u64_e32 vcc_lo, 0xffffff, v[24:25]
	v_add_nc_u32_e32 v0, 15, v7
	v_cndmask_b32_e32 v6, v9, v0, vcc_lo
	v_cndmask_b32_e64 v0, 0, 1, vcc_lo
	s_delay_alu instid0(VALU_DEP_1)
	v_lshrrev_b64 v[0:1], v0, v[24:25]
; %bb.501:                              ;   in Loop: Header=BB6_130 Depth=2
	s_and_not1_saveexec_b32 s10, s10
; %bb.502:                              ;   in Loop: Header=BB6_130 Depth=2
	v_mov_b64_e32 v[0:1], v[24:25]
	v_bfe_u32 v6, v24, 23, 1
; %bb.503:                              ;   in Loop: Header=BB6_130 Depth=2
	s_or_b32 exec_lo, exec_lo, s10
	s_delay_alu instid0(VALU_DEP_2) | instskip(NEXT) | instid1(VALU_DEP_2)
	v_lshrrev_b64 v[0:1], 21, v[0:1]
	v_cmp_gt_i32_e32 vcc_lo, 32, v6
	v_min_i32_e32 v7, 31, v6
	v_cmp_eq_u32_e64 s10, 0, v6
	s_delay_alu instid0(VALU_DEP_2) | instskip(SKIP_1) | instid1(VALU_DEP_2)
	v_dual_cndmask_b32 v1, 0, v1, vcc_lo :: v_dual_lshlrev_b32 v7, 2, v7
	v_cndmask_b32_e32 v0, 3, v0, vcc_lo
	v_and_b32_e32 v7, 0xfc, v7
	s_delay_alu instid0(VALU_DEP_2) | instskip(NEXT) | instid1(VALU_DEP_2)
	v_cmp_eq_u64_e32 vcc_lo, 0, v[0:1]
	v_and_or_b32 v0, v0, 3, v7
	s_and_b32 s10, s10, vcc_lo
	s_delay_alu instid0(VALU_DEP_1) | instid1(SALU_CYCLE_1)
	v_cndmask_b32_e64 v0, v0, 0, s10
	s_delay_alu instid0(VALU_DEP_1)
	v_or_b32_e32 v54, v0, v8
.LBB6_504:                              ;   in Loop: Header=BB6_130 Depth=2
	s_or_b32 exec_lo, exec_lo, s42
                                        ; implicit-def: $vgpr8
.LBB6_505:                              ;   in Loop: Header=BB6_130 Depth=2
	s_and_not1_saveexec_b32 s10, s15
; %bb.506:                              ;   in Loop: Header=BB6_130 Depth=2
	v_or_b32_e32 v54, 0x7b, v8
; %bb.507:                              ;   in Loop: Header=BB6_130 Depth=2
	s_or_b32 exec_lo, exec_lo, s10
                                        ; implicit-def: $vgpr7
                                        ; implicit-def: $vgpr0
.LBB6_508:                              ;   in Loop: Header=BB6_130 Depth=2
	s_and_not1_saveexec_b32 s10, s11
	s_cbranch_execz .LBB6_514
; %bb.509:                              ;   in Loop: Header=BB6_130 Depth=2
	s_mov_b32 s11, exec_lo
                                        ; implicit-def: $vgpr54
	v_cmpx_ne_u64_e32 0, v[24:25]
	s_xor_b32 s11, exec_lo, s11
; %bb.510:                              ;   in Loop: Header=BB6_130 Depth=2
	v_or_b32_e32 v54, 0x7f, v0
                                        ; implicit-def: $vgpr7
; %bb.511:                              ;   in Loop: Header=BB6_130 Depth=2
	s_and_not1_saveexec_b32 s11, s11
; %bb.512:                              ;   in Loop: Header=BB6_130 Depth=2
	v_cmp_lt_i32_e32 vcc_lo, -1, v7
	v_cndmask_b32_e32 v54, 0xfc, v93, vcc_lo
; %bb.513:                              ;   in Loop: Header=BB6_130 Depth=2
	s_or_b32 exec_lo, exec_lo, s11
.LBB6_514:                              ;   in Loop: Header=BB6_130 Depth=2
	s_delay_alu instid0(SALU_CYCLE_1) | instskip(SKIP_4) | instid1(VALU_DEP_2)
	s_or_b32 exec_lo, exec_lo, s10
	v_lshrrev_b32_e32 v6, 16, v49
	v_lshrrev_b32_e32 v0, 16, v37
	s_and_b32 vcc_lo, exec_lo, s14
	s_mov_b32 s11, -1
                                        ; implicit-def: $vgpr7
	v_and_b32_e32 v1, 0xff, v6
	s_delay_alu instid0(VALU_DEP_1)
	v_cmp_ne_u16_e64 s10, 0, v1
	s_cbranch_vccz .LBB6_536
; %bb.515:                              ;   in Loop: Header=BB6_130 Depth=2
	v_dual_mov_b32 v8, 0 :: v_dual_mov_b32 v7, 0
	s_and_saveexec_b32 s11, s10
	s_cbranch_execz .LBB6_525
; %bb.516:                              ;   in Loop: Header=BB6_130 Depth=2
	v_bfrev_b32_e32 v7, 1
	s_mov_b32 s15, exec_lo
	v_cmpx_ne_u16_e32 0x80, v1
	s_cbranch_execz .LBB6_524
; %bb.517:                              ;   in Loop: Header=BB6_130 Depth=2
	v_and_b32_e32 v7, 0x7c0000, v49
	v_bfe_u32 v9, v49, 16, 2
	s_delay_alu instid0(VALU_DEP_2) | instskip(SKIP_1) | instid1(SALU_CYCLE_1)
	v_cmp_ne_u32_e32 vcc_lo, 0x7c0000, v7
                                        ; implicit-def: $vgpr7
	s_and_saveexec_b32 s42, vcc_lo
	s_xor_b32 s42, exec_lo, s42
	s_cbranch_execz .LBB6_521
; %bb.518:                              ;   in Loop: Header=BB6_130 Depth=2
	v_bfe_u32 v7, v49, 18, 5
	s_mov_b32 s43, exec_lo
	s_delay_alu instid0(VALU_DEP_1)
	v_cmpx_eq_u32_e32 0, v7
; %bb.519:                              ;   in Loop: Header=BB6_130 Depth=2
	v_clz_i32_u32_e32 v7, v9
	s_delay_alu instid0(VALU_DEP_1) | instskip(NEXT) | instid1(VALU_DEP_1)
	v_min_u32_e32 v7, 32, v7
	v_subrev_nc_u32_e32 v9, 29, v7
	s_delay_alu instid0(VALU_DEP_1) | instskip(NEXT) | instid1(VALU_DEP_1)
	v_lshlrev_b64_e32 v[64:65], v9, v[6:7]
	v_dual_sub_nc_u32 v7, 30, v7 :: v_dual_bitop2_b32 v9, 3, v64 bitop3:0x40
; %bb.520:                              ;   in Loop: Header=BB6_130 Depth=2
	s_or_b32 exec_lo, exec_lo, s43
	v_lshlrev_b32_e32 v24, 24, v6
	s_delay_alu instid0(VALU_DEP_1) | instskip(NEXT) | instid1(VALU_DEP_1)
	v_and_b32_e32 v24, 0x80000000, v24
	v_lshl_add_u32 v7, v7, 23, v24
	s_delay_alu instid0(VALU_DEP_1) | instskip(NEXT) | instid1(VALU_DEP_1)
	v_lshl_or_b32 v7, v9, 21, v7
                                        ; implicit-def: $vgpr9
	v_add_nc_u32_e32 v7, 0x38000000, v7
.LBB6_521:                              ;   in Loop: Header=BB6_130 Depth=2
	s_and_not1_saveexec_b32 s42, s42
; %bb.522:                              ;   in Loop: Header=BB6_130 Depth=2
	v_bfe_i32 v7, v6, 0, 8
	s_delay_alu instid0(VALU_DEP_1) | instskip(SKIP_2) | instid1(VALU_DEP_2)
	v_cmp_lt_i16_e32 vcc_lo, -1, v7
	v_cndmask_b32_e32 v7, 0xff800000, v62, vcc_lo
	v_cmp_eq_u32_e32 vcc_lo, 0, v9
	v_cndmask_b32_e32 v7, 0x7f800001, v7, vcc_lo
; %bb.523:                              ;   in Loop: Header=BB6_130 Depth=2
	s_or_b32 exec_lo, exec_lo, s42
.LBB6_524:                              ;   in Loop: Header=BB6_130 Depth=2
	s_delay_alu instid0(SALU_CYCLE_1)
	s_or_b32 exec_lo, exec_lo, s15
.LBB6_525:                              ;   in Loop: Header=BB6_130 Depth=2
	s_delay_alu instid0(SALU_CYCLE_1) | instskip(SKIP_2) | instid1(VALU_DEP_1)
	s_or_b32 exec_lo, exec_lo, s11
	v_and_b32_e32 v9, 0xff, v0
	s_mov_b32 s11, exec_lo
	v_cmpx_ne_u16_e32 0, v9
	s_cbranch_execz .LBB6_535
; %bb.526:                              ;   in Loop: Header=BB6_130 Depth=2
	v_bfrev_b32_e32 v8, 1
	s_mov_b32 s15, exec_lo
	v_cmpx_ne_u16_e32 0x80, v9
	s_cbranch_execz .LBB6_534
; %bb.527:                              ;   in Loop: Header=BB6_130 Depth=2
	v_and_b32_e32 v8, 0x7c0000, v37
	v_bfe_u32 v9, v37, 16, 2
	s_delay_alu instid0(VALU_DEP_2) | instskip(SKIP_1) | instid1(SALU_CYCLE_1)
	v_cmp_ne_u32_e32 vcc_lo, 0x7c0000, v8
                                        ; implicit-def: $vgpr8
	s_and_saveexec_b32 s42, vcc_lo
	s_xor_b32 s42, exec_lo, s42
	s_cbranch_execz .LBB6_531
; %bb.528:                              ;   in Loop: Header=BB6_130 Depth=2
	v_bfe_u32 v8, v37, 18, 5
	s_mov_b32 s43, exec_lo
	s_delay_alu instid0(VALU_DEP_1)
	v_cmpx_eq_u32_e32 0, v8
; %bb.529:                              ;   in Loop: Header=BB6_130 Depth=2
	v_clz_i32_u32_e32 v8, v9
	s_delay_alu instid0(VALU_DEP_1) | instskip(NEXT) | instid1(VALU_DEP_1)
	v_min_u32_e32 v8, 32, v8
	v_subrev_nc_u32_e32 v9, 29, v8
	v_sub_nc_u32_e32 v8, 30, v8
	s_delay_alu instid0(VALU_DEP_2) | instskip(NEXT) | instid1(VALU_DEP_1)
	v_lshlrev_b64_e32 v[64:65], v9, v[0:1]
	v_and_b32_e32 v9, 3, v64
; %bb.530:                              ;   in Loop: Header=BB6_130 Depth=2
	s_or_b32 exec_lo, exec_lo, s43
	v_lshlrev_b32_e32 v24, 24, v0
	s_delay_alu instid0(VALU_DEP_1) | instskip(NEXT) | instid1(VALU_DEP_1)
	v_and_b32_e32 v24, 0x80000000, v24
	v_lshl_add_u32 v8, v8, 23, v24
	s_delay_alu instid0(VALU_DEP_1) | instskip(NEXT) | instid1(VALU_DEP_1)
	v_lshl_or_b32 v8, v9, 21, v8
                                        ; implicit-def: $vgpr9
	v_add_nc_u32_e32 v8, 0x38000000, v8
.LBB6_531:                              ;   in Loop: Header=BB6_130 Depth=2
	s_and_not1_saveexec_b32 s42, s42
; %bb.532:                              ;   in Loop: Header=BB6_130 Depth=2
	v_bfe_i32 v8, v0, 0, 8
	s_delay_alu instid0(VALU_DEP_1) | instskip(SKIP_2) | instid1(VALU_DEP_2)
	v_cmp_lt_i16_e32 vcc_lo, -1, v8
	v_cndmask_b32_e32 v8, 0xff800000, v62, vcc_lo
	v_cmp_eq_u32_e32 vcc_lo, 0, v9
	v_cndmask_b32_e32 v8, 0x7f800001, v8, vcc_lo
; %bb.533:                              ;   in Loop: Header=BB6_130 Depth=2
	s_or_b32 exec_lo, exec_lo, s42
.LBB6_534:                              ;   in Loop: Header=BB6_130 Depth=2
	s_delay_alu instid0(SALU_CYCLE_1)
	s_or_b32 exec_lo, exec_lo, s15
.LBB6_535:                              ;   in Loop: Header=BB6_130 Depth=2
	s_delay_alu instid0(SALU_CYCLE_1) | instskip(NEXT) | instid1(VALU_DEP_1)
	s_or_b32 exec_lo, exec_lo, s11
	v_dual_max_num_f32 v8, v8, v8 :: v_dual_max_num_f32 v7, v7, v7
	s_mov_b32 s11, 0
	s_delay_alu instid0(VALU_DEP_1)
	v_max_num_f32_e32 v7, v7, v8
.LBB6_536:                              ;   in Loop: Header=BB6_130 Depth=2
	s_and_b32 vcc_lo, exec_lo, s11
	s_cbranch_vccz .LBB6_558
; %bb.537:                              ;   in Loop: Header=BB6_130 Depth=2
	v_dual_mov_b32 v8, 0 :: v_dual_mov_b32 v7, 0
	s_and_saveexec_b32 s11, s10
	s_cbranch_execz .LBB6_547
; %bb.538:                              ;   in Loop: Header=BB6_130 Depth=2
	v_bfrev_b32_e32 v7, 1
	s_mov_b32 s10, exec_lo
	v_cmpx_ne_u16_e32 0x80, v1
	s_cbranch_execz .LBB6_546
; %bb.539:                              ;   in Loop: Header=BB6_130 Depth=2
	v_and_b32_e32 v7, 0x7c0000, v49
	v_bfe_u32 v1, v49, 16, 2
	s_delay_alu instid0(VALU_DEP_2) | instskip(SKIP_1) | instid1(SALU_CYCLE_1)
	v_cmp_ne_u32_e32 vcc_lo, 0x7c0000, v7
                                        ; implicit-def: $vgpr7
	s_and_saveexec_b32 s15, vcc_lo
	s_xor_b32 s15, exec_lo, s15
	s_cbranch_execz .LBB6_543
; %bb.540:                              ;   in Loop: Header=BB6_130 Depth=2
	v_bfe_u32 v7, v49, 18, 5
	s_mov_b32 s42, exec_lo
	s_delay_alu instid0(VALU_DEP_1)
	v_cmpx_eq_u32_e32 0, v7
; %bb.541:                              ;   in Loop: Header=BB6_130 Depth=2
	v_clz_i32_u32_e32 v1, v1
	s_delay_alu instid0(VALU_DEP_1) | instskip(NEXT) | instid1(VALU_DEP_1)
	v_min_u32_e32 v1, 32, v1
	v_subrev_nc_u32_e32 v7, 29, v1
	s_delay_alu instid0(VALU_DEP_1) | instskip(NEXT) | instid1(VALU_DEP_1)
	v_lshlrev_b64_e32 v[64:65], v7, v[6:7]
	v_dual_sub_nc_u32 v7, 30, v1 :: v_dual_bitop2_b32 v1, 3, v64 bitop3:0x40
; %bb.542:                              ;   in Loop: Header=BB6_130 Depth=2
	s_or_b32 exec_lo, exec_lo, s42
	v_lshlrev_b32_e32 v6, 24, v6
	s_delay_alu instid0(VALU_DEP_1) | instskip(NEXT) | instid1(VALU_DEP_1)
	v_and_b32_e32 v6, 0x80000000, v6
	v_lshl_add_u32 v6, v7, 23, v6
	s_delay_alu instid0(VALU_DEP_1) | instskip(NEXT) | instid1(VALU_DEP_1)
	v_lshl_or_b32 v1, v1, 21, v6
                                        ; implicit-def: $vgpr6
	v_add_nc_u32_e32 v7, 0x38000000, v1
                                        ; implicit-def: $vgpr1
.LBB6_543:                              ;   in Loop: Header=BB6_130 Depth=2
	s_and_not1_saveexec_b32 s15, s15
; %bb.544:                              ;   in Loop: Header=BB6_130 Depth=2
	v_bfe_i32 v6, v6, 0, 8
	s_delay_alu instid0(VALU_DEP_1) | instskip(SKIP_2) | instid1(VALU_DEP_2)
	v_cmp_lt_i16_e32 vcc_lo, -1, v6
	v_cndmask_b32_e32 v6, 0xff800000, v62, vcc_lo
	v_cmp_eq_u32_e32 vcc_lo, 0, v1
	v_cndmask_b32_e32 v7, 0x7f800001, v6, vcc_lo
; %bb.545:                              ;   in Loop: Header=BB6_130 Depth=2
	s_or_b32 exec_lo, exec_lo, s15
.LBB6_546:                              ;   in Loop: Header=BB6_130 Depth=2
	s_delay_alu instid0(SALU_CYCLE_1)
	s_or_b32 exec_lo, exec_lo, s10
.LBB6_547:                              ;   in Loop: Header=BB6_130 Depth=2
	s_delay_alu instid0(SALU_CYCLE_1) | instskip(SKIP_2) | instid1(VALU_DEP_1)
	s_or_b32 exec_lo, exec_lo, s11
	v_and_b32_e32 v1, 0xff, v0
	s_mov_b32 s10, exec_lo
	v_cmpx_ne_u16_e32 0, v1
	s_cbranch_execz .LBB6_557
; %bb.548:                              ;   in Loop: Header=BB6_130 Depth=2
	v_bfrev_b32_e32 v8, 1
	s_mov_b32 s11, exec_lo
	v_cmpx_ne_u16_e32 0x80, v1
	s_cbranch_execz .LBB6_556
; %bb.549:                              ;   in Loop: Header=BB6_130 Depth=2
	v_and_b32_e32 v6, 0x7c0000, v37
	v_bfe_u32 v1, v37, 16, 2
	s_mov_b32 s15, exec_lo
                                        ; implicit-def: $vgpr8
	s_delay_alu instid0(VALU_DEP_2)
	v_cmpx_ne_u32_e32 0x7c0000, v6
	s_xor_b32 s15, exec_lo, s15
	s_cbranch_execz .LBB6_553
; %bb.550:                              ;   in Loop: Header=BB6_130 Depth=2
	v_bfe_u32 v6, v37, 18, 5
	s_mov_b32 s42, exec_lo
	s_delay_alu instid0(VALU_DEP_1)
	v_cmpx_eq_u32_e32 0, v6
; %bb.551:                              ;   in Loop: Header=BB6_130 Depth=2
	v_clz_i32_u32_e32 v1, v1
	s_delay_alu instid0(VALU_DEP_1) | instskip(NEXT) | instid1(VALU_DEP_1)
	v_min_u32_e32 v1, 32, v1
	v_subrev_nc_u32_e32 v6, 29, v1
	s_delay_alu instid0(VALU_DEP_1) | instskip(NEXT) | instid1(VALU_DEP_1)
	v_lshlrev_b64_e32 v[8:9], v6, v[0:1]
	v_dual_sub_nc_u32 v6, 30, v1 :: v_dual_bitop2_b32 v1, 3, v8 bitop3:0x40
; %bb.552:                              ;   in Loop: Header=BB6_130 Depth=2
	s_or_b32 exec_lo, exec_lo, s42
	v_lshlrev_b32_e32 v0, 24, v0
	s_delay_alu instid0(VALU_DEP_1) | instskip(NEXT) | instid1(VALU_DEP_1)
	v_and_b32_e32 v0, 0x80000000, v0
	v_lshl_add_u32 v0, v6, 23, v0
	s_delay_alu instid0(VALU_DEP_1) | instskip(NEXT) | instid1(VALU_DEP_1)
	v_lshl_or_b32 v0, v1, 21, v0
                                        ; implicit-def: $vgpr1
	v_add_nc_u32_e32 v8, 0x38000000, v0
                                        ; implicit-def: $vgpr0
.LBB6_553:                              ;   in Loop: Header=BB6_130 Depth=2
	s_and_not1_saveexec_b32 s15, s15
; %bb.554:                              ;   in Loop: Header=BB6_130 Depth=2
	v_bfe_i32 v0, v0, 0, 8
	s_delay_alu instid0(VALU_DEP_1) | instskip(SKIP_2) | instid1(VALU_DEP_2)
	v_cmp_lt_i16_e32 vcc_lo, -1, v0
	v_cndmask_b32_e32 v0, 0xff800000, v62, vcc_lo
	v_cmp_eq_u32_e32 vcc_lo, 0, v1
	v_cndmask_b32_e32 v8, 0x7f800001, v0, vcc_lo
; %bb.555:                              ;   in Loop: Header=BB6_130 Depth=2
	s_or_b32 exec_lo, exec_lo, s15
.LBB6_556:                              ;   in Loop: Header=BB6_130 Depth=2
	s_delay_alu instid0(SALU_CYCLE_1)
	s_or_b32 exec_lo, exec_lo, s11
.LBB6_557:                              ;   in Loop: Header=BB6_130 Depth=2
	s_delay_alu instid0(SALU_CYCLE_1) | instskip(NEXT) | instid1(VALU_DEP_1)
	s_or_b32 exec_lo, exec_lo, s10
	v_dual_max_num_f32 v0, v8, v8 :: v_dual_max_num_f32 v1, v7, v7
	s_delay_alu instid0(VALU_DEP_1)
	v_min_num_f32_e32 v7, v1, v0
.LBB6_558:                              ;   in Loop: Header=BB6_130 Depth=2
	s_delay_alu instid0(VALU_DEP_1) | instskip(SKIP_2) | instid1(VALU_DEP_2)
	v_and_b32_e32 v0, 0x7f800000, v7
	v_mov_b32_e32 v1, v25
	v_and_b32_e32 v24, 0x7fffff, v7
                                        ; implicit-def: $vgpr55
	v_cmp_ne_u64_e32 vcc_lo, 0x7f800000, v[0:1]
	v_lshrrev_b32_e32 v0, 24, v7
	s_and_saveexec_b32 s10, vcc_lo
	s_delay_alu instid0(SALU_CYCLE_1)
	s_xor_b32 s11, exec_lo, s10
	s_cbranch_execz .LBB6_572
; %bb.559:                              ;   in Loop: Header=BB6_130 Depth=2
	v_and_b32_e32 v8, 0x7fffffff, v7
	v_mov_b32_e32 v9, v25
                                        ; implicit-def: $vgpr55
	s_delay_alu instid0(VALU_DEP_1) | instskip(SKIP_2) | instid1(SALU_CYCLE_1)
	v_cmp_gt_u64_e32 vcc_lo, 0x47600001, v[8:9]
	v_and_b32_e32 v8, 0x80, v0
	s_and_saveexec_b32 s10, vcc_lo
	s_xor_b32 s15, exec_lo, s10
	s_cbranch_execz .LBB6_569
; %bb.560:                              ;   in Loop: Header=BB6_130 Depth=2
	v_mov_b32_e32 v55, 0
	s_mov_b32 s42, exec_lo
	v_cmpx_ne_u32_e32 0, v7
	s_cbranch_execz .LBB6_568
; %bb.561:                              ;   in Loop: Header=BB6_130 Depth=2
	v_bfe_u32 v9, v7, 23, 8
	v_or_b32_e32 v6, 0x800000, v24
	s_delay_alu instid0(VALU_DEP_2) | instskip(SKIP_1) | instid1(VALU_DEP_2)
	v_sub_nc_u32_e32 v0, 0x71, v9
	v_cmp_gt_u32_e32 vcc_lo, 0x72, v9
	v_cndmask_b32_e32 v0, 0, v0, vcc_lo
	v_cmp_eq_u32_e32 vcc_lo, 0, v9
	s_delay_alu instid0(VALU_DEP_2) | instskip(NEXT) | instid1(VALU_DEP_1)
	v_cndmask_b32_e64 v55, v0, 0x70, vcc_lo
	v_dual_cndmask_b32 v24, v6, v24, vcc_lo :: v_dual_add_nc_u32 v0, 21, v55
	v_add_nc_u32_e32 v7, 20, v55
	s_delay_alu instid0(VALU_DEP_2) | instskip(NEXT) | instid1(VALU_DEP_2)
	v_lshlrev_b64_e64 v[0:1], v0, -1
	v_lshlrev_b64_e64 v[6:7], v7, 1
	s_delay_alu instid0(VALU_DEP_2) | instskip(NEXT) | instid1(VALU_DEP_3)
	v_bfi_b32 v65, v1, 0, 0
	v_bfi_b32 v64, v0, 0, v24
	v_lshrrev_b64 v[0:1], v55, v[24:25]
	s_delay_alu instid0(VALU_DEP_2) | instskip(NEXT) | instid1(VALU_DEP_2)
	v_cmp_eq_u64_e64 s10, v[64:65], v[6:7]
	v_mov_b64_e32 v[6:7], v[0:1]
	s_and_saveexec_b32 s43, s10
; %bb.562:                              ;   in Loop: Header=BB6_130 Depth=2
	v_bfe_u32 v24, v0, 21, 1
	s_delay_alu instid0(VALU_DEP_1) | instskip(NEXT) | instid1(VALU_DEP_1)
	v_add_nc_u64_e32 v[6:7], v[0:1], v[24:25]
	v_add_nc_u64_e32 v[6:7], -1, v[6:7]
; %bb.563:                              ;   in Loop: Header=BB6_130 Depth=2
	s_or_b32 exec_lo, exec_lo, s43
	v_add_nc_u32_e32 v1, 0xffffff81, v9
	v_lshrrev_b32_e32 v7, 23, v0
	s_mov_b32 s10, exec_lo
	s_delay_alu instid0(VALU_DEP_2) | instskip(NEXT) | instid1(VALU_DEP_1)
	v_cndmask_b32_e64 v1, v1, 0xffffff82, vcc_lo
	v_add3_u32 v7, v55, v1, v7
	v_and_b32_e32 v1, 0x1fffff, v6
                                        ; implicit-def: $vgpr6
	s_delay_alu instid0(VALU_DEP_1) | instskip(NEXT) | instid1(VALU_DEP_1)
	v_dual_add_nc_u32 v9, 14, v7 :: v_dual_add_nc_u32 v24, v1, v0
                                        ; implicit-def: $vgpr0_vgpr1
	v_cmpx_ne_u32_e32 0, v9
	s_xor_b32 s10, exec_lo, s10
; %bb.564:                              ;   in Loop: Header=BB6_130 Depth=2
	s_delay_alu instid0(VALU_DEP_2) | instskip(SKIP_1) | instid1(VALU_DEP_1)
	v_cmp_lt_u64_e32 vcc_lo, 0xffffff, v[24:25]
	v_add_nc_u32_e32 v0, 15, v7
	v_cndmask_b32_e32 v6, v9, v0, vcc_lo
	v_cndmask_b32_e64 v0, 0, 1, vcc_lo
	s_delay_alu instid0(VALU_DEP_1)
	v_lshrrev_b64 v[0:1], v0, v[24:25]
; %bb.565:                              ;   in Loop: Header=BB6_130 Depth=2
	s_and_not1_saveexec_b32 s10, s10
; %bb.566:                              ;   in Loop: Header=BB6_130 Depth=2
	v_mov_b64_e32 v[0:1], v[24:25]
	v_bfe_u32 v6, v24, 23, 1
; %bb.567:                              ;   in Loop: Header=BB6_130 Depth=2
	s_or_b32 exec_lo, exec_lo, s10
	s_delay_alu instid0(VALU_DEP_2) | instskip(NEXT) | instid1(VALU_DEP_2)
	v_lshrrev_b64 v[0:1], 21, v[0:1]
	v_cmp_gt_i32_e32 vcc_lo, 32, v6
	v_min_i32_e32 v7, 31, v6
	v_cmp_eq_u32_e64 s10, 0, v6
	s_delay_alu instid0(VALU_DEP_2) | instskip(SKIP_1) | instid1(VALU_DEP_2)
	v_dual_cndmask_b32 v1, 0, v1, vcc_lo :: v_dual_lshlrev_b32 v7, 2, v7
	v_cndmask_b32_e32 v0, 3, v0, vcc_lo
	v_and_b32_e32 v7, 0xfc, v7
	s_delay_alu instid0(VALU_DEP_2) | instskip(NEXT) | instid1(VALU_DEP_2)
	v_cmp_eq_u64_e32 vcc_lo, 0, v[0:1]
	v_and_or_b32 v0, v0, 3, v7
	s_and_b32 s10, s10, vcc_lo
	s_delay_alu instid0(VALU_DEP_1) | instid1(SALU_CYCLE_1)
	v_cndmask_b32_e64 v0, v0, 0, s10
	s_delay_alu instid0(VALU_DEP_1)
	v_or_b32_e32 v55, v0, v8
.LBB6_568:                              ;   in Loop: Header=BB6_130 Depth=2
	s_or_b32 exec_lo, exec_lo, s42
                                        ; implicit-def: $vgpr8
.LBB6_569:                              ;   in Loop: Header=BB6_130 Depth=2
	s_and_not1_saveexec_b32 s10, s15
; %bb.570:                              ;   in Loop: Header=BB6_130 Depth=2
	v_or_b32_e32 v55, 0x7b, v8
; %bb.571:                              ;   in Loop: Header=BB6_130 Depth=2
	s_or_b32 exec_lo, exec_lo, s10
                                        ; implicit-def: $vgpr7
                                        ; implicit-def: $vgpr0
.LBB6_572:                              ;   in Loop: Header=BB6_130 Depth=2
	s_and_not1_saveexec_b32 s10, s11
	s_cbranch_execz .LBB6_578
; %bb.573:                              ;   in Loop: Header=BB6_130 Depth=2
	s_mov_b32 s11, exec_lo
                                        ; implicit-def: $vgpr55
	v_cmpx_ne_u64_e32 0, v[24:25]
	s_xor_b32 s11, exec_lo, s11
; %bb.574:                              ;   in Loop: Header=BB6_130 Depth=2
	v_or_b32_e32 v55, 0x7f, v0
                                        ; implicit-def: $vgpr7
; %bb.575:                              ;   in Loop: Header=BB6_130 Depth=2
	s_and_not1_saveexec_b32 s11, s11
; %bb.576:                              ;   in Loop: Header=BB6_130 Depth=2
	v_cmp_lt_i32_e32 vcc_lo, -1, v7
	v_cndmask_b32_e32 v55, 0xfc, v93, vcc_lo
; %bb.577:                              ;   in Loop: Header=BB6_130 Depth=2
	s_or_b32 exec_lo, exec_lo, s11
.LBB6_578:                              ;   in Loop: Header=BB6_130 Depth=2
	s_delay_alu instid0(SALU_CYCLE_1)
	s_or_b32 exec_lo, exec_lo, s10
	v_cmp_lt_u64_e64 s10, s[16:17], v[48:49]
	v_lshrrev_b32_e32 v6, 24, v49
	v_lshrrev_b32_e32 v0, 24, v37
	s_and_b32 vcc_lo, exec_lo, s14
	s_mov_b32 s11, -1
                                        ; implicit-def: $vgpr1
	s_cbranch_vccz .LBB6_600
; %bb.579:                              ;   in Loop: Header=BB6_130 Depth=2
	v_dual_mov_b32 v7, 0 :: v_dual_mov_b32 v1, 0
	s_and_saveexec_b32 s11, s10
	s_cbranch_execz .LBB6_589
; %bb.580:                              ;   in Loop: Header=BB6_130 Depth=2
	v_bfrev_b32_e32 v1, 1
	s_mov_b32 s15, exec_lo
	v_cmpx_ne_u32_e32 0x80, v6
	s_cbranch_execz .LBB6_588
; %bb.581:                              ;   in Loop: Header=BB6_130 Depth=2
	v_and_b32_e32 v1, 0x7c000000, v49
	v_bfe_u32 v8, v49, 24, 2
	s_delay_alu instid0(VALU_DEP_2) | instskip(SKIP_1) | instid1(SALU_CYCLE_1)
	v_cmp_ne_u32_e32 vcc_lo, 0x7c000000, v1
                                        ; implicit-def: $vgpr1
	s_and_saveexec_b32 s42, vcc_lo
	s_xor_b32 s42, exec_lo, s42
	s_cbranch_execz .LBB6_585
; %bb.582:                              ;   in Loop: Header=BB6_130 Depth=2
	v_bfe_u32 v1, v49, 26, 5
	s_mov_b32 s43, exec_lo
	s_delay_alu instid0(VALU_DEP_1)
	v_cmpx_eq_u32_e32 0, v1
; %bb.583:                              ;   in Loop: Header=BB6_130 Depth=2
	v_clz_i32_u32_e32 v1, v8
	s_delay_alu instid0(VALU_DEP_1) | instskip(NEXT) | instid1(VALU_DEP_1)
	v_min_u32_e32 v1, 32, v1
	v_subrev_nc_u32_e32 v8, 29, v1
	s_delay_alu instid0(VALU_DEP_1) | instskip(NEXT) | instid1(VALU_DEP_1)
	v_lshlrev_b64_e32 v[8:9], v8, v[6:7]
	v_dual_sub_nc_u32 v1, 30, v1 :: v_dual_bitop2_b32 v8, 3, v8 bitop3:0x40
; %bb.584:                              ;   in Loop: Header=BB6_130 Depth=2
	s_or_b32 exec_lo, exec_lo, s43
	v_and_b32_e32 v9, 0x80000000, v49
	s_delay_alu instid0(VALU_DEP_1) | instskip(NEXT) | instid1(VALU_DEP_1)
	v_lshl_add_u32 v1, v1, 23, v9
	v_lshl_or_b32 v1, v8, 21, v1
                                        ; implicit-def: $vgpr8
	s_delay_alu instid0(VALU_DEP_1)
	v_add_nc_u32_e32 v1, 0x38000000, v1
.LBB6_585:                              ;   in Loop: Header=BB6_130 Depth=2
	s_and_not1_saveexec_b32 s42, s42
; %bb.586:                              ;   in Loop: Header=BB6_130 Depth=2
	v_cmp_lt_i64_e32 vcc_lo, -1, v[48:49]
	v_cndmask_b32_e32 v1, 0xff800000, v62, vcc_lo
	v_cmp_eq_u32_e32 vcc_lo, 0, v8
	s_delay_alu instid0(VALU_DEP_2)
	v_cndmask_b32_e32 v1, 0x7f800001, v1, vcc_lo
; %bb.587:                              ;   in Loop: Header=BB6_130 Depth=2
	s_or_b32 exec_lo, exec_lo, s42
.LBB6_588:                              ;   in Loop: Header=BB6_130 Depth=2
	s_delay_alu instid0(SALU_CYCLE_1)
	s_or_b32 exec_lo, exec_lo, s15
.LBB6_589:                              ;   in Loop: Header=BB6_130 Depth=2
	s_delay_alu instid0(SALU_CYCLE_1) | instskip(NEXT) | instid1(SALU_CYCLE_1)
	s_or_b32 exec_lo, exec_lo, s11
	s_mov_b32 s11, exec_lo
	v_cmpx_lt_u64_e64 s[16:17], v[36:37]
	s_cbranch_execz .LBB6_599
; %bb.590:                              ;   in Loop: Header=BB6_130 Depth=2
	v_bfrev_b32_e32 v7, 1
	s_mov_b32 s15, exec_lo
	v_cmpx_ne_u32_e32 0x80, v0
	s_cbranch_execz .LBB6_598
; %bb.591:                              ;   in Loop: Header=BB6_130 Depth=2
	v_and_b32_e32 v7, 0x7c000000, v37
	v_bfe_u32 v8, v37, 24, 2
	s_delay_alu instid0(VALU_DEP_2) | instskip(SKIP_1) | instid1(SALU_CYCLE_1)
	v_cmp_ne_u32_e32 vcc_lo, 0x7c000000, v7
                                        ; implicit-def: $vgpr7
	s_and_saveexec_b32 s42, vcc_lo
	s_xor_b32 s42, exec_lo, s42
	s_cbranch_execz .LBB6_595
; %bb.592:                              ;   in Loop: Header=BB6_130 Depth=2
	v_bfe_u32 v7, v37, 26, 5
	s_mov_b32 s43, exec_lo
	s_delay_alu instid0(VALU_DEP_1)
	v_cmpx_eq_u32_e32 0, v7
; %bb.593:                              ;   in Loop: Header=BB6_130 Depth=2
	v_clz_i32_u32_e32 v7, v8
	s_delay_alu instid0(VALU_DEP_1) | instskip(NEXT) | instid1(VALU_DEP_1)
	v_min_u32_e32 v7, 32, v7
	v_subrev_nc_u32_e32 v8, 29, v7
	s_delay_alu instid0(VALU_DEP_1) | instskip(NEXT) | instid1(VALU_DEP_1)
	v_lshlrev_b64_e32 v[8:9], v8, v[0:1]
	v_dual_sub_nc_u32 v7, 30, v7 :: v_dual_bitop2_b32 v8, 3, v8 bitop3:0x40
; %bb.594:                              ;   in Loop: Header=BB6_130 Depth=2
	s_or_b32 exec_lo, exec_lo, s43
	v_and_b32_e32 v9, 0x80000000, v37
	s_delay_alu instid0(VALU_DEP_1) | instskip(NEXT) | instid1(VALU_DEP_1)
	v_lshl_add_u32 v7, v7, 23, v9
	v_lshl_or_b32 v7, v8, 21, v7
                                        ; implicit-def: $vgpr8
	s_delay_alu instid0(VALU_DEP_1)
	v_add_nc_u32_e32 v7, 0x38000000, v7
.LBB6_595:                              ;   in Loop: Header=BB6_130 Depth=2
	s_and_not1_saveexec_b32 s42, s42
; %bb.596:                              ;   in Loop: Header=BB6_130 Depth=2
	v_cmp_lt_i64_e32 vcc_lo, -1, v[36:37]
	v_cndmask_b32_e32 v7, 0xff800000, v62, vcc_lo
	v_cmp_eq_u32_e32 vcc_lo, 0, v8
	s_delay_alu instid0(VALU_DEP_2)
	v_cndmask_b32_e32 v7, 0x7f800001, v7, vcc_lo
; %bb.597:                              ;   in Loop: Header=BB6_130 Depth=2
	s_or_b32 exec_lo, exec_lo, s42
.LBB6_598:                              ;   in Loop: Header=BB6_130 Depth=2
	s_delay_alu instid0(SALU_CYCLE_1)
	s_or_b32 exec_lo, exec_lo, s15
.LBB6_599:                              ;   in Loop: Header=BB6_130 Depth=2
	s_delay_alu instid0(SALU_CYCLE_1) | instskip(NEXT) | instid1(VALU_DEP_1)
	s_or_b32 exec_lo, exec_lo, s11
	v_dual_max_num_f32 v7, v7, v7 :: v_dual_max_num_f32 v1, v1, v1
	s_mov_b32 s11, 0
	s_delay_alu instid0(VALU_DEP_1)
	v_max_num_f32_e32 v1, v1, v7
.LBB6_600:                              ;   in Loop: Header=BB6_130 Depth=2
	s_and_b32 vcc_lo, exec_lo, s11
	s_cbranch_vccz .LBB6_622
; %bb.601:                              ;   in Loop: Header=BB6_130 Depth=2
	v_dual_mov_b32 v7, 0 :: v_dual_mov_b32 v1, 0
	s_and_saveexec_b32 s11, s10
	s_cbranch_execz .LBB6_611
; %bb.602:                              ;   in Loop: Header=BB6_130 Depth=2
	v_bfrev_b32_e32 v1, 1
	s_mov_b32 s10, exec_lo
	v_cmpx_ne_u32_e32 0x80, v6
	s_cbranch_execz .LBB6_610
; %bb.603:                              ;   in Loop: Header=BB6_130 Depth=2
	v_and_b32_e32 v1, 0x7c000000, v49
	v_bfe_u32 v8, v49, 24, 2
	s_delay_alu instid0(VALU_DEP_2) | instskip(SKIP_1) | instid1(SALU_CYCLE_1)
	v_cmp_ne_u32_e32 vcc_lo, 0x7c000000, v1
                                        ; implicit-def: $vgpr1
	s_and_saveexec_b32 s15, vcc_lo
	s_xor_b32 s15, exec_lo, s15
	s_cbranch_execz .LBB6_607
; %bb.604:                              ;   in Loop: Header=BB6_130 Depth=2
	v_bfe_u32 v1, v49, 26, 5
	s_mov_b32 s42, exec_lo
	s_delay_alu instid0(VALU_DEP_1)
	v_cmpx_eq_u32_e32 0, v1
; %bb.605:                              ;   in Loop: Header=BB6_130 Depth=2
	v_clz_i32_u32_e32 v1, v8
	s_delay_alu instid0(VALU_DEP_1) | instskip(NEXT) | instid1(VALU_DEP_1)
	v_min_u32_e32 v1, 32, v1
	v_subrev_nc_u32_e32 v8, 29, v1
	s_delay_alu instid0(VALU_DEP_1) | instskip(NEXT) | instid1(VALU_DEP_1)
	v_lshlrev_b64_e32 v[8:9], v8, v[6:7]
	v_dual_sub_nc_u32 v1, 30, v1 :: v_dual_bitop2_b32 v8, 3, v8 bitop3:0x40
; %bb.606:                              ;   in Loop: Header=BB6_130 Depth=2
	s_or_b32 exec_lo, exec_lo, s42
	v_and_b32_e32 v6, 0x80000000, v49
	s_delay_alu instid0(VALU_DEP_1) | instskip(NEXT) | instid1(VALU_DEP_1)
	v_lshl_add_u32 v1, v1, 23, v6
	v_lshl_or_b32 v1, v8, 21, v1
                                        ; implicit-def: $vgpr8
	s_delay_alu instid0(VALU_DEP_1)
	v_add_nc_u32_e32 v1, 0x38000000, v1
.LBB6_607:                              ;   in Loop: Header=BB6_130 Depth=2
	s_and_not1_saveexec_b32 s15, s15
; %bb.608:                              ;   in Loop: Header=BB6_130 Depth=2
	v_cmp_lt_i64_e32 vcc_lo, -1, v[48:49]
	v_cndmask_b32_e32 v1, 0xff800000, v62, vcc_lo
	v_cmp_eq_u32_e32 vcc_lo, 0, v8
	s_delay_alu instid0(VALU_DEP_2)
	v_cndmask_b32_e32 v1, 0x7f800001, v1, vcc_lo
; %bb.609:                              ;   in Loop: Header=BB6_130 Depth=2
	s_or_b32 exec_lo, exec_lo, s15
.LBB6_610:                              ;   in Loop: Header=BB6_130 Depth=2
	s_delay_alu instid0(SALU_CYCLE_1)
	s_or_b32 exec_lo, exec_lo, s10
.LBB6_611:                              ;   in Loop: Header=BB6_130 Depth=2
	s_delay_alu instid0(SALU_CYCLE_1) | instskip(NEXT) | instid1(SALU_CYCLE_1)
	s_or_b32 exec_lo, exec_lo, s11
	s_mov_b32 s10, exec_lo
	v_cmpx_lt_u64_e64 s[16:17], v[36:37]
	s_cbranch_execz .LBB6_621
; %bb.612:                              ;   in Loop: Header=BB6_130 Depth=2
	v_bfrev_b32_e32 v7, 1
	s_mov_b32 s11, exec_lo
	v_cmpx_ne_u32_e32 0x80, v0
	s_cbranch_execz .LBB6_620
; %bb.613:                              ;   in Loop: Header=BB6_130 Depth=2
	v_and_b32_e32 v7, 0x7c000000, v37
	v_bfe_u32 v6, v37, 24, 2
	s_delay_alu instid0(VALU_DEP_2) | instskip(SKIP_1) | instid1(SALU_CYCLE_1)
	v_cmp_ne_u32_e32 vcc_lo, 0x7c000000, v7
                                        ; implicit-def: $vgpr7
	s_and_saveexec_b32 s15, vcc_lo
	s_xor_b32 s15, exec_lo, s15
	s_cbranch_execz .LBB6_617
; %bb.614:                              ;   in Loop: Header=BB6_130 Depth=2
	v_bfe_u32 v7, v37, 26, 5
	s_mov_b32 s42, exec_lo
	s_delay_alu instid0(VALU_DEP_1)
	v_cmpx_eq_u32_e32 0, v7
; %bb.615:                              ;   in Loop: Header=BB6_130 Depth=2
	v_clz_i32_u32_e32 v6, v6
	s_delay_alu instid0(VALU_DEP_1) | instskip(NEXT) | instid1(VALU_DEP_1)
	v_min_u32_e32 v8, 32, v6
	v_subrev_nc_u32_e32 v6, 29, v8
	s_delay_alu instid0(VALU_DEP_1) | instskip(NEXT) | instid1(VALU_DEP_1)
	v_lshlrev_b64_e32 v[6:7], v6, v[0:1]
	v_dual_sub_nc_u32 v7, 30, v8 :: v_dual_bitop2_b32 v6, 3, v6 bitop3:0x40
; %bb.616:                              ;   in Loop: Header=BB6_130 Depth=2
	s_or_b32 exec_lo, exec_lo, s42
	v_and_b32_e32 v0, 0x80000000, v37
	s_delay_alu instid0(VALU_DEP_1) | instskip(NEXT) | instid1(VALU_DEP_1)
	v_lshl_add_u32 v0, v7, 23, v0
	v_lshl_or_b32 v0, v6, 21, v0
                                        ; implicit-def: $vgpr6
	s_delay_alu instid0(VALU_DEP_1)
	v_add_nc_u32_e32 v7, 0x38000000, v0
.LBB6_617:                              ;   in Loop: Header=BB6_130 Depth=2
	s_and_not1_saveexec_b32 s15, s15
; %bb.618:                              ;   in Loop: Header=BB6_130 Depth=2
	v_cmp_lt_i64_e32 vcc_lo, -1, v[36:37]
	v_cndmask_b32_e32 v0, 0xff800000, v62, vcc_lo
	v_cmp_eq_u32_e32 vcc_lo, 0, v6
	s_delay_alu instid0(VALU_DEP_2)
	v_cndmask_b32_e32 v7, 0x7f800001, v0, vcc_lo
; %bb.619:                              ;   in Loop: Header=BB6_130 Depth=2
	s_or_b32 exec_lo, exec_lo, s15
.LBB6_620:                              ;   in Loop: Header=BB6_130 Depth=2
	s_delay_alu instid0(SALU_CYCLE_1)
	s_or_b32 exec_lo, exec_lo, s11
.LBB6_621:                              ;   in Loop: Header=BB6_130 Depth=2
	s_delay_alu instid0(SALU_CYCLE_1) | instskip(NEXT) | instid1(VALU_DEP_1)
	s_or_b32 exec_lo, exec_lo, s10
	v_dual_max_num_f32 v0, v7, v7 :: v_dual_max_num_f32 v1, v1, v1
	s_delay_alu instid0(VALU_DEP_1)
	v_min_num_f32_e32 v1, v1, v0
.LBB6_622:                              ;   in Loop: Header=BB6_130 Depth=2
	s_delay_alu instid0(VALU_DEP_1) | instskip(SKIP_3) | instid1(VALU_DEP_2)
	v_and_b32_e32 v6, 0x7f800000, v1
	v_dual_mov_b32 v7, v25 :: v_dual_lshrrev_b32 v0, 24, v1
	v_and_b32_e32 v24, 0x7fffff, v1
                                        ; implicit-def: $vgpr36
	s_mov_b32 s10, exec_lo
	v_cmpx_ne_u64_e32 0x7f800000, v[6:7]
	s_xor_b32 s11, exec_lo, s10
	s_cbranch_execz .LBB6_636
; %bb.623:                              ;   in Loop: Header=BB6_130 Depth=2
	v_and_b32_e32 v6, 0x7fffffff, v1
	v_mov_b32_e32 v7, v25
	v_and_b32_e32 v8, 0x80, v0
                                        ; implicit-def: $vgpr36
	s_mov_b32 s10, exec_lo
	s_delay_alu instid0(VALU_DEP_2)
	v_cmpx_gt_u64_e32 0x47600001, v[6:7]
	s_xor_b32 s15, exec_lo, s10
	s_cbranch_execz .LBB6_633
; %bb.624:                              ;   in Loop: Header=BB6_130 Depth=2
	v_mov_b32_e32 v36, 0
	s_mov_b32 s42, exec_lo
	v_cmpx_ne_u32_e32 0, v1
	s_cbranch_execz .LBB6_632
; %bb.625:                              ;   in Loop: Header=BB6_130 Depth=2
	v_bfe_u32 v9, v1, 23, 8
	v_or_b32_e32 v6, 0x800000, v24
	s_delay_alu instid0(VALU_DEP_2) | instskip(SKIP_1) | instid1(VALU_DEP_2)
	v_sub_nc_u32_e32 v0, 0x71, v9
	v_cmp_gt_u32_e32 vcc_lo, 0x72, v9
	v_cndmask_b32_e32 v0, 0, v0, vcc_lo
	v_cmp_eq_u32_e32 vcc_lo, 0, v9
	s_delay_alu instid0(VALU_DEP_2) | instskip(SKIP_1) | instid1(VALU_DEP_2)
	v_cndmask_b32_e64 v36, v0, 0x70, vcc_lo
	v_cndmask_b32_e32 v24, v6, v24, vcc_lo
	v_dual_add_nc_u32 v0, 21, v36 :: v_dual_add_nc_u32 v7, 20, v36
	s_delay_alu instid0(VALU_DEP_1) | instskip(NEXT) | instid1(VALU_DEP_2)
	v_lshlrev_b64_e64 v[0:1], v0, -1
	v_lshlrev_b64_e64 v[6:7], v7, 1
	s_delay_alu instid0(VALU_DEP_2) | instskip(NEXT) | instid1(VALU_DEP_3)
	v_bfi_b32 v49, v1, 0, 0
	v_bfi_b32 v48, v0, 0, v24
	v_lshrrev_b64 v[0:1], v36, v[24:25]
	s_delay_alu instid0(VALU_DEP_2) | instskip(NEXT) | instid1(VALU_DEP_2)
	v_cmp_eq_u64_e64 s10, v[48:49], v[6:7]
	v_mov_b64_e32 v[6:7], v[0:1]
	s_and_saveexec_b32 s43, s10
; %bb.626:                              ;   in Loop: Header=BB6_130 Depth=2
	v_bfe_u32 v24, v0, 21, 1
	s_delay_alu instid0(VALU_DEP_1) | instskip(NEXT) | instid1(VALU_DEP_1)
	v_add_nc_u64_e32 v[6:7], v[0:1], v[24:25]
	v_add_nc_u64_e32 v[6:7], -1, v[6:7]
; %bb.627:                              ;   in Loop: Header=BB6_130 Depth=2
	s_or_b32 exec_lo, exec_lo, s43
	v_add_nc_u32_e32 v1, 0xffffff81, v9
	v_lshrrev_b32_e32 v7, 23, v0
	s_mov_b32 s10, exec_lo
	s_delay_alu instid0(VALU_DEP_2) | instskip(NEXT) | instid1(VALU_DEP_1)
	v_cndmask_b32_e64 v1, v1, 0xffffff82, vcc_lo
	v_add3_u32 v7, v36, v1, v7
	v_and_b32_e32 v1, 0x1fffff, v6
                                        ; implicit-def: $vgpr6
	s_delay_alu instid0(VALU_DEP_1) | instskip(NEXT) | instid1(VALU_DEP_1)
	v_dual_add_nc_u32 v9, 14, v7 :: v_dual_add_nc_u32 v24, v1, v0
                                        ; implicit-def: $vgpr0_vgpr1
	v_cmpx_ne_u32_e32 0, v9
	s_xor_b32 s10, exec_lo, s10
; %bb.628:                              ;   in Loop: Header=BB6_130 Depth=2
	s_delay_alu instid0(VALU_DEP_2) | instskip(SKIP_1) | instid1(VALU_DEP_1)
	v_cmp_lt_u64_e32 vcc_lo, 0xffffff, v[24:25]
	v_add_nc_u32_e32 v0, 15, v7
	v_cndmask_b32_e32 v6, v9, v0, vcc_lo
	v_cndmask_b32_e64 v0, 0, 1, vcc_lo
	s_delay_alu instid0(VALU_DEP_1)
	v_lshrrev_b64 v[0:1], v0, v[24:25]
; %bb.629:                              ;   in Loop: Header=BB6_130 Depth=2
	s_and_not1_saveexec_b32 s10, s10
; %bb.630:                              ;   in Loop: Header=BB6_130 Depth=2
	v_mov_b64_e32 v[0:1], v[24:25]
	v_bfe_u32 v6, v24, 23, 1
; %bb.631:                              ;   in Loop: Header=BB6_130 Depth=2
	s_or_b32 exec_lo, exec_lo, s10
	s_delay_alu instid0(VALU_DEP_2) | instskip(NEXT) | instid1(VALU_DEP_2)
	v_lshrrev_b64 v[0:1], 21, v[0:1]
	v_cmp_gt_i32_e32 vcc_lo, 32, v6
	v_min_i32_e32 v7, 31, v6
	v_cmp_eq_u32_e64 s10, 0, v6
	s_delay_alu instid0(VALU_DEP_2) | instskip(SKIP_1) | instid1(VALU_DEP_2)
	v_dual_cndmask_b32 v1, 0, v1, vcc_lo :: v_dual_lshlrev_b32 v7, 2, v7
	v_cndmask_b32_e32 v0, 3, v0, vcc_lo
	v_and_b32_e32 v7, 0xfc, v7
	s_delay_alu instid0(VALU_DEP_2) | instskip(NEXT) | instid1(VALU_DEP_2)
	v_cmp_eq_u64_e32 vcc_lo, 0, v[0:1]
	v_and_or_b32 v0, v0, 3, v7
	s_and_b32 s10, s10, vcc_lo
	s_delay_alu instid0(VALU_DEP_1) | instid1(SALU_CYCLE_1)
	v_cndmask_b32_e64 v0, v0, 0, s10
	s_delay_alu instid0(VALU_DEP_1)
	v_or_b32_e32 v36, v0, v8
.LBB6_632:                              ;   in Loop: Header=BB6_130 Depth=2
	s_or_b32 exec_lo, exec_lo, s42
                                        ; implicit-def: $vgpr8
.LBB6_633:                              ;   in Loop: Header=BB6_130 Depth=2
	s_and_not1_saveexec_b32 s10, s15
; %bb.634:                              ;   in Loop: Header=BB6_130 Depth=2
	v_or_b32_e32 v36, 0x7b, v8
; %bb.635:                              ;   in Loop: Header=BB6_130 Depth=2
	s_or_b32 exec_lo, exec_lo, s10
                                        ; implicit-def: $vgpr1
                                        ; implicit-def: $vgpr0
.LBB6_636:                              ;   in Loop: Header=BB6_130 Depth=2
	s_and_not1_saveexec_b32 s10, s11
	s_cbranch_execz .LBB6_642
; %bb.637:                              ;   in Loop: Header=BB6_130 Depth=2
	s_mov_b32 s11, exec_lo
                                        ; implicit-def: $vgpr36
	v_cmpx_ne_u64_e32 0, v[24:25]
	s_xor_b32 s11, exec_lo, s11
; %bb.638:                              ;   in Loop: Header=BB6_130 Depth=2
	v_or_b32_e32 v36, 0x7f, v0
                                        ; implicit-def: $vgpr1
; %bb.639:                              ;   in Loop: Header=BB6_130 Depth=2
	s_and_not1_saveexec_b32 s11, s11
; %bb.640:                              ;   in Loop: Header=BB6_130 Depth=2
	v_cmp_lt_i32_e32 vcc_lo, -1, v1
	v_cndmask_b32_e32 v36, 0xfc, v93, vcc_lo
; %bb.641:                              ;   in Loop: Header=BB6_130 Depth=2
	s_or_b32 exec_lo, exec_lo, s11
.LBB6_642:                              ;   in Loop: Header=BB6_130 Depth=2
	s_delay_alu instid0(SALU_CYCLE_1)
	s_or_b32 exec_lo, exec_lo, s10
	v_and_b32_e32 v6, 0xff, v50
	v_bfe_i32 v1, v50, 0, 8
	v_bfe_i32 v0, v38, 0, 8
	s_and_b32 vcc_lo, exec_lo, s14
	s_mov_b32 s11, -1
	v_cmp_ne_u16_e64 s10, 0, v6
                                        ; implicit-def: $vgpr6
	s_cbranch_vccz .LBB6_664
; %bb.643:                              ;   in Loop: Header=BB6_130 Depth=2
	v_dual_mov_b32 v7, 0 :: v_dual_mov_b32 v6, 0
	s_and_saveexec_b32 s11, s10
	s_cbranch_execz .LBB6_653
; %bb.644:                              ;   in Loop: Header=BB6_130 Depth=2
	v_bfrev_b32_e32 v6, 1
	s_mov_b32 s15, exec_lo
	v_cmpx_ne_u16_e32 0xff80, v1
	s_cbranch_execz .LBB6_652
; %bb.645:                              ;   in Loop: Header=BB6_130 Depth=2
	v_and_b32_e32 v6, 0x7c, v50
	v_and_b32_e32 v8, 3, v50
	s_delay_alu instid0(VALU_DEP_2) | instskip(SKIP_1) | instid1(SALU_CYCLE_1)
	v_cmp_ne_u32_e32 vcc_lo, 0x7c, v6
                                        ; implicit-def: $vgpr6
	s_and_saveexec_b32 s42, vcc_lo
	s_xor_b32 s42, exec_lo, s42
	s_cbranch_execz .LBB6_649
; %bb.646:                              ;   in Loop: Header=BB6_130 Depth=2
	v_bfe_u32 v6, v50, 2, 5
	s_mov_b32 s43, exec_lo
	s_delay_alu instid0(VALU_DEP_1)
	v_cmpx_eq_u32_e32 0, v6
; %bb.647:                              ;   in Loop: Header=BB6_130 Depth=2
	v_clz_i32_u32_e32 v6, v8
	s_delay_alu instid0(VALU_DEP_1) | instskip(NEXT) | instid1(VALU_DEP_1)
	v_min_u32_e32 v6, 32, v6
	v_subrev_nc_u32_e32 v8, 29, v6
	s_delay_alu instid0(VALU_DEP_1) | instskip(NEXT) | instid1(VALU_DEP_1)
	v_lshlrev_b64_e32 v[8:9], v8, v[50:51]
	v_dual_sub_nc_u32 v6, 30, v6 :: v_dual_bitop2_b32 v8, 3, v8 bitop3:0x40
; %bb.648:                              ;   in Loop: Header=BB6_130 Depth=2
	s_or_b32 exec_lo, exec_lo, s43
	v_lshlrev_b32_e32 v9, 24, v50
	s_delay_alu instid0(VALU_DEP_1) | instskip(NEXT) | instid1(VALU_DEP_1)
	v_and_b32_e32 v9, 0x80000000, v9
	v_lshl_add_u32 v6, v6, 23, v9
	s_delay_alu instid0(VALU_DEP_1) | instskip(NEXT) | instid1(VALU_DEP_1)
	v_lshl_or_b32 v6, v8, 21, v6
                                        ; implicit-def: $vgpr8
	v_add_nc_u32_e32 v6, 0x38000000, v6
.LBB6_649:                              ;   in Loop: Header=BB6_130 Depth=2
	s_and_not1_saveexec_b32 s42, s42
; %bb.650:                              ;   in Loop: Header=BB6_130 Depth=2
	v_cmp_lt_i16_e32 vcc_lo, -1, v1
	v_cndmask_b32_e32 v6, 0xff800000, v62, vcc_lo
	v_cmp_eq_u32_e32 vcc_lo, 0, v8
	s_delay_alu instid0(VALU_DEP_2)
	v_cndmask_b32_e32 v6, 0x7f800001, v6, vcc_lo
; %bb.651:                              ;   in Loop: Header=BB6_130 Depth=2
	s_or_b32 exec_lo, exec_lo, s42
.LBB6_652:                              ;   in Loop: Header=BB6_130 Depth=2
	s_delay_alu instid0(SALU_CYCLE_1)
	s_or_b32 exec_lo, exec_lo, s15
.LBB6_653:                              ;   in Loop: Header=BB6_130 Depth=2
	s_delay_alu instid0(SALU_CYCLE_1) | instskip(NEXT) | instid1(SALU_CYCLE_1)
	s_or_b32 exec_lo, exec_lo, s11
	s_mov_b32 s11, exec_lo
	v_cmpx_ne_u16_e32 0, v0
	s_cbranch_execz .LBB6_663
; %bb.654:                              ;   in Loop: Header=BB6_130 Depth=2
	v_bfrev_b32_e32 v7, 1
	s_mov_b32 s15, exec_lo
	v_cmpx_ne_u16_e32 0xff80, v0
	s_cbranch_execz .LBB6_662
; %bb.655:                              ;   in Loop: Header=BB6_130 Depth=2
	v_and_b32_e32 v7, 0x7c, v38
	v_and_b32_e32 v8, 3, v38
	s_delay_alu instid0(VALU_DEP_2) | instskip(SKIP_1) | instid1(SALU_CYCLE_1)
	v_cmp_ne_u32_e32 vcc_lo, 0x7c, v7
                                        ; implicit-def: $vgpr7
	s_and_saveexec_b32 s42, vcc_lo
	s_xor_b32 s42, exec_lo, s42
	s_cbranch_execz .LBB6_659
; %bb.656:                              ;   in Loop: Header=BB6_130 Depth=2
	v_bfe_u32 v7, v38, 2, 5
	s_mov_b32 s43, exec_lo
	s_delay_alu instid0(VALU_DEP_1)
	v_cmpx_eq_u32_e32 0, v7
; %bb.657:                              ;   in Loop: Header=BB6_130 Depth=2
	v_clz_i32_u32_e32 v7, v8
	s_delay_alu instid0(VALU_DEP_1) | instskip(NEXT) | instid1(VALU_DEP_1)
	v_min_u32_e32 v7, 32, v7
	v_subrev_nc_u32_e32 v8, 29, v7
	s_delay_alu instid0(VALU_DEP_1) | instskip(NEXT) | instid1(VALU_DEP_1)
	v_lshlrev_b64_e32 v[8:9], v8, v[38:39]
	v_dual_sub_nc_u32 v7, 30, v7 :: v_dual_bitop2_b32 v8, 3, v8 bitop3:0x40
; %bb.658:                              ;   in Loop: Header=BB6_130 Depth=2
	s_or_b32 exec_lo, exec_lo, s43
	v_lshlrev_b32_e32 v9, 24, v38
	s_delay_alu instid0(VALU_DEP_1) | instskip(NEXT) | instid1(VALU_DEP_1)
	v_and_b32_e32 v9, 0x80000000, v9
	v_lshl_add_u32 v7, v7, 23, v9
	s_delay_alu instid0(VALU_DEP_1) | instskip(NEXT) | instid1(VALU_DEP_1)
	v_lshl_or_b32 v7, v8, 21, v7
                                        ; implicit-def: $vgpr8
	v_add_nc_u32_e32 v7, 0x38000000, v7
.LBB6_659:                              ;   in Loop: Header=BB6_130 Depth=2
	s_and_not1_saveexec_b32 s42, s42
; %bb.660:                              ;   in Loop: Header=BB6_130 Depth=2
	v_cmp_lt_i16_e32 vcc_lo, -1, v0
	v_cndmask_b32_e32 v7, 0xff800000, v62, vcc_lo
	v_cmp_eq_u32_e32 vcc_lo, 0, v8
	s_delay_alu instid0(VALU_DEP_2)
	v_cndmask_b32_e32 v7, 0x7f800001, v7, vcc_lo
; %bb.661:                              ;   in Loop: Header=BB6_130 Depth=2
	s_or_b32 exec_lo, exec_lo, s42
.LBB6_662:                              ;   in Loop: Header=BB6_130 Depth=2
	s_delay_alu instid0(SALU_CYCLE_1)
	s_or_b32 exec_lo, exec_lo, s15
.LBB6_663:                              ;   in Loop: Header=BB6_130 Depth=2
	s_delay_alu instid0(SALU_CYCLE_1) | instskip(NEXT) | instid1(VALU_DEP_1)
	s_or_b32 exec_lo, exec_lo, s11
	v_dual_max_num_f32 v7, v7, v7 :: v_dual_max_num_f32 v6, v6, v6
	s_mov_b32 s11, 0
	s_delay_alu instid0(VALU_DEP_1)
	v_max_num_f32_e32 v6, v6, v7
.LBB6_664:                              ;   in Loop: Header=BB6_130 Depth=2
	s_and_b32 vcc_lo, exec_lo, s11
	s_cbranch_vccz .LBB6_686
; %bb.665:                              ;   in Loop: Header=BB6_130 Depth=2
	v_dual_mov_b32 v7, 0 :: v_dual_mov_b32 v6, 0
	s_and_saveexec_b32 s11, s10
	s_cbranch_execz .LBB6_675
; %bb.666:                              ;   in Loop: Header=BB6_130 Depth=2
	v_bfrev_b32_e32 v6, 1
	s_mov_b32 s10, exec_lo
	v_cmpx_ne_u16_e32 0xff80, v1
	s_cbranch_execz .LBB6_674
; %bb.667:                              ;   in Loop: Header=BB6_130 Depth=2
	v_and_b32_e32 v6, 0x7c, v50
	v_and_b32_e32 v8, 3, v50
	s_delay_alu instid0(VALU_DEP_2) | instskip(SKIP_1) | instid1(SALU_CYCLE_1)
	v_cmp_ne_u32_e32 vcc_lo, 0x7c, v6
                                        ; implicit-def: $vgpr6
	s_and_saveexec_b32 s15, vcc_lo
	s_xor_b32 s15, exec_lo, s15
	s_cbranch_execz .LBB6_671
; %bb.668:                              ;   in Loop: Header=BB6_130 Depth=2
	v_bfe_u32 v1, v50, 2, 5
	s_mov_b32 s42, exec_lo
	s_delay_alu instid0(VALU_DEP_1)
	v_cmpx_eq_u32_e32 0, v1
; %bb.669:                              ;   in Loop: Header=BB6_130 Depth=2
	v_clz_i32_u32_e32 v1, v8
	s_delay_alu instid0(VALU_DEP_1) | instskip(NEXT) | instid1(VALU_DEP_1)
	v_min_u32_e32 v1, 32, v1
	v_subrev_nc_u32_e32 v6, 29, v1
	s_delay_alu instid0(VALU_DEP_1) | instskip(NEXT) | instid1(VALU_DEP_1)
	v_lshlrev_b64_e32 v[8:9], v6, v[50:51]
	v_dual_sub_nc_u32 v1, 30, v1 :: v_dual_bitop2_b32 v8, 3, v8 bitop3:0x40
; %bb.670:                              ;   in Loop: Header=BB6_130 Depth=2
	s_or_b32 exec_lo, exec_lo, s42
	v_lshlrev_b32_e32 v6, 24, v50
	s_delay_alu instid0(VALU_DEP_1) | instskip(NEXT) | instid1(VALU_DEP_1)
	v_and_b32_e32 v6, 0x80000000, v6
	v_lshl_add_u32 v1, v1, 23, v6
	s_delay_alu instid0(VALU_DEP_1) | instskip(NEXT) | instid1(VALU_DEP_1)
	v_lshl_or_b32 v1, v8, 21, v1
                                        ; implicit-def: $vgpr8
	v_add_nc_u32_e32 v6, 0x38000000, v1
                                        ; implicit-def: $vgpr1
.LBB6_671:                              ;   in Loop: Header=BB6_130 Depth=2
	s_and_not1_saveexec_b32 s15, s15
; %bb.672:                              ;   in Loop: Header=BB6_130 Depth=2
	v_cmp_lt_i16_e32 vcc_lo, -1, v1
	v_cndmask_b32_e32 v1, 0xff800000, v62, vcc_lo
	v_cmp_eq_u32_e32 vcc_lo, 0, v8
	s_delay_alu instid0(VALU_DEP_2)
	v_cndmask_b32_e32 v6, 0x7f800001, v1, vcc_lo
; %bb.673:                              ;   in Loop: Header=BB6_130 Depth=2
	s_or_b32 exec_lo, exec_lo, s15
.LBB6_674:                              ;   in Loop: Header=BB6_130 Depth=2
	s_delay_alu instid0(SALU_CYCLE_1)
	s_or_b32 exec_lo, exec_lo, s10
.LBB6_675:                              ;   in Loop: Header=BB6_130 Depth=2
	s_delay_alu instid0(SALU_CYCLE_1) | instskip(NEXT) | instid1(SALU_CYCLE_1)
	s_or_b32 exec_lo, exec_lo, s11
	s_mov_b32 s10, exec_lo
	v_cmpx_ne_u16_e32 0, v0
	s_cbranch_execz .LBB6_685
; %bb.676:                              ;   in Loop: Header=BB6_130 Depth=2
	v_bfrev_b32_e32 v7, 1
	s_mov_b32 s11, exec_lo
	v_cmpx_ne_u16_e32 0xff80, v0
	s_cbranch_execz .LBB6_684
; %bb.677:                              ;   in Loop: Header=BB6_130 Depth=2
	v_and_b32_e32 v7, 0x7c, v38
	v_and_b32_e32 v1, 3, v38
	s_delay_alu instid0(VALU_DEP_2) | instskip(SKIP_1) | instid1(SALU_CYCLE_1)
	v_cmp_ne_u32_e32 vcc_lo, 0x7c, v7
                                        ; implicit-def: $vgpr7
	s_and_saveexec_b32 s15, vcc_lo
	s_xor_b32 s15, exec_lo, s15
	s_cbranch_execz .LBB6_681
; %bb.678:                              ;   in Loop: Header=BB6_130 Depth=2
	v_bfe_u32 v0, v38, 2, 5
	s_mov_b32 s42, exec_lo
	s_delay_alu instid0(VALU_DEP_1)
	v_cmpx_eq_u32_e32 0, v0
; %bb.679:                              ;   in Loop: Header=BB6_130 Depth=2
	v_clz_i32_u32_e32 v0, v1
	s_delay_alu instid0(VALU_DEP_1) | instskip(NEXT) | instid1(VALU_DEP_1)
	v_min_u32_e32 v0, 32, v0
	v_subrev_nc_u32_e32 v1, 29, v0
	v_sub_nc_u32_e32 v0, 30, v0
	s_delay_alu instid0(VALU_DEP_2) | instskip(NEXT) | instid1(VALU_DEP_1)
	v_lshlrev_b64_e32 v[8:9], v1, v[38:39]
	v_and_b32_e32 v1, 3, v8
; %bb.680:                              ;   in Loop: Header=BB6_130 Depth=2
	s_or_b32 exec_lo, exec_lo, s42
	v_lshlrev_b32_e32 v7, 24, v38
	s_delay_alu instid0(VALU_DEP_1) | instskip(NEXT) | instid1(VALU_DEP_1)
	v_and_b32_e32 v7, 0x80000000, v7
	v_lshl_add_u32 v0, v0, 23, v7
	s_delay_alu instid0(VALU_DEP_1) | instskip(NEXT) | instid1(VALU_DEP_1)
	v_lshl_or_b32 v0, v1, 21, v0
                                        ; implicit-def: $vgpr1
	v_add_nc_u32_e32 v7, 0x38000000, v0
                                        ; implicit-def: $vgpr0
.LBB6_681:                              ;   in Loop: Header=BB6_130 Depth=2
	s_and_not1_saveexec_b32 s15, s15
; %bb.682:                              ;   in Loop: Header=BB6_130 Depth=2
	v_cmp_lt_i16_e32 vcc_lo, -1, v0
	v_cndmask_b32_e32 v0, 0xff800000, v62, vcc_lo
	v_cmp_eq_u32_e32 vcc_lo, 0, v1
	s_delay_alu instid0(VALU_DEP_2)
	v_cndmask_b32_e32 v7, 0x7f800001, v0, vcc_lo
; %bb.683:                              ;   in Loop: Header=BB6_130 Depth=2
	s_or_b32 exec_lo, exec_lo, s15
.LBB6_684:                              ;   in Loop: Header=BB6_130 Depth=2
	s_delay_alu instid0(SALU_CYCLE_1)
	s_or_b32 exec_lo, exec_lo, s11
.LBB6_685:                              ;   in Loop: Header=BB6_130 Depth=2
	s_delay_alu instid0(SALU_CYCLE_1) | instskip(NEXT) | instid1(VALU_DEP_1)
	s_or_b32 exec_lo, exec_lo, s10
	v_dual_max_num_f32 v0, v7, v7 :: v_dual_max_num_f32 v1, v6, v6
	s_delay_alu instid0(VALU_DEP_1)
	v_min_num_f32_e32 v6, v1, v0
.LBB6_686:                              ;   in Loop: Header=BB6_130 Depth=2
	s_delay_alu instid0(VALU_DEP_1) | instskip(SKIP_2) | instid1(VALU_DEP_2)
	v_and_b32_e32 v0, 0x7f800000, v6
	v_mov_b32_e32 v1, v25
	v_and_b32_e32 v24, 0x7fffff, v6
                                        ; implicit-def: $vgpr37
	v_cmp_ne_u64_e32 vcc_lo, 0x7f800000, v[0:1]
	v_lshrrev_b32_e32 v0, 24, v6
	s_and_saveexec_b32 s10, vcc_lo
	s_delay_alu instid0(SALU_CYCLE_1)
	s_xor_b32 s11, exec_lo, s10
	s_cbranch_execz .LBB6_700
; %bb.687:                              ;   in Loop: Header=BB6_130 Depth=2
	v_and_b32_e32 v8, 0x7fffffff, v6
	v_mov_b32_e32 v9, v25
                                        ; implicit-def: $vgpr37
	s_delay_alu instid0(VALU_DEP_1) | instskip(SKIP_2) | instid1(SALU_CYCLE_1)
	v_cmp_gt_u64_e32 vcc_lo, 0x47600001, v[8:9]
	v_and_b32_e32 v8, 0x80, v0
	s_and_saveexec_b32 s10, vcc_lo
	s_xor_b32 s15, exec_lo, s10
	s_cbranch_execz .LBB6_697
; %bb.688:                              ;   in Loop: Header=BB6_130 Depth=2
	v_mov_b32_e32 v37, 0
	s_mov_b32 s42, exec_lo
	v_cmpx_ne_u32_e32 0, v6
	s_cbranch_execz .LBB6_696
; %bb.689:                              ;   in Loop: Header=BB6_130 Depth=2
	v_bfe_u32 v9, v6, 23, 8
	v_or_b32_e32 v6, 0x800000, v24
	s_delay_alu instid0(VALU_DEP_2) | instskip(SKIP_1) | instid1(VALU_DEP_2)
	v_sub_nc_u32_e32 v0, 0x71, v9
	v_cmp_gt_u32_e32 vcc_lo, 0x72, v9
	v_cndmask_b32_e32 v0, 0, v0, vcc_lo
	v_cmp_eq_u32_e32 vcc_lo, 0, v9
	s_delay_alu instid0(VALU_DEP_2) | instskip(NEXT) | instid1(VALU_DEP_1)
	v_cndmask_b32_e64 v37, v0, 0x70, vcc_lo
	v_dual_cndmask_b32 v24, v6, v24, vcc_lo :: v_dual_add_nc_u32 v0, 21, v37
	v_add_nc_u32_e32 v7, 20, v37
	s_delay_alu instid0(VALU_DEP_2) | instskip(NEXT) | instid1(VALU_DEP_2)
	v_lshlrev_b64_e64 v[0:1], v0, -1
	v_lshlrev_b64_e64 v[6:7], v7, 1
	s_delay_alu instid0(VALU_DEP_2) | instskip(NEXT) | instid1(VALU_DEP_3)
	v_bfi_b32 v49, v1, 0, 0
	v_bfi_b32 v48, v0, 0, v24
	v_lshrrev_b64 v[0:1], v37, v[24:25]
	s_delay_alu instid0(VALU_DEP_2) | instskip(NEXT) | instid1(VALU_DEP_2)
	v_cmp_eq_u64_e64 s10, v[48:49], v[6:7]
	v_mov_b64_e32 v[6:7], v[0:1]
	s_and_saveexec_b32 s43, s10
; %bb.690:                              ;   in Loop: Header=BB6_130 Depth=2
	v_bfe_u32 v24, v0, 21, 1
	s_delay_alu instid0(VALU_DEP_1) | instskip(NEXT) | instid1(VALU_DEP_1)
	v_add_nc_u64_e32 v[6:7], v[0:1], v[24:25]
	v_add_nc_u64_e32 v[6:7], -1, v[6:7]
; %bb.691:                              ;   in Loop: Header=BB6_130 Depth=2
	s_or_b32 exec_lo, exec_lo, s43
	v_add_nc_u32_e32 v1, 0xffffff81, v9
	v_lshrrev_b32_e32 v7, 23, v0
	s_mov_b32 s10, exec_lo
	s_delay_alu instid0(VALU_DEP_2) | instskip(NEXT) | instid1(VALU_DEP_1)
	v_cndmask_b32_e64 v1, v1, 0xffffff82, vcc_lo
	v_add3_u32 v7, v37, v1, v7
	v_and_b32_e32 v1, 0x1fffff, v6
                                        ; implicit-def: $vgpr6
	s_delay_alu instid0(VALU_DEP_1) | instskip(NEXT) | instid1(VALU_DEP_1)
	v_dual_add_nc_u32 v9, 14, v7 :: v_dual_add_nc_u32 v24, v1, v0
                                        ; implicit-def: $vgpr0_vgpr1
	v_cmpx_ne_u32_e32 0, v9
	s_xor_b32 s10, exec_lo, s10
; %bb.692:                              ;   in Loop: Header=BB6_130 Depth=2
	s_delay_alu instid0(VALU_DEP_2) | instskip(SKIP_1) | instid1(VALU_DEP_1)
	v_cmp_lt_u64_e32 vcc_lo, 0xffffff, v[24:25]
	v_add_nc_u32_e32 v0, 15, v7
	v_cndmask_b32_e32 v6, v9, v0, vcc_lo
	v_cndmask_b32_e64 v0, 0, 1, vcc_lo
	s_delay_alu instid0(VALU_DEP_1)
	v_lshrrev_b64 v[0:1], v0, v[24:25]
; %bb.693:                              ;   in Loop: Header=BB6_130 Depth=2
	s_and_not1_saveexec_b32 s10, s10
; %bb.694:                              ;   in Loop: Header=BB6_130 Depth=2
	v_mov_b64_e32 v[0:1], v[24:25]
	v_bfe_u32 v6, v24, 23, 1
; %bb.695:                              ;   in Loop: Header=BB6_130 Depth=2
	s_or_b32 exec_lo, exec_lo, s10
	s_delay_alu instid0(VALU_DEP_2) | instskip(NEXT) | instid1(VALU_DEP_2)
	v_lshrrev_b64 v[0:1], 21, v[0:1]
	v_cmp_gt_i32_e32 vcc_lo, 32, v6
	v_min_i32_e32 v7, 31, v6
	v_cmp_eq_u32_e64 s10, 0, v6
	s_delay_alu instid0(VALU_DEP_2) | instskip(SKIP_1) | instid1(VALU_DEP_2)
	v_dual_cndmask_b32 v1, 0, v1, vcc_lo :: v_dual_lshlrev_b32 v7, 2, v7
	v_cndmask_b32_e32 v0, 3, v0, vcc_lo
	v_and_b32_e32 v7, 0xfc, v7
	s_delay_alu instid0(VALU_DEP_2) | instskip(NEXT) | instid1(VALU_DEP_2)
	v_cmp_eq_u64_e32 vcc_lo, 0, v[0:1]
	v_and_or_b32 v0, v0, 3, v7
	s_and_b32 s10, s10, vcc_lo
	s_delay_alu instid0(VALU_DEP_1) | instid1(SALU_CYCLE_1)
	v_cndmask_b32_e64 v0, v0, 0, s10
	s_delay_alu instid0(VALU_DEP_1)
	v_or_b32_e32 v37, v0, v8
.LBB6_696:                              ;   in Loop: Header=BB6_130 Depth=2
	s_or_b32 exec_lo, exec_lo, s42
                                        ; implicit-def: $vgpr8
.LBB6_697:                              ;   in Loop: Header=BB6_130 Depth=2
	s_and_not1_saveexec_b32 s10, s15
; %bb.698:                              ;   in Loop: Header=BB6_130 Depth=2
	v_or_b32_e32 v37, 0x7b, v8
; %bb.699:                              ;   in Loop: Header=BB6_130 Depth=2
	s_or_b32 exec_lo, exec_lo, s10
                                        ; implicit-def: $vgpr6
                                        ; implicit-def: $vgpr0
.LBB6_700:                              ;   in Loop: Header=BB6_130 Depth=2
	s_and_not1_saveexec_b32 s10, s11
	s_cbranch_execz .LBB6_706
; %bb.701:                              ;   in Loop: Header=BB6_130 Depth=2
	s_mov_b32 s11, exec_lo
                                        ; implicit-def: $vgpr37
	v_cmpx_ne_u64_e32 0, v[24:25]
	s_xor_b32 s11, exec_lo, s11
; %bb.702:                              ;   in Loop: Header=BB6_130 Depth=2
	v_or_b32_e32 v37, 0x7f, v0
                                        ; implicit-def: $vgpr6
; %bb.703:                              ;   in Loop: Header=BB6_130 Depth=2
	s_and_not1_saveexec_b32 s11, s11
; %bb.704:                              ;   in Loop: Header=BB6_130 Depth=2
	v_cmp_lt_i32_e32 vcc_lo, -1, v6
	v_cndmask_b32_e32 v37, 0xfc, v93, vcc_lo
; %bb.705:                              ;   in Loop: Header=BB6_130 Depth=2
	s_or_b32 exec_lo, exec_lo, s11
.LBB6_706:                              ;   in Loop: Header=BB6_130 Depth=2
	s_delay_alu instid0(SALU_CYCLE_1) | instskip(SKIP_4) | instid1(VALU_DEP_2)
	s_or_b32 exec_lo, exec_lo, s10
	v_lshrrev_b16 v24, 8, v50
	v_lshrrev_b16 v0, 8, v38
	s_and_b32 vcc_lo, exec_lo, s14
	s_mov_b32 s11, -1
                                        ; implicit-def: $vgpr1
	v_and_b32_e32 v6, 0xffff, v24
	v_cmp_ne_u16_e64 s10, 0, v24
	s_cbranch_vccz .LBB6_728
; %bb.707:                              ;   in Loop: Header=BB6_130 Depth=2
	v_dual_mov_b32 v1, 0 :: v_dual_mov_b32 v7, 0
	s_and_saveexec_b32 s11, s10
	s_cbranch_execz .LBB6_717
; %bb.708:                              ;   in Loop: Header=BB6_130 Depth=2
	v_bfrev_b32_e32 v7, 1
	s_mov_b32 s15, exec_lo
	v_cmpx_ne_u16_e32 0x80, v24
	s_cbranch_execz .LBB6_716
; %bb.709:                              ;   in Loop: Header=BB6_130 Depth=2
	v_and_b32_e32 v7, 0x7c, v6
	v_and_b32_e32 v8, 3, v6
	s_delay_alu instid0(VALU_DEP_2) | instskip(SKIP_1) | instid1(SALU_CYCLE_1)
	v_cmp_ne_u32_e32 vcc_lo, 0x7c, v7
                                        ; implicit-def: $vgpr7
	s_and_saveexec_b32 s42, vcc_lo
	s_xor_b32 s42, exec_lo, s42
	s_cbranch_execz .LBB6_713
; %bb.710:                              ;   in Loop: Header=BB6_130 Depth=2
	v_bfe_u32 v7, v6, 2, 5
	s_mov_b32 s43, exec_lo
	s_delay_alu instid0(VALU_DEP_1)
	v_cmpx_eq_u32_e32 0, v7
; %bb.711:                              ;   in Loop: Header=BB6_130 Depth=2
	v_clz_i32_u32_e32 v7, v8
	s_delay_alu instid0(VALU_DEP_1) | instskip(NEXT) | instid1(VALU_DEP_1)
	v_min_u32_e32 v7, 32, v7
	v_subrev_nc_u32_e32 v8, 29, v7
	s_delay_alu instid0(VALU_DEP_1) | instskip(NEXT) | instid1(VALU_DEP_1)
	v_lshlrev_b64_e32 v[8:9], v8, v[24:25]
	v_dual_sub_nc_u32 v7, 30, v7 :: v_dual_bitop2_b32 v8, 3, v8 bitop3:0x40
; %bb.712:                              ;   in Loop: Header=BB6_130 Depth=2
	s_or_b32 exec_lo, exec_lo, s43
	v_lshlrev_b32_e32 v9, 16, v50
	s_delay_alu instid0(VALU_DEP_1) | instskip(NEXT) | instid1(VALU_DEP_1)
	v_and_b32_e32 v9, 0x80000000, v9
	v_lshl_add_u32 v7, v7, 23, v9
	s_delay_alu instid0(VALU_DEP_1) | instskip(NEXT) | instid1(VALU_DEP_1)
	v_lshl_or_b32 v7, v8, 21, v7
                                        ; implicit-def: $vgpr8
	v_add_nc_u32_e32 v7, 0x38000000, v7
.LBB6_713:                              ;   in Loop: Header=BB6_130 Depth=2
	s_and_not1_saveexec_b32 s42, s42
; %bb.714:                              ;   in Loop: Header=BB6_130 Depth=2
	v_cmp_lt_i16_e32 vcc_lo, -1, v50
	v_cndmask_b32_e32 v7, 0xff800000, v62, vcc_lo
	v_cmp_eq_u32_e32 vcc_lo, 0, v8
	s_delay_alu instid0(VALU_DEP_2)
	v_cndmask_b32_e32 v7, 0x7f800001, v7, vcc_lo
; %bb.715:                              ;   in Loop: Header=BB6_130 Depth=2
	s_or_b32 exec_lo, exec_lo, s42
.LBB6_716:                              ;   in Loop: Header=BB6_130 Depth=2
	s_delay_alu instid0(SALU_CYCLE_1)
	s_or_b32 exec_lo, exec_lo, s15
.LBB6_717:                              ;   in Loop: Header=BB6_130 Depth=2
	s_delay_alu instid0(SALU_CYCLE_1) | instskip(NEXT) | instid1(SALU_CYCLE_1)
	s_or_b32 exec_lo, exec_lo, s11
	s_mov_b32 s11, exec_lo
	v_cmpx_ne_u16_e32 0, v0
	s_cbranch_execz .LBB6_727
; %bb.718:                              ;   in Loop: Header=BB6_130 Depth=2
	v_bfrev_b32_e32 v1, 1
	s_mov_b32 s15, exec_lo
	v_cmpx_ne_u16_e32 0x80, v0
	s_cbranch_execz .LBB6_726
; %bb.719:                              ;   in Loop: Header=BB6_130 Depth=2
	v_and_b32_e32 v9, 0xffff, v0
	s_delay_alu instid0(VALU_DEP_1) | instskip(SKIP_1) | instid1(VALU_DEP_2)
	v_and_b32_e32 v1, 0x7c, v9
	v_and_b32_e32 v8, 3, v9
	v_cmp_ne_u32_e32 vcc_lo, 0x7c, v1
                                        ; implicit-def: $vgpr1
	s_and_saveexec_b32 s42, vcc_lo
	s_delay_alu instid0(SALU_CYCLE_1)
	s_xor_b32 s42, exec_lo, s42
	s_cbranch_execz .LBB6_723
; %bb.720:                              ;   in Loop: Header=BB6_130 Depth=2
	v_bfe_u32 v1, v9, 2, 5
	s_mov_b32 s43, exec_lo
	s_delay_alu instid0(VALU_DEP_1)
	v_cmpx_eq_u32_e32 0, v1
	s_cbranch_execz .LBB6_722
; %bb.721:                              ;   in Loop: Header=BB6_130 Depth=2
	v_clz_i32_u32_e32 v1, v8
	s_delay_alu instid0(VALU_DEP_1) | instskip(SKIP_1) | instid1(VALU_DEP_2)
	v_min_u32_e32 v48, 32, v1
	v_mov_b32_e32 v1, v25
	v_subrev_nc_u32_e32 v8, 29, v48
	s_delay_alu instid0(VALU_DEP_1) | instskip(SKIP_1) | instid1(VALU_DEP_2)
	v_lshlrev_b64_e32 v[8:9], v8, v[0:1]
	v_sub_nc_u32_e32 v1, 30, v48
	v_and_b32_e32 v8, 3, v8
.LBB6_722:                              ;   in Loop: Header=BB6_130 Depth=2
	s_or_b32 exec_lo, exec_lo, s43
	v_lshlrev_b32_e32 v9, 16, v38
	s_delay_alu instid0(VALU_DEP_1) | instskip(NEXT) | instid1(VALU_DEP_1)
	v_and_b32_e32 v9, 0x80000000, v9
	v_lshl_add_u32 v1, v1, 23, v9
	s_delay_alu instid0(VALU_DEP_1) | instskip(NEXT) | instid1(VALU_DEP_1)
	v_lshl_or_b32 v1, v8, 21, v1
                                        ; implicit-def: $vgpr8
	v_add_nc_u32_e32 v1, 0x38000000, v1
.LBB6_723:                              ;   in Loop: Header=BB6_130 Depth=2
	s_and_not1_saveexec_b32 s42, s42
; %bb.724:                              ;   in Loop: Header=BB6_130 Depth=2
	v_cmp_lt_i16_e32 vcc_lo, -1, v38
	v_cndmask_b32_e32 v1, 0xff800000, v62, vcc_lo
	v_cmp_eq_u32_e32 vcc_lo, 0, v8
	s_delay_alu instid0(VALU_DEP_2)
	v_cndmask_b32_e32 v1, 0x7f800001, v1, vcc_lo
; %bb.725:                              ;   in Loop: Header=BB6_130 Depth=2
	s_or_b32 exec_lo, exec_lo, s42
.LBB6_726:                              ;   in Loop: Header=BB6_130 Depth=2
	s_delay_alu instid0(SALU_CYCLE_1)
	s_or_b32 exec_lo, exec_lo, s15
.LBB6_727:                              ;   in Loop: Header=BB6_130 Depth=2
	s_delay_alu instid0(SALU_CYCLE_1) | instskip(NEXT) | instid1(VALU_DEP_1)
	s_or_b32 exec_lo, exec_lo, s11
	v_dual_max_num_f32 v1, v1, v1 :: v_dual_max_num_f32 v7, v7, v7
	s_mov_b32 s11, 0
	s_delay_alu instid0(VALU_DEP_1)
	v_max_num_f32_e32 v1, v7, v1
.LBB6_728:                              ;   in Loop: Header=BB6_130 Depth=2
	s_and_b32 vcc_lo, exec_lo, s11
	s_cbranch_vccz .LBB6_750
; %bb.729:                              ;   in Loop: Header=BB6_130 Depth=2
	v_dual_mov_b32 v1, 0 :: v_dual_mov_b32 v7, 0
	s_and_saveexec_b32 s11, s10
	s_cbranch_execz .LBB6_739
; %bb.730:                              ;   in Loop: Header=BB6_130 Depth=2
	v_bfrev_b32_e32 v7, 1
	s_mov_b32 s10, exec_lo
	v_cmpx_ne_u16_e32 0x80, v24
	s_cbranch_execz .LBB6_738
; %bb.731:                              ;   in Loop: Header=BB6_130 Depth=2
	v_and_b32_e32 v7, 0x7c, v6
	v_and_b32_e32 v8, 3, v6
	s_delay_alu instid0(VALU_DEP_2) | instskip(SKIP_1) | instid1(SALU_CYCLE_1)
	v_cmp_ne_u32_e32 vcc_lo, 0x7c, v7
                                        ; implicit-def: $vgpr7
	s_and_saveexec_b32 s15, vcc_lo
	s_xor_b32 s15, exec_lo, s15
	s_cbranch_execz .LBB6_735
; %bb.732:                              ;   in Loop: Header=BB6_130 Depth=2
	v_bfe_u32 v6, v6, 2, 5
	s_mov_b32 s42, exec_lo
	s_delay_alu instid0(VALU_DEP_1)
	v_cmpx_eq_u32_e32 0, v6
; %bb.733:                              ;   in Loop: Header=BB6_130 Depth=2
	v_clz_i32_u32_e32 v6, v8
	s_delay_alu instid0(VALU_DEP_1) | instskip(NEXT) | instid1(VALU_DEP_1)
	v_min_u32_e32 v6, 32, v6
	v_subrev_nc_u32_e32 v7, 29, v6
	s_delay_alu instid0(VALU_DEP_1) | instskip(NEXT) | instid1(VALU_DEP_1)
	v_lshlrev_b64_e32 v[8:9], v7, v[24:25]
	v_dual_sub_nc_u32 v6, 30, v6 :: v_dual_bitop2_b32 v8, 3, v8 bitop3:0x40
; %bb.734:                              ;   in Loop: Header=BB6_130 Depth=2
	s_or_b32 exec_lo, exec_lo, s42
	v_lshlrev_b32_e32 v7, 16, v50
	s_delay_alu instid0(VALU_DEP_1) | instskip(NEXT) | instid1(VALU_DEP_1)
	v_and_b32_e32 v7, 0x80000000, v7
	v_lshl_add_u32 v6, v6, 23, v7
	s_delay_alu instid0(VALU_DEP_1) | instskip(NEXT) | instid1(VALU_DEP_1)
	v_lshl_or_b32 v6, v8, 21, v6
                                        ; implicit-def: $vgpr8
	v_add_nc_u32_e32 v7, 0x38000000, v6
.LBB6_735:                              ;   in Loop: Header=BB6_130 Depth=2
	s_and_not1_saveexec_b32 s15, s15
; %bb.736:                              ;   in Loop: Header=BB6_130 Depth=2
	v_cmp_lt_i16_e32 vcc_lo, -1, v50
	v_cndmask_b32_e32 v6, 0xff800000, v62, vcc_lo
	v_cmp_eq_u32_e32 vcc_lo, 0, v8
	s_delay_alu instid0(VALU_DEP_2)
	v_cndmask_b32_e32 v7, 0x7f800001, v6, vcc_lo
; %bb.737:                              ;   in Loop: Header=BB6_130 Depth=2
	s_or_b32 exec_lo, exec_lo, s15
.LBB6_738:                              ;   in Loop: Header=BB6_130 Depth=2
	s_delay_alu instid0(SALU_CYCLE_1)
	s_or_b32 exec_lo, exec_lo, s10
.LBB6_739:                              ;   in Loop: Header=BB6_130 Depth=2
	s_delay_alu instid0(SALU_CYCLE_1) | instskip(NEXT) | instid1(SALU_CYCLE_1)
	s_or_b32 exec_lo, exec_lo, s11
	s_mov_b32 s10, exec_lo
	v_cmpx_ne_u16_e32 0, v0
	s_cbranch_execz .LBB6_749
; %bb.740:                              ;   in Loop: Header=BB6_130 Depth=2
	v_bfrev_b32_e32 v1, 1
	s_mov_b32 s11, exec_lo
	v_cmpx_ne_u16_e32 0x80, v0
	s_cbranch_execz .LBB6_748
; %bb.741:                              ;   in Loop: Header=BB6_130 Depth=2
	v_and_b32_e32 v8, 0xffff, v0
	s_delay_alu instid0(VALU_DEP_1) | instskip(SKIP_1) | instid1(VALU_DEP_2)
	v_and_b32_e32 v1, 0x7c, v8
	v_and_b32_e32 v6, 3, v8
	v_cmp_ne_u32_e32 vcc_lo, 0x7c, v1
                                        ; implicit-def: $vgpr1
	s_and_saveexec_b32 s15, vcc_lo
	s_delay_alu instid0(SALU_CYCLE_1)
	s_xor_b32 s15, exec_lo, s15
	s_cbranch_execz .LBB6_745
; %bb.742:                              ;   in Loop: Header=BB6_130 Depth=2
	v_bfe_u32 v1, v8, 2, 5
	s_mov_b32 s42, exec_lo
	s_delay_alu instid0(VALU_DEP_1)
	v_cmpx_eq_u32_e32 0, v1
; %bb.743:                              ;   in Loop: Header=BB6_130 Depth=2
	v_clz_i32_u32_e32 v1, v6
	s_delay_alu instid0(VALU_DEP_1) | instskip(SKIP_1) | instid1(VALU_DEP_2)
	v_min_u32_e32 v6, 32, v1
	v_mov_b32_e32 v1, v25
	v_subrev_nc_u32_e32 v8, 29, v6
	s_delay_alu instid0(VALU_DEP_1) | instskip(NEXT) | instid1(VALU_DEP_1)
	v_lshlrev_b64_e32 v[0:1], v8, v[0:1]
	v_dual_sub_nc_u32 v1, 30, v6 :: v_dual_bitop2_b32 v6, 3, v0 bitop3:0x40
; %bb.744:                              ;   in Loop: Header=BB6_130 Depth=2
	s_or_b32 exec_lo, exec_lo, s42
	v_lshlrev_b32_e32 v0, 16, v38
	s_delay_alu instid0(VALU_DEP_1) | instskip(NEXT) | instid1(VALU_DEP_1)
	v_and_b32_e32 v0, 0x80000000, v0
	v_lshl_add_u32 v0, v1, 23, v0
	s_delay_alu instid0(VALU_DEP_1) | instskip(NEXT) | instid1(VALU_DEP_1)
	v_lshl_or_b32 v0, v6, 21, v0
                                        ; implicit-def: $vgpr6
	v_add_nc_u32_e32 v1, 0x38000000, v0
.LBB6_745:                              ;   in Loop: Header=BB6_130 Depth=2
	s_and_not1_saveexec_b32 s15, s15
; %bb.746:                              ;   in Loop: Header=BB6_130 Depth=2
	v_cmp_lt_i16_e32 vcc_lo, -1, v38
	v_cndmask_b32_e32 v0, 0xff800000, v62, vcc_lo
	v_cmp_eq_u32_e32 vcc_lo, 0, v6
	s_delay_alu instid0(VALU_DEP_2)
	v_cndmask_b32_e32 v1, 0x7f800001, v0, vcc_lo
; %bb.747:                              ;   in Loop: Header=BB6_130 Depth=2
	s_or_b32 exec_lo, exec_lo, s15
.LBB6_748:                              ;   in Loop: Header=BB6_130 Depth=2
	s_delay_alu instid0(SALU_CYCLE_1)
	s_or_b32 exec_lo, exec_lo, s11
.LBB6_749:                              ;   in Loop: Header=BB6_130 Depth=2
	s_delay_alu instid0(SALU_CYCLE_1) | instskip(NEXT) | instid1(VALU_DEP_1)
	s_or_b32 exec_lo, exec_lo, s10
	v_dual_max_num_f32 v0, v1, v1 :: v_dual_max_num_f32 v1, v7, v7
	s_delay_alu instid0(VALU_DEP_1)
	v_min_num_f32_e32 v1, v1, v0
.LBB6_750:                              ;   in Loop: Header=BB6_130 Depth=2
	s_delay_alu instid0(VALU_DEP_1) | instskip(SKIP_3) | instid1(VALU_DEP_2)
	v_and_b32_e32 v6, 0x7f800000, v1
	v_dual_mov_b32 v7, v25 :: v_dual_lshrrev_b32 v0, 24, v1
	v_and_b32_e32 v24, 0x7fffff, v1
                                        ; implicit-def: $vgpr48
	s_mov_b32 s10, exec_lo
	v_cmpx_ne_u64_e32 0x7f800000, v[6:7]
	s_xor_b32 s11, exec_lo, s10
	s_cbranch_execz .LBB6_764
; %bb.751:                              ;   in Loop: Header=BB6_130 Depth=2
	v_and_b32_e32 v6, 0x7fffffff, v1
	v_mov_b32_e32 v7, v25
	v_and_b32_e32 v8, 0x80, v0
                                        ; implicit-def: $vgpr48
	s_mov_b32 s10, exec_lo
	s_delay_alu instid0(VALU_DEP_2)
	v_cmpx_gt_u64_e32 0x47600001, v[6:7]
	s_xor_b32 s15, exec_lo, s10
	s_cbranch_execz .LBB6_761
; %bb.752:                              ;   in Loop: Header=BB6_130 Depth=2
	v_mov_b32_e32 v48, 0
	s_mov_b32 s42, exec_lo
	v_cmpx_ne_u32_e32 0, v1
	s_cbranch_execz .LBB6_760
; %bb.753:                              ;   in Loop: Header=BB6_130 Depth=2
	v_bfe_u32 v9, v1, 23, 8
	v_or_b32_e32 v6, 0x800000, v24
	s_delay_alu instid0(VALU_DEP_2) | instskip(SKIP_1) | instid1(VALU_DEP_2)
	v_sub_nc_u32_e32 v0, 0x71, v9
	v_cmp_gt_u32_e32 vcc_lo, 0x72, v9
	v_cndmask_b32_e32 v0, 0, v0, vcc_lo
	v_cmp_eq_u32_e32 vcc_lo, 0, v9
	s_delay_alu instid0(VALU_DEP_2) | instskip(SKIP_1) | instid1(VALU_DEP_2)
	v_cndmask_b32_e64 v48, v0, 0x70, vcc_lo
	v_cndmask_b32_e32 v24, v6, v24, vcc_lo
	v_dual_add_nc_u32 v0, 21, v48 :: v_dual_add_nc_u32 v7, 20, v48
	s_delay_alu instid0(VALU_DEP_1) | instskip(NEXT) | instid1(VALU_DEP_2)
	v_lshlrev_b64_e64 v[0:1], v0, -1
	v_lshlrev_b64_e64 v[6:7], v7, 1
	s_delay_alu instid0(VALU_DEP_2) | instskip(NEXT) | instid1(VALU_DEP_3)
	v_bfi_b32 v65, v1, 0, 0
	v_bfi_b32 v64, v0, 0, v24
	v_lshrrev_b64 v[0:1], v48, v[24:25]
	s_delay_alu instid0(VALU_DEP_2) | instskip(NEXT) | instid1(VALU_DEP_2)
	v_cmp_eq_u64_e64 s10, v[64:65], v[6:7]
	v_mov_b64_e32 v[6:7], v[0:1]
	s_and_saveexec_b32 s43, s10
; %bb.754:                              ;   in Loop: Header=BB6_130 Depth=2
	v_bfe_u32 v24, v0, 21, 1
	s_delay_alu instid0(VALU_DEP_1) | instskip(NEXT) | instid1(VALU_DEP_1)
	v_add_nc_u64_e32 v[6:7], v[0:1], v[24:25]
	v_add_nc_u64_e32 v[6:7], -1, v[6:7]
; %bb.755:                              ;   in Loop: Header=BB6_130 Depth=2
	s_or_b32 exec_lo, exec_lo, s43
	v_add_nc_u32_e32 v1, 0xffffff81, v9
	v_lshrrev_b32_e32 v7, 23, v0
	s_mov_b32 s10, exec_lo
	s_delay_alu instid0(VALU_DEP_2) | instskip(NEXT) | instid1(VALU_DEP_1)
	v_cndmask_b32_e64 v1, v1, 0xffffff82, vcc_lo
	v_add3_u32 v7, v48, v1, v7
	v_and_b32_e32 v1, 0x1fffff, v6
                                        ; implicit-def: $vgpr6
	s_delay_alu instid0(VALU_DEP_1) | instskip(NEXT) | instid1(VALU_DEP_1)
	v_dual_add_nc_u32 v9, 14, v7 :: v_dual_add_nc_u32 v24, v1, v0
                                        ; implicit-def: $vgpr0_vgpr1
	v_cmpx_ne_u32_e32 0, v9
	s_xor_b32 s10, exec_lo, s10
; %bb.756:                              ;   in Loop: Header=BB6_130 Depth=2
	s_delay_alu instid0(VALU_DEP_2) | instskip(SKIP_1) | instid1(VALU_DEP_1)
	v_cmp_lt_u64_e32 vcc_lo, 0xffffff, v[24:25]
	v_add_nc_u32_e32 v0, 15, v7
	v_cndmask_b32_e32 v6, v9, v0, vcc_lo
	v_cndmask_b32_e64 v0, 0, 1, vcc_lo
	s_delay_alu instid0(VALU_DEP_1)
	v_lshrrev_b64 v[0:1], v0, v[24:25]
; %bb.757:                              ;   in Loop: Header=BB6_130 Depth=2
	s_and_not1_saveexec_b32 s10, s10
; %bb.758:                              ;   in Loop: Header=BB6_130 Depth=2
	v_mov_b64_e32 v[0:1], v[24:25]
	v_bfe_u32 v6, v24, 23, 1
; %bb.759:                              ;   in Loop: Header=BB6_130 Depth=2
	s_or_b32 exec_lo, exec_lo, s10
	s_delay_alu instid0(VALU_DEP_2) | instskip(NEXT) | instid1(VALU_DEP_2)
	v_lshrrev_b64 v[0:1], 21, v[0:1]
	v_cmp_gt_i32_e32 vcc_lo, 32, v6
	v_min_i32_e32 v7, 31, v6
	v_cmp_eq_u32_e64 s10, 0, v6
	s_delay_alu instid0(VALU_DEP_2) | instskip(SKIP_1) | instid1(VALU_DEP_2)
	v_dual_cndmask_b32 v1, 0, v1, vcc_lo :: v_dual_lshlrev_b32 v7, 2, v7
	v_cndmask_b32_e32 v0, 3, v0, vcc_lo
	v_and_b32_e32 v7, 0xfc, v7
	s_delay_alu instid0(VALU_DEP_2) | instskip(NEXT) | instid1(VALU_DEP_2)
	v_cmp_eq_u64_e32 vcc_lo, 0, v[0:1]
	v_and_or_b32 v0, v0, 3, v7
	s_and_b32 s10, s10, vcc_lo
	s_delay_alu instid0(VALU_DEP_1) | instid1(SALU_CYCLE_1)
	v_cndmask_b32_e64 v0, v0, 0, s10
	s_delay_alu instid0(VALU_DEP_1)
	v_or_b32_e32 v48, v0, v8
.LBB6_760:                              ;   in Loop: Header=BB6_130 Depth=2
	s_or_b32 exec_lo, exec_lo, s42
                                        ; implicit-def: $vgpr8
.LBB6_761:                              ;   in Loop: Header=BB6_130 Depth=2
	s_and_not1_saveexec_b32 s10, s15
; %bb.762:                              ;   in Loop: Header=BB6_130 Depth=2
	v_or_b32_e32 v48, 0x7b, v8
; %bb.763:                              ;   in Loop: Header=BB6_130 Depth=2
	s_or_b32 exec_lo, exec_lo, s10
                                        ; implicit-def: $vgpr1
                                        ; implicit-def: $vgpr0
.LBB6_764:                              ;   in Loop: Header=BB6_130 Depth=2
	s_and_not1_saveexec_b32 s10, s11
	s_cbranch_execz .LBB6_770
; %bb.765:                              ;   in Loop: Header=BB6_130 Depth=2
	s_mov_b32 s11, exec_lo
                                        ; implicit-def: $vgpr48
	v_cmpx_ne_u64_e32 0, v[24:25]
	s_xor_b32 s11, exec_lo, s11
; %bb.766:                              ;   in Loop: Header=BB6_130 Depth=2
	v_or_b32_e32 v48, 0x7f, v0
                                        ; implicit-def: $vgpr1
; %bb.767:                              ;   in Loop: Header=BB6_130 Depth=2
	s_and_not1_saveexec_b32 s11, s11
; %bb.768:                              ;   in Loop: Header=BB6_130 Depth=2
	v_cmp_lt_i32_e32 vcc_lo, -1, v1
	v_cndmask_b32_e32 v48, 0xfc, v93, vcc_lo
; %bb.769:                              ;   in Loop: Header=BB6_130 Depth=2
	s_or_b32 exec_lo, exec_lo, s11
.LBB6_770:                              ;   in Loop: Header=BB6_130 Depth=2
	s_delay_alu instid0(SALU_CYCLE_1) | instskip(SKIP_4) | instid1(VALU_DEP_2)
	s_or_b32 exec_lo, exec_lo, s10
	v_lshrrev_b32_e32 v6, 16, v50
	v_lshrrev_b32_e32 v0, 16, v38
	s_and_b32 vcc_lo, exec_lo, s14
	s_mov_b32 s11, -1
                                        ; implicit-def: $vgpr7
	v_and_b32_e32 v1, 0xff, v6
	s_delay_alu instid0(VALU_DEP_1)
	v_cmp_ne_u16_e64 s10, 0, v1
	s_cbranch_vccz .LBB6_792
; %bb.771:                              ;   in Loop: Header=BB6_130 Depth=2
	v_dual_mov_b32 v8, 0 :: v_dual_mov_b32 v7, 0
	s_and_saveexec_b32 s11, s10
	s_cbranch_execz .LBB6_781
; %bb.772:                              ;   in Loop: Header=BB6_130 Depth=2
	v_bfrev_b32_e32 v7, 1
	s_mov_b32 s15, exec_lo
	v_cmpx_ne_u16_e32 0x80, v1
	s_cbranch_execz .LBB6_780
; %bb.773:                              ;   in Loop: Header=BB6_130 Depth=2
	v_and_b32_e32 v7, 0x7c0000, v50
	v_bfe_u32 v9, v50, 16, 2
	s_delay_alu instid0(VALU_DEP_2) | instskip(SKIP_1) | instid1(SALU_CYCLE_1)
	v_cmp_ne_u32_e32 vcc_lo, 0x7c0000, v7
                                        ; implicit-def: $vgpr7
	s_and_saveexec_b32 s42, vcc_lo
	s_xor_b32 s42, exec_lo, s42
	s_cbranch_execz .LBB6_777
; %bb.774:                              ;   in Loop: Header=BB6_130 Depth=2
	v_bfe_u32 v7, v50, 18, 5
	s_mov_b32 s43, exec_lo
	s_delay_alu instid0(VALU_DEP_1)
	v_cmpx_eq_u32_e32 0, v7
; %bb.775:                              ;   in Loop: Header=BB6_130 Depth=2
	v_clz_i32_u32_e32 v7, v9
	s_delay_alu instid0(VALU_DEP_1) | instskip(NEXT) | instid1(VALU_DEP_1)
	v_min_u32_e32 v7, 32, v7
	v_subrev_nc_u32_e32 v9, 29, v7
	s_delay_alu instid0(VALU_DEP_1) | instskip(NEXT) | instid1(VALU_DEP_1)
	v_lshlrev_b64_e32 v[64:65], v9, v[6:7]
	v_dual_sub_nc_u32 v7, 30, v7 :: v_dual_bitop2_b32 v9, 3, v64 bitop3:0x40
; %bb.776:                              ;   in Loop: Header=BB6_130 Depth=2
	s_or_b32 exec_lo, exec_lo, s43
	v_lshlrev_b32_e32 v24, 24, v6
	s_delay_alu instid0(VALU_DEP_1) | instskip(NEXT) | instid1(VALU_DEP_1)
	v_and_b32_e32 v24, 0x80000000, v24
	v_lshl_add_u32 v7, v7, 23, v24
	s_delay_alu instid0(VALU_DEP_1) | instskip(NEXT) | instid1(VALU_DEP_1)
	v_lshl_or_b32 v7, v9, 21, v7
                                        ; implicit-def: $vgpr9
	v_add_nc_u32_e32 v7, 0x38000000, v7
.LBB6_777:                              ;   in Loop: Header=BB6_130 Depth=2
	s_and_not1_saveexec_b32 s42, s42
; %bb.778:                              ;   in Loop: Header=BB6_130 Depth=2
	v_bfe_i32 v7, v6, 0, 8
	s_delay_alu instid0(VALU_DEP_1) | instskip(SKIP_2) | instid1(VALU_DEP_2)
	v_cmp_lt_i16_e32 vcc_lo, -1, v7
	v_cndmask_b32_e32 v7, 0xff800000, v62, vcc_lo
	v_cmp_eq_u32_e32 vcc_lo, 0, v9
	v_cndmask_b32_e32 v7, 0x7f800001, v7, vcc_lo
; %bb.779:                              ;   in Loop: Header=BB6_130 Depth=2
	s_or_b32 exec_lo, exec_lo, s42
.LBB6_780:                              ;   in Loop: Header=BB6_130 Depth=2
	s_delay_alu instid0(SALU_CYCLE_1)
	s_or_b32 exec_lo, exec_lo, s15
.LBB6_781:                              ;   in Loop: Header=BB6_130 Depth=2
	s_delay_alu instid0(SALU_CYCLE_1) | instskip(SKIP_2) | instid1(VALU_DEP_1)
	s_or_b32 exec_lo, exec_lo, s11
	v_and_b32_e32 v9, 0xff, v0
	s_mov_b32 s11, exec_lo
	v_cmpx_ne_u16_e32 0, v9
	s_cbranch_execz .LBB6_791
; %bb.782:                              ;   in Loop: Header=BB6_130 Depth=2
	v_bfrev_b32_e32 v8, 1
	s_mov_b32 s15, exec_lo
	v_cmpx_ne_u16_e32 0x80, v9
	s_cbranch_execz .LBB6_790
; %bb.783:                              ;   in Loop: Header=BB6_130 Depth=2
	v_and_b32_e32 v8, 0x7c0000, v38
	v_bfe_u32 v9, v38, 16, 2
	s_delay_alu instid0(VALU_DEP_2) | instskip(SKIP_1) | instid1(SALU_CYCLE_1)
	v_cmp_ne_u32_e32 vcc_lo, 0x7c0000, v8
                                        ; implicit-def: $vgpr8
	s_and_saveexec_b32 s42, vcc_lo
	s_xor_b32 s42, exec_lo, s42
	s_cbranch_execz .LBB6_787
; %bb.784:                              ;   in Loop: Header=BB6_130 Depth=2
	v_bfe_u32 v8, v38, 18, 5
	s_mov_b32 s43, exec_lo
	s_delay_alu instid0(VALU_DEP_1)
	v_cmpx_eq_u32_e32 0, v8
; %bb.785:                              ;   in Loop: Header=BB6_130 Depth=2
	v_clz_i32_u32_e32 v8, v9
	s_delay_alu instid0(VALU_DEP_1) | instskip(NEXT) | instid1(VALU_DEP_1)
	v_min_u32_e32 v8, 32, v8
	v_subrev_nc_u32_e32 v9, 29, v8
	v_sub_nc_u32_e32 v8, 30, v8
	s_delay_alu instid0(VALU_DEP_2) | instskip(NEXT) | instid1(VALU_DEP_1)
	v_lshlrev_b64_e32 v[64:65], v9, v[0:1]
	v_and_b32_e32 v9, 3, v64
; %bb.786:                              ;   in Loop: Header=BB6_130 Depth=2
	s_or_b32 exec_lo, exec_lo, s43
	v_lshlrev_b32_e32 v24, 24, v0
	s_delay_alu instid0(VALU_DEP_1) | instskip(NEXT) | instid1(VALU_DEP_1)
	v_and_b32_e32 v24, 0x80000000, v24
	v_lshl_add_u32 v8, v8, 23, v24
	s_delay_alu instid0(VALU_DEP_1) | instskip(NEXT) | instid1(VALU_DEP_1)
	v_lshl_or_b32 v8, v9, 21, v8
                                        ; implicit-def: $vgpr9
	v_add_nc_u32_e32 v8, 0x38000000, v8
.LBB6_787:                              ;   in Loop: Header=BB6_130 Depth=2
	s_and_not1_saveexec_b32 s42, s42
; %bb.788:                              ;   in Loop: Header=BB6_130 Depth=2
	v_bfe_i32 v8, v0, 0, 8
	s_delay_alu instid0(VALU_DEP_1) | instskip(SKIP_2) | instid1(VALU_DEP_2)
	v_cmp_lt_i16_e32 vcc_lo, -1, v8
	v_cndmask_b32_e32 v8, 0xff800000, v62, vcc_lo
	v_cmp_eq_u32_e32 vcc_lo, 0, v9
	v_cndmask_b32_e32 v8, 0x7f800001, v8, vcc_lo
; %bb.789:                              ;   in Loop: Header=BB6_130 Depth=2
	s_or_b32 exec_lo, exec_lo, s42
.LBB6_790:                              ;   in Loop: Header=BB6_130 Depth=2
	s_delay_alu instid0(SALU_CYCLE_1)
	s_or_b32 exec_lo, exec_lo, s15
.LBB6_791:                              ;   in Loop: Header=BB6_130 Depth=2
	s_delay_alu instid0(SALU_CYCLE_1) | instskip(NEXT) | instid1(VALU_DEP_1)
	s_or_b32 exec_lo, exec_lo, s11
	v_dual_max_num_f32 v8, v8, v8 :: v_dual_max_num_f32 v7, v7, v7
	s_mov_b32 s11, 0
	s_delay_alu instid0(VALU_DEP_1)
	v_max_num_f32_e32 v7, v7, v8
.LBB6_792:                              ;   in Loop: Header=BB6_130 Depth=2
	s_and_b32 vcc_lo, exec_lo, s11
	s_cbranch_vccz .LBB6_814
; %bb.793:                              ;   in Loop: Header=BB6_130 Depth=2
	v_dual_mov_b32 v8, 0 :: v_dual_mov_b32 v7, 0
	s_and_saveexec_b32 s11, s10
	s_cbranch_execz .LBB6_803
; %bb.794:                              ;   in Loop: Header=BB6_130 Depth=2
	v_bfrev_b32_e32 v7, 1
	s_mov_b32 s10, exec_lo
	v_cmpx_ne_u16_e32 0x80, v1
	s_cbranch_execz .LBB6_802
; %bb.795:                              ;   in Loop: Header=BB6_130 Depth=2
	v_and_b32_e32 v7, 0x7c0000, v50
	v_bfe_u32 v1, v50, 16, 2
	s_delay_alu instid0(VALU_DEP_2) | instskip(SKIP_1) | instid1(SALU_CYCLE_1)
	v_cmp_ne_u32_e32 vcc_lo, 0x7c0000, v7
                                        ; implicit-def: $vgpr7
	s_and_saveexec_b32 s15, vcc_lo
	s_xor_b32 s15, exec_lo, s15
	s_cbranch_execz .LBB6_799
; %bb.796:                              ;   in Loop: Header=BB6_130 Depth=2
	v_bfe_u32 v7, v50, 18, 5
	s_mov_b32 s42, exec_lo
	s_delay_alu instid0(VALU_DEP_1)
	v_cmpx_eq_u32_e32 0, v7
; %bb.797:                              ;   in Loop: Header=BB6_130 Depth=2
	v_clz_i32_u32_e32 v1, v1
	s_delay_alu instid0(VALU_DEP_1) | instskip(NEXT) | instid1(VALU_DEP_1)
	v_min_u32_e32 v1, 32, v1
	v_subrev_nc_u32_e32 v7, 29, v1
	s_delay_alu instid0(VALU_DEP_1) | instskip(NEXT) | instid1(VALU_DEP_1)
	v_lshlrev_b64_e32 v[64:65], v7, v[6:7]
	v_dual_sub_nc_u32 v7, 30, v1 :: v_dual_bitop2_b32 v1, 3, v64 bitop3:0x40
; %bb.798:                              ;   in Loop: Header=BB6_130 Depth=2
	s_or_b32 exec_lo, exec_lo, s42
	v_lshlrev_b32_e32 v6, 24, v6
	s_delay_alu instid0(VALU_DEP_1) | instskip(NEXT) | instid1(VALU_DEP_1)
	v_and_b32_e32 v6, 0x80000000, v6
	v_lshl_add_u32 v6, v7, 23, v6
	s_delay_alu instid0(VALU_DEP_1) | instskip(NEXT) | instid1(VALU_DEP_1)
	v_lshl_or_b32 v1, v1, 21, v6
                                        ; implicit-def: $vgpr6
	v_add_nc_u32_e32 v7, 0x38000000, v1
                                        ; implicit-def: $vgpr1
.LBB6_799:                              ;   in Loop: Header=BB6_130 Depth=2
	s_and_not1_saveexec_b32 s15, s15
; %bb.800:                              ;   in Loop: Header=BB6_130 Depth=2
	v_bfe_i32 v6, v6, 0, 8
	s_delay_alu instid0(VALU_DEP_1) | instskip(SKIP_2) | instid1(VALU_DEP_2)
	v_cmp_lt_i16_e32 vcc_lo, -1, v6
	v_cndmask_b32_e32 v6, 0xff800000, v62, vcc_lo
	v_cmp_eq_u32_e32 vcc_lo, 0, v1
	v_cndmask_b32_e32 v7, 0x7f800001, v6, vcc_lo
; %bb.801:                              ;   in Loop: Header=BB6_130 Depth=2
	s_or_b32 exec_lo, exec_lo, s15
.LBB6_802:                              ;   in Loop: Header=BB6_130 Depth=2
	s_delay_alu instid0(SALU_CYCLE_1)
	s_or_b32 exec_lo, exec_lo, s10
.LBB6_803:                              ;   in Loop: Header=BB6_130 Depth=2
	s_delay_alu instid0(SALU_CYCLE_1) | instskip(SKIP_2) | instid1(VALU_DEP_1)
	s_or_b32 exec_lo, exec_lo, s11
	v_and_b32_e32 v1, 0xff, v0
	s_mov_b32 s10, exec_lo
	v_cmpx_ne_u16_e32 0, v1
	s_cbranch_execz .LBB6_813
; %bb.804:                              ;   in Loop: Header=BB6_130 Depth=2
	v_bfrev_b32_e32 v8, 1
	s_mov_b32 s11, exec_lo
	v_cmpx_ne_u16_e32 0x80, v1
	s_cbranch_execz .LBB6_812
; %bb.805:                              ;   in Loop: Header=BB6_130 Depth=2
	v_and_b32_e32 v6, 0x7c0000, v38
	v_bfe_u32 v1, v38, 16, 2
	s_mov_b32 s15, exec_lo
                                        ; implicit-def: $vgpr8
	s_delay_alu instid0(VALU_DEP_2)
	v_cmpx_ne_u32_e32 0x7c0000, v6
	s_xor_b32 s15, exec_lo, s15
	s_cbranch_execz .LBB6_809
; %bb.806:                              ;   in Loop: Header=BB6_130 Depth=2
	v_bfe_u32 v6, v38, 18, 5
	s_mov_b32 s42, exec_lo
	s_delay_alu instid0(VALU_DEP_1)
	v_cmpx_eq_u32_e32 0, v6
; %bb.807:                              ;   in Loop: Header=BB6_130 Depth=2
	v_clz_i32_u32_e32 v1, v1
	s_delay_alu instid0(VALU_DEP_1) | instskip(NEXT) | instid1(VALU_DEP_1)
	v_min_u32_e32 v1, 32, v1
	v_subrev_nc_u32_e32 v6, 29, v1
	s_delay_alu instid0(VALU_DEP_1) | instskip(NEXT) | instid1(VALU_DEP_1)
	v_lshlrev_b64_e32 v[8:9], v6, v[0:1]
	v_dual_sub_nc_u32 v6, 30, v1 :: v_dual_bitop2_b32 v1, 3, v8 bitop3:0x40
; %bb.808:                              ;   in Loop: Header=BB6_130 Depth=2
	s_or_b32 exec_lo, exec_lo, s42
	v_lshlrev_b32_e32 v0, 24, v0
	s_delay_alu instid0(VALU_DEP_1) | instskip(NEXT) | instid1(VALU_DEP_1)
	v_and_b32_e32 v0, 0x80000000, v0
	v_lshl_add_u32 v0, v6, 23, v0
	s_delay_alu instid0(VALU_DEP_1) | instskip(NEXT) | instid1(VALU_DEP_1)
	v_lshl_or_b32 v0, v1, 21, v0
                                        ; implicit-def: $vgpr1
	v_add_nc_u32_e32 v8, 0x38000000, v0
                                        ; implicit-def: $vgpr0
.LBB6_809:                              ;   in Loop: Header=BB6_130 Depth=2
	s_and_not1_saveexec_b32 s15, s15
; %bb.810:                              ;   in Loop: Header=BB6_130 Depth=2
	v_bfe_i32 v0, v0, 0, 8
	s_delay_alu instid0(VALU_DEP_1) | instskip(SKIP_2) | instid1(VALU_DEP_2)
	v_cmp_lt_i16_e32 vcc_lo, -1, v0
	v_cndmask_b32_e32 v0, 0xff800000, v62, vcc_lo
	v_cmp_eq_u32_e32 vcc_lo, 0, v1
	v_cndmask_b32_e32 v8, 0x7f800001, v0, vcc_lo
; %bb.811:                              ;   in Loop: Header=BB6_130 Depth=2
	s_or_b32 exec_lo, exec_lo, s15
.LBB6_812:                              ;   in Loop: Header=BB6_130 Depth=2
	s_delay_alu instid0(SALU_CYCLE_1)
	s_or_b32 exec_lo, exec_lo, s11
.LBB6_813:                              ;   in Loop: Header=BB6_130 Depth=2
	s_delay_alu instid0(SALU_CYCLE_1) | instskip(NEXT) | instid1(VALU_DEP_1)
	s_or_b32 exec_lo, exec_lo, s10
	v_dual_max_num_f32 v0, v8, v8 :: v_dual_max_num_f32 v1, v7, v7
	s_delay_alu instid0(VALU_DEP_1)
	v_min_num_f32_e32 v7, v1, v0
.LBB6_814:                              ;   in Loop: Header=BB6_130 Depth=2
	s_delay_alu instid0(VALU_DEP_1) | instskip(SKIP_2) | instid1(VALU_DEP_2)
	v_and_b32_e32 v0, 0x7f800000, v7
	v_mov_b32_e32 v1, v25
	v_and_b32_e32 v24, 0x7fffff, v7
                                        ; implicit-def: $vgpr49
	v_cmp_ne_u64_e32 vcc_lo, 0x7f800000, v[0:1]
	v_lshrrev_b32_e32 v0, 24, v7
	s_and_saveexec_b32 s10, vcc_lo
	s_delay_alu instid0(SALU_CYCLE_1)
	s_xor_b32 s11, exec_lo, s10
	s_cbranch_execz .LBB6_828
; %bb.815:                              ;   in Loop: Header=BB6_130 Depth=2
	v_and_b32_e32 v8, 0x7fffffff, v7
	v_mov_b32_e32 v9, v25
                                        ; implicit-def: $vgpr49
	s_delay_alu instid0(VALU_DEP_1) | instskip(SKIP_2) | instid1(SALU_CYCLE_1)
	v_cmp_gt_u64_e32 vcc_lo, 0x47600001, v[8:9]
	v_and_b32_e32 v8, 0x80, v0
	s_and_saveexec_b32 s10, vcc_lo
	s_xor_b32 s15, exec_lo, s10
	s_cbranch_execz .LBB6_825
; %bb.816:                              ;   in Loop: Header=BB6_130 Depth=2
	v_mov_b32_e32 v49, 0
	s_mov_b32 s42, exec_lo
	v_cmpx_ne_u32_e32 0, v7
	s_cbranch_execz .LBB6_824
; %bb.817:                              ;   in Loop: Header=BB6_130 Depth=2
	v_bfe_u32 v9, v7, 23, 8
	v_or_b32_e32 v6, 0x800000, v24
	s_delay_alu instid0(VALU_DEP_2) | instskip(SKIP_1) | instid1(VALU_DEP_2)
	v_sub_nc_u32_e32 v0, 0x71, v9
	v_cmp_gt_u32_e32 vcc_lo, 0x72, v9
	v_cndmask_b32_e32 v0, 0, v0, vcc_lo
	v_cmp_eq_u32_e32 vcc_lo, 0, v9
	s_delay_alu instid0(VALU_DEP_2) | instskip(NEXT) | instid1(VALU_DEP_1)
	v_cndmask_b32_e64 v49, v0, 0x70, vcc_lo
	v_dual_cndmask_b32 v24, v6, v24, vcc_lo :: v_dual_add_nc_u32 v0, 21, v49
	v_add_nc_u32_e32 v7, 20, v49
	s_delay_alu instid0(VALU_DEP_2) | instskip(NEXT) | instid1(VALU_DEP_2)
	v_lshlrev_b64_e64 v[0:1], v0, -1
	v_lshlrev_b64_e64 v[6:7], v7, 1
	s_delay_alu instid0(VALU_DEP_2) | instskip(NEXT) | instid1(VALU_DEP_3)
	v_bfi_b32 v65, v1, 0, 0
	v_bfi_b32 v64, v0, 0, v24
	v_lshrrev_b64 v[0:1], v49, v[24:25]
	s_delay_alu instid0(VALU_DEP_2) | instskip(NEXT) | instid1(VALU_DEP_2)
	v_cmp_eq_u64_e64 s10, v[64:65], v[6:7]
	v_mov_b64_e32 v[6:7], v[0:1]
	s_and_saveexec_b32 s43, s10
; %bb.818:                              ;   in Loop: Header=BB6_130 Depth=2
	v_bfe_u32 v24, v0, 21, 1
	s_delay_alu instid0(VALU_DEP_1) | instskip(NEXT) | instid1(VALU_DEP_1)
	v_add_nc_u64_e32 v[6:7], v[0:1], v[24:25]
	v_add_nc_u64_e32 v[6:7], -1, v[6:7]
; %bb.819:                              ;   in Loop: Header=BB6_130 Depth=2
	s_or_b32 exec_lo, exec_lo, s43
	v_add_nc_u32_e32 v1, 0xffffff81, v9
	v_lshrrev_b32_e32 v7, 23, v0
	s_mov_b32 s10, exec_lo
	s_delay_alu instid0(VALU_DEP_2) | instskip(NEXT) | instid1(VALU_DEP_1)
	v_cndmask_b32_e64 v1, v1, 0xffffff82, vcc_lo
	v_add3_u32 v7, v49, v1, v7
	v_and_b32_e32 v1, 0x1fffff, v6
                                        ; implicit-def: $vgpr6
	s_delay_alu instid0(VALU_DEP_1) | instskip(NEXT) | instid1(VALU_DEP_1)
	v_dual_add_nc_u32 v9, 14, v7 :: v_dual_add_nc_u32 v24, v1, v0
                                        ; implicit-def: $vgpr0_vgpr1
	v_cmpx_ne_u32_e32 0, v9
	s_xor_b32 s10, exec_lo, s10
; %bb.820:                              ;   in Loop: Header=BB6_130 Depth=2
	s_delay_alu instid0(VALU_DEP_2) | instskip(SKIP_1) | instid1(VALU_DEP_1)
	v_cmp_lt_u64_e32 vcc_lo, 0xffffff, v[24:25]
	v_add_nc_u32_e32 v0, 15, v7
	v_cndmask_b32_e32 v6, v9, v0, vcc_lo
	v_cndmask_b32_e64 v0, 0, 1, vcc_lo
	s_delay_alu instid0(VALU_DEP_1)
	v_lshrrev_b64 v[0:1], v0, v[24:25]
; %bb.821:                              ;   in Loop: Header=BB6_130 Depth=2
	s_and_not1_saveexec_b32 s10, s10
; %bb.822:                              ;   in Loop: Header=BB6_130 Depth=2
	v_mov_b64_e32 v[0:1], v[24:25]
	v_bfe_u32 v6, v24, 23, 1
; %bb.823:                              ;   in Loop: Header=BB6_130 Depth=2
	s_or_b32 exec_lo, exec_lo, s10
	s_delay_alu instid0(VALU_DEP_2) | instskip(NEXT) | instid1(VALU_DEP_2)
	v_lshrrev_b64 v[0:1], 21, v[0:1]
	v_cmp_gt_i32_e32 vcc_lo, 32, v6
	v_min_i32_e32 v7, 31, v6
	v_cmp_eq_u32_e64 s10, 0, v6
	s_delay_alu instid0(VALU_DEP_2) | instskip(SKIP_1) | instid1(VALU_DEP_2)
	v_dual_cndmask_b32 v1, 0, v1, vcc_lo :: v_dual_lshlrev_b32 v7, 2, v7
	v_cndmask_b32_e32 v0, 3, v0, vcc_lo
	v_and_b32_e32 v7, 0xfc, v7
	s_delay_alu instid0(VALU_DEP_2) | instskip(NEXT) | instid1(VALU_DEP_2)
	v_cmp_eq_u64_e32 vcc_lo, 0, v[0:1]
	v_and_or_b32 v0, v0, 3, v7
	s_and_b32 s10, s10, vcc_lo
	s_delay_alu instid0(VALU_DEP_1) | instid1(SALU_CYCLE_1)
	v_cndmask_b32_e64 v0, v0, 0, s10
	s_delay_alu instid0(VALU_DEP_1)
	v_or_b32_e32 v49, v0, v8
.LBB6_824:                              ;   in Loop: Header=BB6_130 Depth=2
	s_or_b32 exec_lo, exec_lo, s42
                                        ; implicit-def: $vgpr8
.LBB6_825:                              ;   in Loop: Header=BB6_130 Depth=2
	s_and_not1_saveexec_b32 s10, s15
; %bb.826:                              ;   in Loop: Header=BB6_130 Depth=2
	v_or_b32_e32 v49, 0x7b, v8
; %bb.827:                              ;   in Loop: Header=BB6_130 Depth=2
	s_or_b32 exec_lo, exec_lo, s10
                                        ; implicit-def: $vgpr7
                                        ; implicit-def: $vgpr0
.LBB6_828:                              ;   in Loop: Header=BB6_130 Depth=2
	s_and_not1_saveexec_b32 s10, s11
	s_cbranch_execz .LBB6_834
; %bb.829:                              ;   in Loop: Header=BB6_130 Depth=2
	s_mov_b32 s11, exec_lo
                                        ; implicit-def: $vgpr49
	v_cmpx_ne_u64_e32 0, v[24:25]
	s_xor_b32 s11, exec_lo, s11
; %bb.830:                              ;   in Loop: Header=BB6_130 Depth=2
	v_or_b32_e32 v49, 0x7f, v0
                                        ; implicit-def: $vgpr7
; %bb.831:                              ;   in Loop: Header=BB6_130 Depth=2
	s_and_not1_saveexec_b32 s11, s11
; %bb.832:                              ;   in Loop: Header=BB6_130 Depth=2
	v_cmp_lt_i32_e32 vcc_lo, -1, v7
	v_cndmask_b32_e32 v49, 0xfc, v93, vcc_lo
; %bb.833:                              ;   in Loop: Header=BB6_130 Depth=2
	s_or_b32 exec_lo, exec_lo, s11
.LBB6_834:                              ;   in Loop: Header=BB6_130 Depth=2
	s_delay_alu instid0(SALU_CYCLE_1)
	s_or_b32 exec_lo, exec_lo, s10
	v_lshrrev_b32_e32 v6, 24, v50
	v_lshrrev_b32_e32 v0, 24, v38
	v_cmp_lt_u32_e64 s10, 0xffffff, v50
	s_and_b32 vcc_lo, exec_lo, s14
	s_mov_b32 s11, -1
                                        ; implicit-def: $vgpr1
	s_cbranch_vccz .LBB6_856
; %bb.835:                              ;   in Loop: Header=BB6_130 Depth=2
	v_dual_mov_b32 v7, 0 :: v_dual_mov_b32 v1, 0
	s_and_saveexec_b32 s11, s10
	s_cbranch_execz .LBB6_845
; %bb.836:                              ;   in Loop: Header=BB6_130 Depth=2
	v_bfrev_b32_e32 v1, 1
	s_mov_b32 s15, exec_lo
	v_cmpx_ne_u32_e32 0x80, v6
	s_cbranch_execz .LBB6_844
; %bb.837:                              ;   in Loop: Header=BB6_130 Depth=2
	v_and_b32_e32 v1, 0x7c000000, v50
	v_bfe_u32 v8, v50, 24, 2
	s_delay_alu instid0(VALU_DEP_2) | instskip(SKIP_1) | instid1(SALU_CYCLE_1)
	v_cmp_ne_u32_e32 vcc_lo, 0x7c000000, v1
                                        ; implicit-def: $vgpr1
	s_and_saveexec_b32 s42, vcc_lo
	s_xor_b32 s42, exec_lo, s42
	s_cbranch_execz .LBB6_841
; %bb.838:                              ;   in Loop: Header=BB6_130 Depth=2
	v_bfe_u32 v1, v50, 26, 5
	s_mov_b32 s43, exec_lo
	s_delay_alu instid0(VALU_DEP_1)
	v_cmpx_eq_u32_e32 0, v1
; %bb.839:                              ;   in Loop: Header=BB6_130 Depth=2
	v_clz_i32_u32_e32 v1, v8
	s_delay_alu instid0(VALU_DEP_1) | instskip(NEXT) | instid1(VALU_DEP_1)
	v_min_u32_e32 v1, 32, v1
	v_subrev_nc_u32_e32 v8, 29, v1
	s_delay_alu instid0(VALU_DEP_1) | instskip(NEXT) | instid1(VALU_DEP_1)
	v_lshlrev_b64_e32 v[8:9], v8, v[6:7]
	v_dual_sub_nc_u32 v1, 30, v1 :: v_dual_bitop2_b32 v8, 3, v8 bitop3:0x40
; %bb.840:                              ;   in Loop: Header=BB6_130 Depth=2
	s_or_b32 exec_lo, exec_lo, s43
	v_and_b32_e32 v9, 0x80000000, v50
	s_delay_alu instid0(VALU_DEP_1) | instskip(NEXT) | instid1(VALU_DEP_1)
	v_lshl_add_u32 v1, v1, 23, v9
	v_lshl_or_b32 v1, v8, 21, v1
                                        ; implicit-def: $vgpr8
	s_delay_alu instid0(VALU_DEP_1)
	v_add_nc_u32_e32 v1, 0x38000000, v1
.LBB6_841:                              ;   in Loop: Header=BB6_130 Depth=2
	s_and_not1_saveexec_b32 s42, s42
; %bb.842:                              ;   in Loop: Header=BB6_130 Depth=2
	v_cmp_lt_i32_e32 vcc_lo, -1, v50
	v_cndmask_b32_e32 v1, 0xff800000, v62, vcc_lo
	v_cmp_eq_u32_e32 vcc_lo, 0, v8
	s_delay_alu instid0(VALU_DEP_2)
	v_cndmask_b32_e32 v1, 0x7f800001, v1, vcc_lo
; %bb.843:                              ;   in Loop: Header=BB6_130 Depth=2
	s_or_b32 exec_lo, exec_lo, s42
.LBB6_844:                              ;   in Loop: Header=BB6_130 Depth=2
	s_delay_alu instid0(SALU_CYCLE_1)
	s_or_b32 exec_lo, exec_lo, s15
.LBB6_845:                              ;   in Loop: Header=BB6_130 Depth=2
	s_delay_alu instid0(SALU_CYCLE_1) | instskip(NEXT) | instid1(SALU_CYCLE_1)
	s_or_b32 exec_lo, exec_lo, s11
	s_mov_b32 s11, exec_lo
	v_cmpx_lt_u32_e32 0xffffff, v38
	s_cbranch_execz .LBB6_855
; %bb.846:                              ;   in Loop: Header=BB6_130 Depth=2
	v_bfrev_b32_e32 v7, 1
	s_mov_b32 s15, exec_lo
	v_cmpx_ne_u32_e32 0x80, v0
	s_cbranch_execz .LBB6_854
; %bb.847:                              ;   in Loop: Header=BB6_130 Depth=2
	v_and_b32_e32 v7, 0x7c000000, v38
	v_bfe_u32 v8, v38, 24, 2
	s_delay_alu instid0(VALU_DEP_2) | instskip(SKIP_1) | instid1(SALU_CYCLE_1)
	v_cmp_ne_u32_e32 vcc_lo, 0x7c000000, v7
                                        ; implicit-def: $vgpr7
	s_and_saveexec_b32 s42, vcc_lo
	s_xor_b32 s42, exec_lo, s42
	s_cbranch_execz .LBB6_851
; %bb.848:                              ;   in Loop: Header=BB6_130 Depth=2
	v_bfe_u32 v7, v38, 26, 5
	s_mov_b32 s43, exec_lo
	s_delay_alu instid0(VALU_DEP_1)
	v_cmpx_eq_u32_e32 0, v7
; %bb.849:                              ;   in Loop: Header=BB6_130 Depth=2
	v_clz_i32_u32_e32 v7, v8
	s_delay_alu instid0(VALU_DEP_1) | instskip(NEXT) | instid1(VALU_DEP_1)
	v_min_u32_e32 v7, 32, v7
	v_subrev_nc_u32_e32 v8, 29, v7
	s_delay_alu instid0(VALU_DEP_1) | instskip(NEXT) | instid1(VALU_DEP_1)
	v_lshlrev_b64_e32 v[8:9], v8, v[0:1]
	v_dual_sub_nc_u32 v7, 30, v7 :: v_dual_bitop2_b32 v8, 3, v8 bitop3:0x40
; %bb.850:                              ;   in Loop: Header=BB6_130 Depth=2
	s_or_b32 exec_lo, exec_lo, s43
	v_and_b32_e32 v9, 0x80000000, v38
	s_delay_alu instid0(VALU_DEP_1) | instskip(NEXT) | instid1(VALU_DEP_1)
	v_lshl_add_u32 v7, v7, 23, v9
	v_lshl_or_b32 v7, v8, 21, v7
                                        ; implicit-def: $vgpr8
	s_delay_alu instid0(VALU_DEP_1)
	v_add_nc_u32_e32 v7, 0x38000000, v7
.LBB6_851:                              ;   in Loop: Header=BB6_130 Depth=2
	s_and_not1_saveexec_b32 s42, s42
; %bb.852:                              ;   in Loop: Header=BB6_130 Depth=2
	v_cmp_lt_i32_e32 vcc_lo, -1, v38
	v_cndmask_b32_e32 v7, 0xff800000, v62, vcc_lo
	v_cmp_eq_u32_e32 vcc_lo, 0, v8
	s_delay_alu instid0(VALU_DEP_2)
	v_cndmask_b32_e32 v7, 0x7f800001, v7, vcc_lo
; %bb.853:                              ;   in Loop: Header=BB6_130 Depth=2
	s_or_b32 exec_lo, exec_lo, s42
.LBB6_854:                              ;   in Loop: Header=BB6_130 Depth=2
	s_delay_alu instid0(SALU_CYCLE_1)
	s_or_b32 exec_lo, exec_lo, s15
.LBB6_855:                              ;   in Loop: Header=BB6_130 Depth=2
	s_delay_alu instid0(SALU_CYCLE_1) | instskip(NEXT) | instid1(VALU_DEP_1)
	s_or_b32 exec_lo, exec_lo, s11
	v_dual_max_num_f32 v7, v7, v7 :: v_dual_max_num_f32 v1, v1, v1
	s_mov_b32 s11, 0
	s_delay_alu instid0(VALU_DEP_1)
	v_max_num_f32_e32 v1, v1, v7
.LBB6_856:                              ;   in Loop: Header=BB6_130 Depth=2
	s_and_b32 vcc_lo, exec_lo, s11
	s_cbranch_vccz .LBB6_878
; %bb.857:                              ;   in Loop: Header=BB6_130 Depth=2
	v_dual_mov_b32 v7, 0 :: v_dual_mov_b32 v1, 0
	s_and_saveexec_b32 s11, s10
	s_cbranch_execz .LBB6_867
; %bb.858:                              ;   in Loop: Header=BB6_130 Depth=2
	v_bfrev_b32_e32 v1, 1
	s_mov_b32 s10, exec_lo
	v_cmpx_ne_u32_e32 0x80, v6
	s_cbranch_execz .LBB6_866
; %bb.859:                              ;   in Loop: Header=BB6_130 Depth=2
	v_and_b32_e32 v1, 0x7c000000, v50
	v_bfe_u32 v8, v50, 24, 2
	s_delay_alu instid0(VALU_DEP_2) | instskip(SKIP_1) | instid1(SALU_CYCLE_1)
	v_cmp_ne_u32_e32 vcc_lo, 0x7c000000, v1
                                        ; implicit-def: $vgpr1
	s_and_saveexec_b32 s15, vcc_lo
	s_xor_b32 s15, exec_lo, s15
	s_cbranch_execz .LBB6_863
; %bb.860:                              ;   in Loop: Header=BB6_130 Depth=2
	v_bfe_u32 v1, v50, 26, 5
	s_mov_b32 s42, exec_lo
	s_delay_alu instid0(VALU_DEP_1)
	v_cmpx_eq_u32_e32 0, v1
; %bb.861:                              ;   in Loop: Header=BB6_130 Depth=2
	v_clz_i32_u32_e32 v1, v8
	s_delay_alu instid0(VALU_DEP_1) | instskip(NEXT) | instid1(VALU_DEP_1)
	v_min_u32_e32 v1, 32, v1
	v_subrev_nc_u32_e32 v8, 29, v1
	s_delay_alu instid0(VALU_DEP_1) | instskip(NEXT) | instid1(VALU_DEP_1)
	v_lshlrev_b64_e32 v[8:9], v8, v[6:7]
	v_dual_sub_nc_u32 v1, 30, v1 :: v_dual_bitop2_b32 v8, 3, v8 bitop3:0x40
; %bb.862:                              ;   in Loop: Header=BB6_130 Depth=2
	s_or_b32 exec_lo, exec_lo, s42
	v_and_b32_e32 v6, 0x80000000, v50
	s_delay_alu instid0(VALU_DEP_1) | instskip(NEXT) | instid1(VALU_DEP_1)
	v_lshl_add_u32 v1, v1, 23, v6
	v_lshl_or_b32 v1, v8, 21, v1
                                        ; implicit-def: $vgpr8
	s_delay_alu instid0(VALU_DEP_1)
	v_add_nc_u32_e32 v1, 0x38000000, v1
.LBB6_863:                              ;   in Loop: Header=BB6_130 Depth=2
	s_and_not1_saveexec_b32 s15, s15
; %bb.864:                              ;   in Loop: Header=BB6_130 Depth=2
	v_cmp_lt_i32_e32 vcc_lo, -1, v50
	v_cndmask_b32_e32 v1, 0xff800000, v62, vcc_lo
	v_cmp_eq_u32_e32 vcc_lo, 0, v8
	s_delay_alu instid0(VALU_DEP_2)
	v_cndmask_b32_e32 v1, 0x7f800001, v1, vcc_lo
; %bb.865:                              ;   in Loop: Header=BB6_130 Depth=2
	s_or_b32 exec_lo, exec_lo, s15
.LBB6_866:                              ;   in Loop: Header=BB6_130 Depth=2
	s_delay_alu instid0(SALU_CYCLE_1)
	s_or_b32 exec_lo, exec_lo, s10
.LBB6_867:                              ;   in Loop: Header=BB6_130 Depth=2
	s_delay_alu instid0(SALU_CYCLE_1) | instskip(NEXT) | instid1(SALU_CYCLE_1)
	s_or_b32 exec_lo, exec_lo, s11
	s_mov_b32 s10, exec_lo
	v_cmpx_lt_u32_e32 0xffffff, v38
	s_cbranch_execz .LBB6_877
; %bb.868:                              ;   in Loop: Header=BB6_130 Depth=2
	v_bfrev_b32_e32 v7, 1
	s_mov_b32 s11, exec_lo
	v_cmpx_ne_u32_e32 0x80, v0
	s_cbranch_execz .LBB6_876
; %bb.869:                              ;   in Loop: Header=BB6_130 Depth=2
	v_and_b32_e32 v7, 0x7c000000, v38
	v_bfe_u32 v6, v38, 24, 2
	s_delay_alu instid0(VALU_DEP_2) | instskip(SKIP_1) | instid1(SALU_CYCLE_1)
	v_cmp_ne_u32_e32 vcc_lo, 0x7c000000, v7
                                        ; implicit-def: $vgpr7
	s_and_saveexec_b32 s15, vcc_lo
	s_xor_b32 s15, exec_lo, s15
	s_cbranch_execz .LBB6_873
; %bb.870:                              ;   in Loop: Header=BB6_130 Depth=2
	v_bfe_u32 v7, v38, 26, 5
	s_mov_b32 s42, exec_lo
	s_delay_alu instid0(VALU_DEP_1)
	v_cmpx_eq_u32_e32 0, v7
; %bb.871:                              ;   in Loop: Header=BB6_130 Depth=2
	v_clz_i32_u32_e32 v6, v6
	s_delay_alu instid0(VALU_DEP_1) | instskip(NEXT) | instid1(VALU_DEP_1)
	v_min_u32_e32 v8, 32, v6
	v_subrev_nc_u32_e32 v6, 29, v8
	s_delay_alu instid0(VALU_DEP_1) | instskip(NEXT) | instid1(VALU_DEP_1)
	v_lshlrev_b64_e32 v[6:7], v6, v[0:1]
	v_dual_sub_nc_u32 v7, 30, v8 :: v_dual_bitop2_b32 v6, 3, v6 bitop3:0x40
; %bb.872:                              ;   in Loop: Header=BB6_130 Depth=2
	s_or_b32 exec_lo, exec_lo, s42
	v_and_b32_e32 v0, 0x80000000, v38
	s_delay_alu instid0(VALU_DEP_1) | instskip(NEXT) | instid1(VALU_DEP_1)
	v_lshl_add_u32 v0, v7, 23, v0
	v_lshl_or_b32 v0, v6, 21, v0
                                        ; implicit-def: $vgpr6
	s_delay_alu instid0(VALU_DEP_1)
	v_add_nc_u32_e32 v7, 0x38000000, v0
.LBB6_873:                              ;   in Loop: Header=BB6_130 Depth=2
	s_and_not1_saveexec_b32 s15, s15
; %bb.874:                              ;   in Loop: Header=BB6_130 Depth=2
	v_cmp_lt_i32_e32 vcc_lo, -1, v38
	v_cndmask_b32_e32 v0, 0xff800000, v62, vcc_lo
	v_cmp_eq_u32_e32 vcc_lo, 0, v6
	s_delay_alu instid0(VALU_DEP_2)
	v_cndmask_b32_e32 v7, 0x7f800001, v0, vcc_lo
; %bb.875:                              ;   in Loop: Header=BB6_130 Depth=2
	s_or_b32 exec_lo, exec_lo, s15
.LBB6_876:                              ;   in Loop: Header=BB6_130 Depth=2
	s_delay_alu instid0(SALU_CYCLE_1)
	s_or_b32 exec_lo, exec_lo, s11
.LBB6_877:                              ;   in Loop: Header=BB6_130 Depth=2
	s_delay_alu instid0(SALU_CYCLE_1) | instskip(NEXT) | instid1(VALU_DEP_1)
	s_or_b32 exec_lo, exec_lo, s10
	v_dual_max_num_f32 v0, v7, v7 :: v_dual_max_num_f32 v1, v1, v1
	s_delay_alu instid0(VALU_DEP_1)
	v_min_num_f32_e32 v1, v1, v0
.LBB6_878:                              ;   in Loop: Header=BB6_130 Depth=2
	s_delay_alu instid0(VALU_DEP_1) | instskip(SKIP_3) | instid1(VALU_DEP_2)
	v_and_b32_e32 v6, 0x7f800000, v1
	v_dual_mov_b32 v7, v25 :: v_dual_lshrrev_b32 v0, 24, v1
	v_and_b32_e32 v24, 0x7fffff, v1
                                        ; implicit-def: $vgpr64
	s_mov_b32 s10, exec_lo
	v_cmpx_ne_u64_e32 0x7f800000, v[6:7]
	s_xor_b32 s11, exec_lo, s10
	s_cbranch_execz .LBB6_892
; %bb.879:                              ;   in Loop: Header=BB6_130 Depth=2
	v_and_b32_e32 v6, 0x7fffffff, v1
	v_mov_b32_e32 v7, v25
	v_and_b32_e32 v8, 0x80, v0
                                        ; implicit-def: $vgpr64
	s_mov_b32 s10, exec_lo
	s_delay_alu instid0(VALU_DEP_2)
	v_cmpx_gt_u64_e32 0x47600001, v[6:7]
	s_xor_b32 s15, exec_lo, s10
	s_cbranch_execz .LBB6_889
; %bb.880:                              ;   in Loop: Header=BB6_130 Depth=2
	v_mov_b32_e32 v64, 0
	s_mov_b32 s42, exec_lo
	v_cmpx_ne_u32_e32 0, v1
	s_cbranch_execz .LBB6_888
; %bb.881:                              ;   in Loop: Header=BB6_130 Depth=2
	v_bfe_u32 v9, v1, 23, 8
	v_or_b32_e32 v6, 0x800000, v24
	s_delay_alu instid0(VALU_DEP_2) | instskip(SKIP_1) | instid1(VALU_DEP_2)
	v_sub_nc_u32_e32 v0, 0x71, v9
	v_cmp_gt_u32_e32 vcc_lo, 0x72, v9
	v_cndmask_b32_e32 v0, 0, v0, vcc_lo
	v_cmp_eq_u32_e32 vcc_lo, 0, v9
	s_delay_alu instid0(VALU_DEP_2) | instskip(SKIP_1) | instid1(VALU_DEP_2)
	v_cndmask_b32_e64 v64, v0, 0x70, vcc_lo
	v_cndmask_b32_e32 v24, v6, v24, vcc_lo
	v_dual_add_nc_u32 v0, 21, v64 :: v_dual_add_nc_u32 v7, 20, v64
	s_delay_alu instid0(VALU_DEP_1) | instskip(NEXT) | instid1(VALU_DEP_2)
	v_lshlrev_b64_e64 v[0:1], v0, -1
	v_lshlrev_b64_e64 v[6:7], v7, 1
	s_delay_alu instid0(VALU_DEP_2) | instskip(NEXT) | instid1(VALU_DEP_3)
	v_bfi_b32 v67, v1, 0, 0
	v_bfi_b32 v66, v0, 0, v24
	v_lshrrev_b64 v[0:1], v64, v[24:25]
	s_delay_alu instid0(VALU_DEP_2) | instskip(NEXT) | instid1(VALU_DEP_2)
	v_cmp_eq_u64_e64 s10, v[66:67], v[6:7]
	v_mov_b64_e32 v[6:7], v[0:1]
	s_and_saveexec_b32 s43, s10
; %bb.882:                              ;   in Loop: Header=BB6_130 Depth=2
	v_bfe_u32 v24, v0, 21, 1
	s_delay_alu instid0(VALU_DEP_1) | instskip(NEXT) | instid1(VALU_DEP_1)
	v_add_nc_u64_e32 v[6:7], v[0:1], v[24:25]
	v_add_nc_u64_e32 v[6:7], -1, v[6:7]
; %bb.883:                              ;   in Loop: Header=BB6_130 Depth=2
	s_or_b32 exec_lo, exec_lo, s43
	v_add_nc_u32_e32 v1, 0xffffff81, v9
	v_lshrrev_b32_e32 v7, 23, v0
	s_mov_b32 s10, exec_lo
	s_delay_alu instid0(VALU_DEP_2) | instskip(NEXT) | instid1(VALU_DEP_1)
	v_cndmask_b32_e64 v1, v1, 0xffffff82, vcc_lo
	v_add3_u32 v7, v64, v1, v7
	v_and_b32_e32 v1, 0x1fffff, v6
                                        ; implicit-def: $vgpr6
	s_delay_alu instid0(VALU_DEP_1) | instskip(NEXT) | instid1(VALU_DEP_1)
	v_dual_add_nc_u32 v9, 14, v7 :: v_dual_add_nc_u32 v24, v1, v0
                                        ; implicit-def: $vgpr0_vgpr1
	v_cmpx_ne_u32_e32 0, v9
	s_xor_b32 s10, exec_lo, s10
; %bb.884:                              ;   in Loop: Header=BB6_130 Depth=2
	s_delay_alu instid0(VALU_DEP_2) | instskip(SKIP_1) | instid1(VALU_DEP_1)
	v_cmp_lt_u64_e32 vcc_lo, 0xffffff, v[24:25]
	v_add_nc_u32_e32 v0, 15, v7
	v_cndmask_b32_e32 v6, v9, v0, vcc_lo
	v_cndmask_b32_e64 v0, 0, 1, vcc_lo
	s_delay_alu instid0(VALU_DEP_1)
	v_lshrrev_b64 v[0:1], v0, v[24:25]
; %bb.885:                              ;   in Loop: Header=BB6_130 Depth=2
	s_and_not1_saveexec_b32 s10, s10
; %bb.886:                              ;   in Loop: Header=BB6_130 Depth=2
	v_mov_b64_e32 v[0:1], v[24:25]
	v_bfe_u32 v6, v24, 23, 1
; %bb.887:                              ;   in Loop: Header=BB6_130 Depth=2
	s_or_b32 exec_lo, exec_lo, s10
	s_delay_alu instid0(VALU_DEP_2) | instskip(NEXT) | instid1(VALU_DEP_2)
	v_lshrrev_b64 v[0:1], 21, v[0:1]
	v_cmp_gt_i32_e32 vcc_lo, 32, v6
	v_min_i32_e32 v7, 31, v6
	v_cmp_eq_u32_e64 s10, 0, v6
	s_delay_alu instid0(VALU_DEP_2) | instskip(SKIP_1) | instid1(VALU_DEP_2)
	v_dual_cndmask_b32 v1, 0, v1, vcc_lo :: v_dual_lshlrev_b32 v7, 2, v7
	v_cndmask_b32_e32 v0, 3, v0, vcc_lo
	v_and_b32_e32 v7, 0xfc, v7
	s_delay_alu instid0(VALU_DEP_2) | instskip(NEXT) | instid1(VALU_DEP_2)
	v_cmp_eq_u64_e32 vcc_lo, 0, v[0:1]
	v_and_or_b32 v0, v0, 3, v7
	s_and_b32 s10, s10, vcc_lo
	s_delay_alu instid0(VALU_DEP_1) | instid1(SALU_CYCLE_1)
	v_cndmask_b32_e64 v0, v0, 0, s10
	s_delay_alu instid0(VALU_DEP_1)
	v_or_b32_e32 v64, v0, v8
.LBB6_888:                              ;   in Loop: Header=BB6_130 Depth=2
	s_or_b32 exec_lo, exec_lo, s42
                                        ; implicit-def: $vgpr8
.LBB6_889:                              ;   in Loop: Header=BB6_130 Depth=2
	s_and_not1_saveexec_b32 s10, s15
; %bb.890:                              ;   in Loop: Header=BB6_130 Depth=2
	v_or_b32_e32 v64, 0x7b, v8
; %bb.891:                              ;   in Loop: Header=BB6_130 Depth=2
	s_or_b32 exec_lo, exec_lo, s10
                                        ; implicit-def: $vgpr1
                                        ; implicit-def: $vgpr0
.LBB6_892:                              ;   in Loop: Header=BB6_130 Depth=2
	s_and_not1_saveexec_b32 s10, s11
	s_cbranch_execz .LBB6_898
; %bb.893:                              ;   in Loop: Header=BB6_130 Depth=2
	s_mov_b32 s11, exec_lo
                                        ; implicit-def: $vgpr64
	v_cmpx_ne_u64_e32 0, v[24:25]
	s_xor_b32 s11, exec_lo, s11
; %bb.894:                              ;   in Loop: Header=BB6_130 Depth=2
	v_or_b32_e32 v64, 0x7f, v0
                                        ; implicit-def: $vgpr1
; %bb.895:                              ;   in Loop: Header=BB6_130 Depth=2
	s_and_not1_saveexec_b32 s11, s11
; %bb.896:                              ;   in Loop: Header=BB6_130 Depth=2
	v_cmp_lt_i32_e32 vcc_lo, -1, v1
	v_cndmask_b32_e32 v64, 0xfc, v93, vcc_lo
; %bb.897:                              ;   in Loop: Header=BB6_130 Depth=2
	s_or_b32 exec_lo, exec_lo, s11
.LBB6_898:                              ;   in Loop: Header=BB6_130 Depth=2
	s_delay_alu instid0(SALU_CYCLE_1) | instskip(SKIP_4) | instid1(VALU_DEP_3)
	s_or_b32 exec_lo, exec_lo, s10
	v_and_b32_e32 v6, 0xff, v51
	v_dual_mov_b32 v24, v51 :: v_dual_mov_b32 v0, v39
	v_mov_b32_e32 v1, v25
	s_and_b32 vcc_lo, exec_lo, s14
	v_cmp_ne_u16_e64 s10, 0, v6
	s_mov_b32 s11, -1
                                        ; implicit-def: $vgpr8
	s_cbranch_vccz .LBB6_920
; %bb.899:                              ;   in Loop: Header=BB6_130 Depth=2
	v_dual_mov_b32 v8, 0 :: v_dual_mov_b32 v7, 0
	s_and_saveexec_b32 s11, s10
	s_cbranch_execz .LBB6_909
; %bb.900:                              ;   in Loop: Header=BB6_130 Depth=2
	v_bfrev_b32_e32 v7, 1
	s_mov_b32 s15, exec_lo
	v_cmpx_ne_u16_e32 0x80, v6
	s_cbranch_execz .LBB6_908
; %bb.901:                              ;   in Loop: Header=BB6_130 Depth=2
	v_and_b32_e32 v7, 0x7c, v51
	v_and_b32_e32 v9, 3, v51
	s_delay_alu instid0(VALU_DEP_2) | instskip(SKIP_1) | instid1(SALU_CYCLE_1)
	v_cmp_ne_u32_e32 vcc_lo, 0x7c, v7
                                        ; implicit-def: $vgpr7
	s_and_saveexec_b32 s42, vcc_lo
	s_xor_b32 s42, exec_lo, s42
	s_cbranch_execz .LBB6_905
; %bb.902:                              ;   in Loop: Header=BB6_130 Depth=2
	v_bfe_u32 v7, v51, 2, 5
	s_mov_b32 s43, exec_lo
	s_delay_alu instid0(VALU_DEP_1)
	v_cmpx_eq_u32_e32 0, v7
; %bb.903:                              ;   in Loop: Header=BB6_130 Depth=2
	v_clz_i32_u32_e32 v7, v9
	s_delay_alu instid0(VALU_DEP_1) | instskip(NEXT) | instid1(VALU_DEP_1)
	v_min_u32_e32 v7, 32, v7
	v_subrev_nc_u32_e32 v9, 29, v7
	s_delay_alu instid0(VALU_DEP_1) | instskip(NEXT) | instid1(VALU_DEP_1)
	v_lshlrev_b64_e32 v[66:67], v9, v[24:25]
	v_dual_sub_nc_u32 v7, 30, v7 :: v_dual_bitop2_b32 v9, 3, v66 bitop3:0x40
; %bb.904:                              ;   in Loop: Header=BB6_130 Depth=2
	s_or_b32 exec_lo, exec_lo, s43
	v_lshlrev_b32_e32 v65, 24, v51
	s_delay_alu instid0(VALU_DEP_1) | instskip(NEXT) | instid1(VALU_DEP_1)
	v_and_b32_e32 v65, 0x80000000, v65
	v_lshl_add_u32 v7, v7, 23, v65
	s_delay_alu instid0(VALU_DEP_1) | instskip(NEXT) | instid1(VALU_DEP_1)
	v_lshl_or_b32 v7, v9, 21, v7
                                        ; implicit-def: $vgpr9
	v_add_nc_u32_e32 v7, 0x38000000, v7
.LBB6_905:                              ;   in Loop: Header=BB6_130 Depth=2
	s_and_not1_saveexec_b32 s42, s42
; %bb.906:                              ;   in Loop: Header=BB6_130 Depth=2
	v_bfe_i32 v7, v51, 0, 8
	s_delay_alu instid0(VALU_DEP_1) | instskip(SKIP_2) | instid1(VALU_DEP_2)
	v_cmp_lt_i16_e32 vcc_lo, -1, v7
	v_cndmask_b32_e32 v7, 0xff800000, v62, vcc_lo
	v_cmp_eq_u32_e32 vcc_lo, 0, v9
	v_cndmask_b32_e32 v7, 0x7f800001, v7, vcc_lo
; %bb.907:                              ;   in Loop: Header=BB6_130 Depth=2
	s_or_b32 exec_lo, exec_lo, s42
.LBB6_908:                              ;   in Loop: Header=BB6_130 Depth=2
	s_delay_alu instid0(SALU_CYCLE_1)
	s_or_b32 exec_lo, exec_lo, s15
.LBB6_909:                              ;   in Loop: Header=BB6_130 Depth=2
	s_delay_alu instid0(SALU_CYCLE_1) | instskip(SKIP_2) | instid1(VALU_DEP_1)
	s_or_b32 exec_lo, exec_lo, s11
	v_and_b32_e32 v9, 0xff, v39
	s_mov_b32 s11, exec_lo
	v_cmpx_ne_u16_e32 0, v9
	s_cbranch_execz .LBB6_919
; %bb.910:                              ;   in Loop: Header=BB6_130 Depth=2
	v_bfrev_b32_e32 v8, 1
	s_mov_b32 s15, exec_lo
	v_cmpx_ne_u16_e32 0x80, v9
	s_cbranch_execz .LBB6_918
; %bb.911:                              ;   in Loop: Header=BB6_130 Depth=2
	v_and_b32_e32 v8, 0x7c, v39
	v_and_b32_e32 v9, 3, v39
	s_delay_alu instid0(VALU_DEP_2) | instskip(SKIP_1) | instid1(SALU_CYCLE_1)
	v_cmp_ne_u32_e32 vcc_lo, 0x7c, v8
                                        ; implicit-def: $vgpr8
	s_and_saveexec_b32 s42, vcc_lo
	s_xor_b32 s42, exec_lo, s42
	s_cbranch_execz .LBB6_915
; %bb.912:                              ;   in Loop: Header=BB6_130 Depth=2
	v_bfe_u32 v8, v39, 2, 5
	s_mov_b32 s43, exec_lo
	s_delay_alu instid0(VALU_DEP_1)
	v_cmpx_eq_u32_e32 0, v8
; %bb.913:                              ;   in Loop: Header=BB6_130 Depth=2
	v_clz_i32_u32_e32 v8, v9
	s_delay_alu instid0(VALU_DEP_1) | instskip(NEXT) | instid1(VALU_DEP_1)
	v_min_u32_e32 v8, 32, v8
	v_subrev_nc_u32_e32 v9, 29, v8
	s_delay_alu instid0(VALU_DEP_1) | instskip(NEXT) | instid1(VALU_DEP_1)
	v_lshlrev_b64_e32 v[66:67], v9, v[0:1]
	v_dual_sub_nc_u32 v8, 30, v8 :: v_dual_bitop2_b32 v9, 3, v66 bitop3:0x40
; %bb.914:                              ;   in Loop: Header=BB6_130 Depth=2
	s_or_b32 exec_lo, exec_lo, s43
	v_lshlrev_b32_e32 v65, 24, v39
	s_delay_alu instid0(VALU_DEP_1) | instskip(NEXT) | instid1(VALU_DEP_1)
	v_and_b32_e32 v65, 0x80000000, v65
	v_lshl_add_u32 v8, v8, 23, v65
	s_delay_alu instid0(VALU_DEP_1) | instskip(NEXT) | instid1(VALU_DEP_1)
	v_lshl_or_b32 v8, v9, 21, v8
                                        ; implicit-def: $vgpr9
	v_add_nc_u32_e32 v8, 0x38000000, v8
.LBB6_915:                              ;   in Loop: Header=BB6_130 Depth=2
	s_and_not1_saveexec_b32 s42, s42
; %bb.916:                              ;   in Loop: Header=BB6_130 Depth=2
	v_bfe_i32 v8, v39, 0, 8
	s_delay_alu instid0(VALU_DEP_1) | instskip(SKIP_2) | instid1(VALU_DEP_2)
	v_cmp_lt_i16_e32 vcc_lo, -1, v8
	v_cndmask_b32_e32 v8, 0xff800000, v62, vcc_lo
	v_cmp_eq_u32_e32 vcc_lo, 0, v9
	v_cndmask_b32_e32 v8, 0x7f800001, v8, vcc_lo
; %bb.917:                              ;   in Loop: Header=BB6_130 Depth=2
	s_or_b32 exec_lo, exec_lo, s42
.LBB6_918:                              ;   in Loop: Header=BB6_130 Depth=2
	s_delay_alu instid0(SALU_CYCLE_1)
	s_or_b32 exec_lo, exec_lo, s15
.LBB6_919:                              ;   in Loop: Header=BB6_130 Depth=2
	s_delay_alu instid0(SALU_CYCLE_1) | instskip(NEXT) | instid1(VALU_DEP_1)
	s_or_b32 exec_lo, exec_lo, s11
	v_dual_max_num_f32 v8, v8, v8 :: v_dual_max_num_f32 v7, v7, v7
	s_mov_b32 s11, 0
	s_delay_alu instid0(VALU_DEP_1)
	v_max_num_f32_e32 v8, v7, v8
.LBB6_920:                              ;   in Loop: Header=BB6_130 Depth=2
	s_and_b32 vcc_lo, exec_lo, s11
	s_cbranch_vccz .LBB6_942
; %bb.921:                              ;   in Loop: Header=BB6_130 Depth=2
	v_dual_mov_b32 v8, 0 :: v_dual_mov_b32 v7, 0
	s_and_saveexec_b32 s11, s10
	s_cbranch_execz .LBB6_931
; %bb.922:                              ;   in Loop: Header=BB6_130 Depth=2
	v_bfrev_b32_e32 v7, 1
	s_mov_b32 s10, exec_lo
	v_cmpx_ne_u16_e32 0x80, v6
	s_cbranch_execz .LBB6_930
; %bb.923:                              ;   in Loop: Header=BB6_130 Depth=2
	v_and_b32_e32 v7, 0x7c, v51
	v_and_b32_e32 v6, 3, v51
	s_delay_alu instid0(VALU_DEP_2) | instskip(SKIP_1) | instid1(SALU_CYCLE_1)
	v_cmp_ne_u32_e32 vcc_lo, 0x7c, v7
                                        ; implicit-def: $vgpr7
	s_and_saveexec_b32 s15, vcc_lo
	s_xor_b32 s15, exec_lo, s15
	s_cbranch_execz .LBB6_927
; %bb.924:                              ;   in Loop: Header=BB6_130 Depth=2
	v_bfe_u32 v7, v51, 2, 5
	s_mov_b32 s42, exec_lo
	s_delay_alu instid0(VALU_DEP_1)
	v_cmpx_eq_u32_e32 0, v7
; %bb.925:                              ;   in Loop: Header=BB6_130 Depth=2
	v_clz_i32_u32_e32 v6, v6
	s_delay_alu instid0(VALU_DEP_1) | instskip(NEXT) | instid1(VALU_DEP_1)
	v_min_u32_e32 v9, 32, v6
	v_subrev_nc_u32_e32 v6, 29, v9
	s_delay_alu instid0(VALU_DEP_1) | instskip(NEXT) | instid1(VALU_DEP_1)
	v_lshlrev_b64_e32 v[6:7], v6, v[24:25]
	v_dual_sub_nc_u32 v7, 30, v9 :: v_dual_bitop2_b32 v6, 3, v6 bitop3:0x40
; %bb.926:                              ;   in Loop: Header=BB6_130 Depth=2
	s_or_b32 exec_lo, exec_lo, s42
	v_lshlrev_b32_e32 v9, 24, v51
	s_delay_alu instid0(VALU_DEP_1) | instskip(NEXT) | instid1(VALU_DEP_1)
	v_and_b32_e32 v9, 0x80000000, v9
	v_lshl_add_u32 v7, v7, 23, v9
	s_delay_alu instid0(VALU_DEP_1) | instskip(NEXT) | instid1(VALU_DEP_1)
	v_lshl_or_b32 v6, v6, 21, v7
	v_add_nc_u32_e32 v7, 0x38000000, v6
                                        ; implicit-def: $vgpr6
.LBB6_927:                              ;   in Loop: Header=BB6_130 Depth=2
	s_and_not1_saveexec_b32 s15, s15
; %bb.928:                              ;   in Loop: Header=BB6_130 Depth=2
	v_bfe_i32 v7, v51, 0, 8
	s_delay_alu instid0(VALU_DEP_1) | instskip(SKIP_2) | instid1(VALU_DEP_2)
	v_cmp_lt_i16_e32 vcc_lo, -1, v7
	v_cndmask_b32_e32 v7, 0xff800000, v62, vcc_lo
	v_cmp_eq_u32_e32 vcc_lo, 0, v6
	v_cndmask_b32_e32 v7, 0x7f800001, v7, vcc_lo
; %bb.929:                              ;   in Loop: Header=BB6_130 Depth=2
	s_or_b32 exec_lo, exec_lo, s15
.LBB6_930:                              ;   in Loop: Header=BB6_130 Depth=2
	s_delay_alu instid0(SALU_CYCLE_1)
	s_or_b32 exec_lo, exec_lo, s10
.LBB6_931:                              ;   in Loop: Header=BB6_130 Depth=2
	s_delay_alu instid0(SALU_CYCLE_1) | instskip(SKIP_2) | instid1(VALU_DEP_1)
	s_or_b32 exec_lo, exec_lo, s11
	v_and_b32_e32 v6, 0xff, v39
	s_mov_b32 s10, exec_lo
	v_cmpx_ne_u16_e32 0, v6
	s_cbranch_execz .LBB6_941
; %bb.932:                              ;   in Loop: Header=BB6_130 Depth=2
	v_bfrev_b32_e32 v8, 1
	s_mov_b32 s11, exec_lo
	v_cmpx_ne_u16_e32 0x80, v6
	s_cbranch_execz .LBB6_940
; %bb.933:                              ;   in Loop: Header=BB6_130 Depth=2
	v_and_b32_e32 v8, 0x7c, v39
	v_and_b32_e32 v6, 3, v39
	s_delay_alu instid0(VALU_DEP_2) | instskip(SKIP_1) | instid1(SALU_CYCLE_1)
	v_cmp_ne_u32_e32 vcc_lo, 0x7c, v8
                                        ; implicit-def: $vgpr8
	s_and_saveexec_b32 s15, vcc_lo
	s_xor_b32 s15, exec_lo, s15
	s_cbranch_execz .LBB6_937
; %bb.934:                              ;   in Loop: Header=BB6_130 Depth=2
	v_bfe_u32 v8, v39, 2, 5
	s_mov_b32 s42, exec_lo
	s_delay_alu instid0(VALU_DEP_1)
	v_cmpx_eq_u32_e32 0, v8
; %bb.935:                              ;   in Loop: Header=BB6_130 Depth=2
	v_clz_i32_u32_e32 v6, v6
	s_delay_alu instid0(VALU_DEP_1) | instskip(NEXT) | instid1(VALU_DEP_1)
	v_min_u32_e32 v6, 32, v6
	v_subrev_nc_u32_e32 v8, 29, v6
	s_delay_alu instid0(VALU_DEP_1) | instskip(SKIP_1) | instid1(VALU_DEP_2)
	v_lshlrev_b64_e32 v[66:67], v8, v[0:1]
	v_sub_nc_u32_e32 v8, 30, v6
	v_and_b32_e32 v6, 3, v66
; %bb.936:                              ;   in Loop: Header=BB6_130 Depth=2
	s_or_b32 exec_lo, exec_lo, s42
	v_lshlrev_b32_e32 v1, 24, v39
	s_delay_alu instid0(VALU_DEP_1) | instskip(NEXT) | instid1(VALU_DEP_1)
	v_and_b32_e32 v1, 0x80000000, v1
	v_lshl_add_u32 v1, v8, 23, v1
	s_delay_alu instid0(VALU_DEP_1) | instskip(NEXT) | instid1(VALU_DEP_1)
	v_lshl_or_b32 v1, v6, 21, v1
                                        ; implicit-def: $vgpr6
	v_add_nc_u32_e32 v8, 0x38000000, v1
.LBB6_937:                              ;   in Loop: Header=BB6_130 Depth=2
	s_and_not1_saveexec_b32 s15, s15
; %bb.938:                              ;   in Loop: Header=BB6_130 Depth=2
	v_bfe_i32 v1, v39, 0, 8
	s_delay_alu instid0(VALU_DEP_1) | instskip(SKIP_2) | instid1(VALU_DEP_2)
	v_cmp_lt_i16_e32 vcc_lo, -1, v1
	v_cndmask_b32_e32 v1, 0xff800000, v62, vcc_lo
	v_cmp_eq_u32_e32 vcc_lo, 0, v6
	v_cndmask_b32_e32 v8, 0x7f800001, v1, vcc_lo
; %bb.939:                              ;   in Loop: Header=BB6_130 Depth=2
	s_or_b32 exec_lo, exec_lo, s15
.LBB6_940:                              ;   in Loop: Header=BB6_130 Depth=2
	s_delay_alu instid0(SALU_CYCLE_1)
	s_or_b32 exec_lo, exec_lo, s11
.LBB6_941:                              ;   in Loop: Header=BB6_130 Depth=2
	s_delay_alu instid0(SALU_CYCLE_1) | instskip(NEXT) | instid1(VALU_DEP_1)
	s_or_b32 exec_lo, exec_lo, s10
	v_dual_max_num_f32 v1, v8, v8 :: v_dual_max_num_f32 v6, v7, v7
	s_delay_alu instid0(VALU_DEP_1)
	v_min_num_f32_e32 v8, v6, v1
.LBB6_942:                              ;   in Loop: Header=BB6_130 Depth=2
	s_delay_alu instid0(VALU_DEP_1) | instskip(SKIP_4) | instid1(VALU_DEP_3)
	v_and_b32_e32 v66, 0x7f800000, v8
	v_dual_mov_b32 v67, v25 :: v_dual_mov_b32 v7, v25
	v_and_b32_e32 v6, 0x7fffff, v8
	v_lshrrev_b32_e32 v1, 24, v8
                                        ; implicit-def: $vgpr65
	s_mov_b32 s10, exec_lo
	v_cmpx_ne_u64_e32 0x7f800000, v[66:67]
	s_xor_b32 s11, exec_lo, s10
	s_cbranch_execz .LBB6_956
; %bb.943:                              ;   in Loop: Header=BB6_130 Depth=2
	v_and_b32_e32 v66, 0x7fffffff, v8
	v_mov_b32_e32 v67, v25
	v_and_b32_e32 v1, 0x80, v1
                                        ; implicit-def: $vgpr65
	s_mov_b32 s10, exec_lo
	s_delay_alu instid0(VALU_DEP_2)
	v_cmpx_gt_u64_e32 0x47600001, v[66:67]
	s_xor_b32 s15, exec_lo, s10
	s_cbranch_execz .LBB6_953
; %bb.944:                              ;   in Loop: Header=BB6_130 Depth=2
	v_mov_b32_e32 v65, 0
	s_mov_b32 s42, exec_lo
	v_cmpx_ne_u32_e32 0, v8
	s_cbranch_execz .LBB6_952
; %bb.945:                              ;   in Loop: Header=BB6_130 Depth=2
	v_bfe_u32 v65, v8, 23, 8
	v_or_b32_e32 v67, 0x800000, v6
	s_delay_alu instid0(VALU_DEP_2) | instskip(SKIP_1) | instid1(VALU_DEP_2)
	v_sub_nc_u32_e32 v8, 0x71, v65
	v_cmp_gt_u32_e32 vcc_lo, 0x72, v65
	v_cndmask_b32_e32 v8, 0, v8, vcc_lo
	v_cmp_eq_u32_e32 vcc_lo, 0, v65
	s_delay_alu instid0(VALU_DEP_2) | instskip(SKIP_1) | instid1(VALU_DEP_2)
	v_cndmask_b32_e64 v66, v8, 0x70, vcc_lo
	v_cndmask_b32_e32 v6, v67, v6, vcc_lo
	v_dual_add_nc_u32 v8, 21, v66 :: v_dual_add_nc_u32 v68, 20, v66
	s_delay_alu instid0(VALU_DEP_1) | instskip(NEXT) | instid1(VALU_DEP_2)
	v_lshlrev_b64_e64 v[8:9], v8, -1
	v_lshlrev_b64_e64 v[68:69], v68, 1
	s_delay_alu instid0(VALU_DEP_2) | instskip(SKIP_1) | instid1(VALU_DEP_4)
	v_bfi_b32 v8, v8, 0, v6
	v_lshrrev_b64 v[6:7], v66, v[6:7]
	v_bfi_b32 v9, v9, 0, 0
	s_delay_alu instid0(VALU_DEP_1) | instskip(NEXT) | instid1(VALU_DEP_3)
	v_cmp_eq_u64_e64 s10, v[8:9], v[68:69]
	v_mov_b64_e32 v[8:9], v[6:7]
	s_and_saveexec_b32 s43, s10
; %bb.946:                              ;   in Loop: Header=BB6_130 Depth=2
	v_bfe_u32 v8, v6, 21, 1
	v_mov_b32_e32 v9, v25
	s_delay_alu instid0(VALU_DEP_1) | instskip(NEXT) | instid1(VALU_DEP_1)
	v_add_nc_u64_e32 v[8:9], v[6:7], v[8:9]
	v_add_nc_u64_e32 v[8:9], -1, v[8:9]
; %bb.947:                              ;   in Loop: Header=BB6_130 Depth=2
	s_or_b32 exec_lo, exec_lo, s43
	v_add_nc_u32_e32 v7, 0xffffff81, v65
	v_lshrrev_b32_e32 v9, 23, v6
	s_mov_b32 s10, exec_lo
	s_delay_alu instid0(VALU_DEP_2) | instskip(NEXT) | instid1(VALU_DEP_1)
	v_cndmask_b32_e64 v7, v7, 0xffffff82, vcc_lo
	v_add3_u32 v9, v66, v7, v9
	v_and_b32_e32 v7, 0x1fffff, v8
                                        ; implicit-def: $vgpr8
	s_delay_alu instid0(VALU_DEP_1) | instskip(SKIP_1) | instid1(VALU_DEP_2)
	v_dual_add_nc_u32 v65, 14, v9 :: v_dual_add_nc_u32 v6, v7, v6
	v_mov_b32_e32 v7, v25
	v_cmpx_ne_u32_e32 0, v65
	s_xor_b32 s10, exec_lo, s10
; %bb.948:                              ;   in Loop: Header=BB6_130 Depth=2
	s_delay_alu instid0(VALU_DEP_2) | instskip(SKIP_2) | instid1(VALU_DEP_2)
	v_cmp_lt_u64_e32 vcc_lo, 0xffffff, v[6:7]
	v_add_nc_u32_e32 v8, 15, v9
	v_cndmask_b32_e64 v9, 0, 1, vcc_lo
	v_cndmask_b32_e32 v8, v65, v8, vcc_lo
	s_delay_alu instid0(VALU_DEP_2)
	v_lshrrev_b64 v[6:7], v9, v[6:7]
; %bb.949:                              ;   in Loop: Header=BB6_130 Depth=2
	s_and_not1_saveexec_b32 s10, s10
; %bb.950:                              ;   in Loop: Header=BB6_130 Depth=2
	s_delay_alu instid0(VALU_DEP_1)
	v_bfe_u32 v8, v6, 23, 1
; %bb.951:                              ;   in Loop: Header=BB6_130 Depth=2
	s_or_b32 exec_lo, exec_lo, s10
	s_delay_alu instid0(VALU_DEP_2) | instskip(NEXT) | instid1(VALU_DEP_2)
	v_lshrrev_b64 v[6:7], 21, v[6:7]
	v_cmp_gt_i32_e32 vcc_lo, 32, v8
	v_min_i32_e32 v9, 31, v8
	v_cmp_eq_u32_e64 s10, 0, v8
	s_delay_alu instid0(VALU_DEP_2) | instskip(SKIP_1) | instid1(VALU_DEP_2)
	v_dual_cndmask_b32 v7, 0, v7, vcc_lo :: v_dual_lshlrev_b32 v9, 2, v9
	v_cndmask_b32_e32 v6, 3, v6, vcc_lo
	v_and_b32_e32 v9, 0xfc, v9
	s_delay_alu instid0(VALU_DEP_2) | instskip(NEXT) | instid1(VALU_DEP_2)
	v_cmp_eq_u64_e32 vcc_lo, 0, v[6:7]
	v_and_or_b32 v6, v6, 3, v9
	s_and_b32 s10, s10, vcc_lo
	s_delay_alu instid0(VALU_DEP_1) | instid1(SALU_CYCLE_1)
	v_cndmask_b32_e64 v6, v6, 0, s10
	s_delay_alu instid0(VALU_DEP_1)
	v_or_b32_e32 v65, v6, v1
.LBB6_952:                              ;   in Loop: Header=BB6_130 Depth=2
	s_or_b32 exec_lo, exec_lo, s42
                                        ; implicit-def: $vgpr1
.LBB6_953:                              ;   in Loop: Header=BB6_130 Depth=2
	s_and_not1_saveexec_b32 s10, s15
; %bb.954:                              ;   in Loop: Header=BB6_130 Depth=2
	v_or_b32_e32 v65, 0x7b, v1
; %bb.955:                              ;   in Loop: Header=BB6_130 Depth=2
	s_or_b32 exec_lo, exec_lo, s10
                                        ; implicit-def: $vgpr8
                                        ; implicit-def: $vgpr6_vgpr7
                                        ; implicit-def: $vgpr1
.LBB6_956:                              ;   in Loop: Header=BB6_130 Depth=2
	s_and_not1_saveexec_b32 s10, s11
	s_cbranch_execz .LBB6_962
; %bb.957:                              ;   in Loop: Header=BB6_130 Depth=2
	s_mov_b32 s11, exec_lo
                                        ; implicit-def: $vgpr65
	v_cmpx_ne_u64_e32 0, v[6:7]
	s_xor_b32 s11, exec_lo, s11
; %bb.958:                              ;   in Loop: Header=BB6_130 Depth=2
	v_or_b32_e32 v65, 0x7f, v1
                                        ; implicit-def: $vgpr8
; %bb.959:                              ;   in Loop: Header=BB6_130 Depth=2
	s_and_not1_saveexec_b32 s11, s11
; %bb.960:                              ;   in Loop: Header=BB6_130 Depth=2
	v_cmp_lt_i32_e32 vcc_lo, -1, v8
	v_cndmask_b32_e32 v65, 0xfc, v93, vcc_lo
; %bb.961:                              ;   in Loop: Header=BB6_130 Depth=2
	s_or_b32 exec_lo, exec_lo, s11
.LBB6_962:                              ;   in Loop: Header=BB6_130 Depth=2
	s_delay_alu instid0(SALU_CYCLE_1) | instskip(SKIP_4) | instid1(VALU_DEP_2)
	s_or_b32 exec_lo, exec_lo, s10
	v_lshrrev_b16 v8, 8, v24
	v_lshrrev_b16 v6, 8, v0
	s_and_b32 vcc_lo, exec_lo, s14
	s_mov_b32 s11, -1
                                        ; implicit-def: $vgpr7
	v_and_b32_e32 v1, 0xffff, v8
	v_cmp_ne_u16_e64 s10, 0, v8
	s_cbranch_vccz .LBB6_984
; %bb.963:                              ;   in Loop: Header=BB6_130 Depth=2
	v_dual_mov_b32 v7, 0 :: v_dual_mov_b32 v9, 0
	s_and_saveexec_b32 s11, s10
	s_cbranch_execz .LBB6_973
; %bb.964:                              ;   in Loop: Header=BB6_130 Depth=2
	v_bfrev_b32_e32 v9, 1
	s_mov_b32 s15, exec_lo
	v_cmpx_ne_u16_e32 0x80, v8
	s_cbranch_execz .LBB6_972
; %bb.965:                              ;   in Loop: Header=BB6_130 Depth=2
	v_and_b32_e32 v9, 0x7c, v1
	v_and_b32_e32 v66, 3, v1
	s_delay_alu instid0(VALU_DEP_2) | instskip(SKIP_1) | instid1(SALU_CYCLE_1)
	v_cmp_ne_u32_e32 vcc_lo, 0x7c, v9
                                        ; implicit-def: $vgpr9
	s_and_saveexec_b32 s42, vcc_lo
	s_xor_b32 s42, exec_lo, s42
	s_cbranch_execz .LBB6_969
; %bb.966:                              ;   in Loop: Header=BB6_130 Depth=2
	v_bfe_u32 v9, v1, 2, 5
	s_mov_b32 s43, exec_lo
	s_delay_alu instid0(VALU_DEP_1)
	v_cmpx_eq_u32_e32 0, v9
; %bb.967:                              ;   in Loop: Header=BB6_130 Depth=2
	v_clz_i32_u32_e32 v9, v66
	s_delay_alu instid0(VALU_DEP_1) | instskip(SKIP_1) | instid1(VALU_DEP_2)
	v_min_u32_e32 v68, 32, v9
	v_mov_b32_e32 v9, v25
	v_subrev_nc_u32_e32 v66, 29, v68
	s_delay_alu instid0(VALU_DEP_1) | instskip(NEXT) | instid1(VALU_DEP_1)
	v_lshlrev_b64_e32 v[66:67], v66, v[8:9]
	v_dual_sub_nc_u32 v9, 30, v68 :: v_dual_bitop2_b32 v66, 3, v66 bitop3:0x40
; %bb.968:                              ;   in Loop: Header=BB6_130 Depth=2
	s_or_b32 exec_lo, exec_lo, s43
	v_lshlrev_b32_e32 v67, 16, v24
	s_delay_alu instid0(VALU_DEP_1) | instskip(NEXT) | instid1(VALU_DEP_1)
	v_and_b32_e32 v67, 0x80000000, v67
	v_lshl_add_u32 v9, v9, 23, v67
	s_delay_alu instid0(VALU_DEP_1) | instskip(NEXT) | instid1(VALU_DEP_1)
	v_lshl_or_b32 v9, v66, 21, v9
                                        ; implicit-def: $vgpr66
	v_add_nc_u32_e32 v9, 0x38000000, v9
.LBB6_969:                              ;   in Loop: Header=BB6_130 Depth=2
	s_and_not1_saveexec_b32 s42, s42
; %bb.970:                              ;   in Loop: Header=BB6_130 Depth=2
	v_cmp_lt_i16_e32 vcc_lo, -1, v24
	v_cndmask_b32_e32 v9, 0xff800000, v62, vcc_lo
	v_cmp_eq_u32_e32 vcc_lo, 0, v66
	s_delay_alu instid0(VALU_DEP_2)
	v_cndmask_b32_e32 v9, 0x7f800001, v9, vcc_lo
; %bb.971:                              ;   in Loop: Header=BB6_130 Depth=2
	s_or_b32 exec_lo, exec_lo, s42
.LBB6_972:                              ;   in Loop: Header=BB6_130 Depth=2
	s_delay_alu instid0(SALU_CYCLE_1)
	s_or_b32 exec_lo, exec_lo, s15
.LBB6_973:                              ;   in Loop: Header=BB6_130 Depth=2
	s_delay_alu instid0(SALU_CYCLE_1) | instskip(NEXT) | instid1(SALU_CYCLE_1)
	s_or_b32 exec_lo, exec_lo, s11
	s_mov_b32 s11, exec_lo
	v_cmpx_ne_u16_e32 0, v6
	s_cbranch_execz .LBB6_983
; %bb.974:                              ;   in Loop: Header=BB6_130 Depth=2
	v_bfrev_b32_e32 v7, 1
	s_mov_b32 s15, exec_lo
	v_cmpx_ne_u16_e32 0x80, v6
	s_cbranch_execz .LBB6_982
; %bb.975:                              ;   in Loop: Header=BB6_130 Depth=2
	v_and_b32_e32 v67, 0xffff, v6
	s_delay_alu instid0(VALU_DEP_1) | instskip(SKIP_1) | instid1(VALU_DEP_2)
	v_and_b32_e32 v7, 0x7c, v67
	v_and_b32_e32 v66, 3, v67
	v_cmp_ne_u32_e32 vcc_lo, 0x7c, v7
                                        ; implicit-def: $vgpr7
	s_and_saveexec_b32 s42, vcc_lo
	s_delay_alu instid0(SALU_CYCLE_1)
	s_xor_b32 s42, exec_lo, s42
	s_cbranch_execz .LBB6_979
; %bb.976:                              ;   in Loop: Header=BB6_130 Depth=2
	v_bfe_u32 v7, v67, 2, 5
	s_mov_b32 s43, exec_lo
	s_delay_alu instid0(VALU_DEP_1)
	v_cmpx_eq_u32_e32 0, v7
; %bb.977:                              ;   in Loop: Header=BB6_130 Depth=2
	v_clz_i32_u32_e32 v7, v66
	s_delay_alu instid0(VALU_DEP_1) | instskip(SKIP_1) | instid1(VALU_DEP_2)
	v_min_u32_e32 v68, 32, v7
	v_mov_b32_e32 v7, v25
	v_subrev_nc_u32_e32 v66, 29, v68
	s_delay_alu instid0(VALU_DEP_1) | instskip(NEXT) | instid1(VALU_DEP_1)
	v_lshlrev_b64_e32 v[66:67], v66, v[6:7]
	v_dual_sub_nc_u32 v7, 30, v68 :: v_dual_bitop2_b32 v66, 3, v66 bitop3:0x40
; %bb.978:                              ;   in Loop: Header=BB6_130 Depth=2
	s_or_b32 exec_lo, exec_lo, s43
	v_lshlrev_b32_e32 v67, 16, v0
	s_delay_alu instid0(VALU_DEP_1) | instskip(NEXT) | instid1(VALU_DEP_1)
	v_and_b32_e32 v67, 0x80000000, v67
	v_lshl_add_u32 v7, v7, 23, v67
	s_delay_alu instid0(VALU_DEP_1) | instskip(NEXT) | instid1(VALU_DEP_1)
	v_lshl_or_b32 v7, v66, 21, v7
                                        ; implicit-def: $vgpr66
	v_add_nc_u32_e32 v7, 0x38000000, v7
.LBB6_979:                              ;   in Loop: Header=BB6_130 Depth=2
	s_and_not1_saveexec_b32 s42, s42
; %bb.980:                              ;   in Loop: Header=BB6_130 Depth=2
	v_cmp_lt_i16_e32 vcc_lo, -1, v0
	v_cndmask_b32_e32 v7, 0xff800000, v62, vcc_lo
	v_cmp_eq_u32_e32 vcc_lo, 0, v66
	s_delay_alu instid0(VALU_DEP_2)
	v_cndmask_b32_e32 v7, 0x7f800001, v7, vcc_lo
; %bb.981:                              ;   in Loop: Header=BB6_130 Depth=2
	s_or_b32 exec_lo, exec_lo, s42
.LBB6_982:                              ;   in Loop: Header=BB6_130 Depth=2
	s_delay_alu instid0(SALU_CYCLE_1)
	s_or_b32 exec_lo, exec_lo, s15
.LBB6_983:                              ;   in Loop: Header=BB6_130 Depth=2
	s_delay_alu instid0(SALU_CYCLE_1) | instskip(NEXT) | instid1(VALU_DEP_1)
	s_or_b32 exec_lo, exec_lo, s11
	v_dual_max_num_f32 v7, v7, v7 :: v_dual_max_num_f32 v9, v9, v9
	s_mov_b32 s11, 0
	s_delay_alu instid0(VALU_DEP_1)
	v_max_num_f32_e32 v7, v9, v7
.LBB6_984:                              ;   in Loop: Header=BB6_130 Depth=2
	s_and_b32 vcc_lo, exec_lo, s11
	s_cbranch_vccz .LBB6_1006
; %bb.985:                              ;   in Loop: Header=BB6_130 Depth=2
	v_dual_mov_b32 v7, 0 :: v_dual_mov_b32 v9, 0
	s_and_saveexec_b32 s11, s10
	s_cbranch_execz .LBB6_995
; %bb.986:                              ;   in Loop: Header=BB6_130 Depth=2
	v_bfrev_b32_e32 v9, 1
	s_mov_b32 s10, exec_lo
	v_cmpx_ne_u16_e32 0x80, v8
	s_cbranch_execz .LBB6_994
; %bb.987:                              ;   in Loop: Header=BB6_130 Depth=2
	v_and_b32_e32 v9, 0x7c, v1
	v_and_b32_e32 v66, 3, v1
	s_delay_alu instid0(VALU_DEP_2) | instskip(SKIP_1) | instid1(SALU_CYCLE_1)
	v_cmp_ne_u32_e32 vcc_lo, 0x7c, v9
                                        ; implicit-def: $vgpr9
	s_and_saveexec_b32 s15, vcc_lo
	s_xor_b32 s15, exec_lo, s15
	s_cbranch_execz .LBB6_991
; %bb.988:                              ;   in Loop: Header=BB6_130 Depth=2
	v_bfe_u32 v1, v1, 2, 5
	s_mov_b32 s42, exec_lo
	s_delay_alu instid0(VALU_DEP_1)
	v_cmpx_eq_u32_e32 0, v1
	s_cbranch_execz .LBB6_990
; %bb.989:                              ;   in Loop: Header=BB6_130 Depth=2
	v_clz_i32_u32_e32 v1, v66
	s_delay_alu instid0(VALU_DEP_1) | instskip(SKIP_1) | instid1(VALU_DEP_2)
	v_min_u32_e32 v1, 32, v1
	v_mov_b32_e32 v9, v25
	v_subrev_nc_u32_e32 v66, 29, v1
	v_sub_nc_u32_e32 v1, 30, v1
	s_delay_alu instid0(VALU_DEP_2) | instskip(NEXT) | instid1(VALU_DEP_1)
	v_lshlrev_b64_e32 v[8:9], v66, v[8:9]
	v_and_b32_e32 v66, 3, v8
.LBB6_990:                              ;   in Loop: Header=BB6_130 Depth=2
	s_or_b32 exec_lo, exec_lo, s42
	v_lshlrev_b32_e32 v8, 16, v24
	s_delay_alu instid0(VALU_DEP_1) | instskip(NEXT) | instid1(VALU_DEP_1)
	v_and_b32_e32 v8, 0x80000000, v8
	v_lshl_add_u32 v1, v1, 23, v8
	s_delay_alu instid0(VALU_DEP_1) | instskip(NEXT) | instid1(VALU_DEP_1)
	v_lshl_or_b32 v1, v66, 21, v1
                                        ; implicit-def: $vgpr66
	v_add_nc_u32_e32 v9, 0x38000000, v1
.LBB6_991:                              ;   in Loop: Header=BB6_130 Depth=2
	s_and_not1_saveexec_b32 s15, s15
; %bb.992:                              ;   in Loop: Header=BB6_130 Depth=2
	v_cmp_lt_i16_e32 vcc_lo, -1, v24
	v_cndmask_b32_e32 v1, 0xff800000, v62, vcc_lo
	v_cmp_eq_u32_e32 vcc_lo, 0, v66
	s_delay_alu instid0(VALU_DEP_2)
	v_cndmask_b32_e32 v9, 0x7f800001, v1, vcc_lo
; %bb.993:                              ;   in Loop: Header=BB6_130 Depth=2
	s_or_b32 exec_lo, exec_lo, s15
.LBB6_994:                              ;   in Loop: Header=BB6_130 Depth=2
	s_delay_alu instid0(SALU_CYCLE_1)
	s_or_b32 exec_lo, exec_lo, s10
.LBB6_995:                              ;   in Loop: Header=BB6_130 Depth=2
	s_delay_alu instid0(SALU_CYCLE_1) | instskip(NEXT) | instid1(SALU_CYCLE_1)
	s_or_b32 exec_lo, exec_lo, s11
	s_mov_b32 s10, exec_lo
	v_cmpx_ne_u16_e32 0, v6
	s_cbranch_execz .LBB6_1005
; %bb.996:                              ;   in Loop: Header=BB6_130 Depth=2
	v_bfrev_b32_e32 v7, 1
	s_mov_b32 s11, exec_lo
	v_cmpx_ne_u16_e32 0x80, v6
	s_cbranch_execz .LBB6_1004
; %bb.997:                              ;   in Loop: Header=BB6_130 Depth=2
	v_and_b32_e32 v1, 0xffff, v6
	s_delay_alu instid0(VALU_DEP_1) | instskip(SKIP_1) | instid1(VALU_DEP_2)
	v_and_b32_e32 v7, 0x7c, v1
	v_and_b32_e32 v8, 3, v1
	v_cmp_ne_u32_e32 vcc_lo, 0x7c, v7
                                        ; implicit-def: $vgpr7
	s_and_saveexec_b32 s15, vcc_lo
	s_delay_alu instid0(SALU_CYCLE_1)
	s_xor_b32 s15, exec_lo, s15
	s_cbranch_execz .LBB6_1001
; %bb.998:                              ;   in Loop: Header=BB6_130 Depth=2
	v_bfe_u32 v1, v1, 2, 5
	s_mov_b32 s42, exec_lo
	s_delay_alu instid0(VALU_DEP_1)
	v_cmpx_eq_u32_e32 0, v1
	s_cbranch_execz .LBB6_1000
; %bb.999:                              ;   in Loop: Header=BB6_130 Depth=2
	v_clz_i32_u32_e32 v1, v8
	s_delay_alu instid0(VALU_DEP_1) | instskip(SKIP_1) | instid1(VALU_DEP_2)
	v_min_u32_e32 v1, 32, v1
	v_mov_b32_e32 v7, v25
	v_subrev_nc_u32_e32 v8, 29, v1
	v_sub_nc_u32_e32 v1, 30, v1
	s_delay_alu instid0(VALU_DEP_2) | instskip(NEXT) | instid1(VALU_DEP_1)
	v_lshlrev_b64_e32 v[6:7], v8, v[6:7]
	v_and_b32_e32 v8, 3, v6
.LBB6_1000:                             ;   in Loop: Header=BB6_130 Depth=2
	s_or_b32 exec_lo, exec_lo, s42
	v_lshlrev_b32_e32 v0, 16, v0
	s_delay_alu instid0(VALU_DEP_1) | instskip(NEXT) | instid1(VALU_DEP_1)
	v_and_b32_e32 v0, 0x80000000, v0
	v_lshl_add_u32 v0, v1, 23, v0
	s_delay_alu instid0(VALU_DEP_1) | instskip(NEXT) | instid1(VALU_DEP_1)
	v_lshl_or_b32 v0, v8, 21, v0
                                        ; implicit-def: $vgpr8
	v_add_nc_u32_e32 v7, 0x38000000, v0
                                        ; implicit-def: $vgpr0_vgpr1
.LBB6_1001:                             ;   in Loop: Header=BB6_130 Depth=2
	s_and_not1_saveexec_b32 s15, s15
; %bb.1002:                             ;   in Loop: Header=BB6_130 Depth=2
	v_cmp_lt_i16_e32 vcc_lo, -1, v0
	v_cndmask_b32_e32 v0, 0xff800000, v62, vcc_lo
	v_cmp_eq_u32_e32 vcc_lo, 0, v8
	s_delay_alu instid0(VALU_DEP_2)
	v_cndmask_b32_e32 v7, 0x7f800001, v0, vcc_lo
; %bb.1003:                             ;   in Loop: Header=BB6_130 Depth=2
	s_or_b32 exec_lo, exec_lo, s15
.LBB6_1004:                             ;   in Loop: Header=BB6_130 Depth=2
	s_delay_alu instid0(SALU_CYCLE_1)
	s_or_b32 exec_lo, exec_lo, s11
.LBB6_1005:                             ;   in Loop: Header=BB6_130 Depth=2
	s_delay_alu instid0(SALU_CYCLE_1) | instskip(NEXT) | instid1(VALU_DEP_1)
	s_or_b32 exec_lo, exec_lo, s10
	v_dual_max_num_f32 v0, v7, v7 :: v_dual_max_num_f32 v1, v9, v9
	s_delay_alu instid0(VALU_DEP_1)
	v_min_num_f32_e32 v7, v1, v0
.LBB6_1006:                             ;   in Loop: Header=BB6_130 Depth=2
	s_delay_alu instid0(VALU_DEP_1) | instskip(SKIP_2) | instid1(VALU_DEP_2)
	v_and_b32_e32 v0, 0x7f800000, v7
	v_mov_b32_e32 v1, v25
	v_and_b32_e32 v24, 0x7fffff, v7
                                        ; implicit-def: $vgpr66
	v_cmp_ne_u64_e32 vcc_lo, 0x7f800000, v[0:1]
	v_lshrrev_b32_e32 v0, 24, v7
	s_and_saveexec_b32 s10, vcc_lo
	s_delay_alu instid0(SALU_CYCLE_1)
	s_xor_b32 s11, exec_lo, s10
	s_cbranch_execz .LBB6_1020
; %bb.1007:                             ;   in Loop: Header=BB6_130 Depth=2
	v_and_b32_e32 v8, 0x7fffffff, v7
	v_mov_b32_e32 v9, v25
                                        ; implicit-def: $vgpr66
	s_delay_alu instid0(VALU_DEP_1) | instskip(SKIP_2) | instid1(SALU_CYCLE_1)
	v_cmp_gt_u64_e32 vcc_lo, 0x47600001, v[8:9]
	v_and_b32_e32 v8, 0x80, v0
	s_and_saveexec_b32 s10, vcc_lo
	s_xor_b32 s15, exec_lo, s10
	s_cbranch_execz .LBB6_1017
; %bb.1008:                             ;   in Loop: Header=BB6_130 Depth=2
	v_mov_b32_e32 v66, 0
	s_mov_b32 s42, exec_lo
	v_cmpx_ne_u32_e32 0, v7
	s_cbranch_execz .LBB6_1016
; %bb.1009:                             ;   in Loop: Header=BB6_130 Depth=2
	v_bfe_u32 v9, v7, 23, 8
	v_or_b32_e32 v6, 0x800000, v24
	s_delay_alu instid0(VALU_DEP_2) | instskip(SKIP_1) | instid1(VALU_DEP_2)
	v_sub_nc_u32_e32 v0, 0x71, v9
	v_cmp_gt_u32_e32 vcc_lo, 0x72, v9
	v_cndmask_b32_e32 v0, 0, v0, vcc_lo
	v_cmp_eq_u32_e32 vcc_lo, 0, v9
	s_delay_alu instid0(VALU_DEP_2) | instskip(NEXT) | instid1(VALU_DEP_1)
	v_cndmask_b32_e64 v66, v0, 0x70, vcc_lo
	v_dual_cndmask_b32 v24, v6, v24, vcc_lo :: v_dual_add_nc_u32 v0, 21, v66
	v_add_nc_u32_e32 v7, 20, v66
	s_delay_alu instid0(VALU_DEP_2) | instskip(NEXT) | instid1(VALU_DEP_2)
	v_lshlrev_b64_e64 v[0:1], v0, -1
	v_lshlrev_b64_e64 v[6:7], v7, 1
	s_delay_alu instid0(VALU_DEP_2) | instskip(NEXT) | instid1(VALU_DEP_3)
	v_bfi_b32 v69, v1, 0, 0
	v_bfi_b32 v68, v0, 0, v24
	v_lshrrev_b64 v[0:1], v66, v[24:25]
	s_delay_alu instid0(VALU_DEP_2) | instskip(NEXT) | instid1(VALU_DEP_2)
	v_cmp_eq_u64_e64 s10, v[68:69], v[6:7]
	v_mov_b64_e32 v[6:7], v[0:1]
	s_and_saveexec_b32 s43, s10
; %bb.1010:                             ;   in Loop: Header=BB6_130 Depth=2
	v_bfe_u32 v24, v0, 21, 1
	s_delay_alu instid0(VALU_DEP_1) | instskip(NEXT) | instid1(VALU_DEP_1)
	v_add_nc_u64_e32 v[6:7], v[0:1], v[24:25]
	v_add_nc_u64_e32 v[6:7], -1, v[6:7]
; %bb.1011:                             ;   in Loop: Header=BB6_130 Depth=2
	s_or_b32 exec_lo, exec_lo, s43
	v_add_nc_u32_e32 v1, 0xffffff81, v9
	v_lshrrev_b32_e32 v7, 23, v0
	s_mov_b32 s10, exec_lo
	s_delay_alu instid0(VALU_DEP_2) | instskip(NEXT) | instid1(VALU_DEP_1)
	v_cndmask_b32_e64 v1, v1, 0xffffff82, vcc_lo
	v_add3_u32 v7, v66, v1, v7
	v_and_b32_e32 v1, 0x1fffff, v6
                                        ; implicit-def: $vgpr6
	s_delay_alu instid0(VALU_DEP_1) | instskip(NEXT) | instid1(VALU_DEP_1)
	v_dual_add_nc_u32 v9, 14, v7 :: v_dual_add_nc_u32 v24, v1, v0
                                        ; implicit-def: $vgpr0_vgpr1
	v_cmpx_ne_u32_e32 0, v9
	s_xor_b32 s10, exec_lo, s10
; %bb.1012:                             ;   in Loop: Header=BB6_130 Depth=2
	s_delay_alu instid0(VALU_DEP_2) | instskip(SKIP_1) | instid1(VALU_DEP_1)
	v_cmp_lt_u64_e32 vcc_lo, 0xffffff, v[24:25]
	v_add_nc_u32_e32 v0, 15, v7
	v_cndmask_b32_e32 v6, v9, v0, vcc_lo
	v_cndmask_b32_e64 v0, 0, 1, vcc_lo
	s_delay_alu instid0(VALU_DEP_1)
	v_lshrrev_b64 v[0:1], v0, v[24:25]
; %bb.1013:                             ;   in Loop: Header=BB6_130 Depth=2
	s_and_not1_saveexec_b32 s10, s10
; %bb.1014:                             ;   in Loop: Header=BB6_130 Depth=2
	v_mov_b64_e32 v[0:1], v[24:25]
	v_bfe_u32 v6, v24, 23, 1
; %bb.1015:                             ;   in Loop: Header=BB6_130 Depth=2
	s_or_b32 exec_lo, exec_lo, s10
	s_delay_alu instid0(VALU_DEP_2) | instskip(NEXT) | instid1(VALU_DEP_2)
	v_lshrrev_b64 v[0:1], 21, v[0:1]
	v_cmp_gt_i32_e32 vcc_lo, 32, v6
	v_min_i32_e32 v7, 31, v6
	v_cmp_eq_u32_e64 s10, 0, v6
	s_delay_alu instid0(VALU_DEP_2) | instskip(SKIP_1) | instid1(VALU_DEP_2)
	v_dual_cndmask_b32 v1, 0, v1, vcc_lo :: v_dual_lshlrev_b32 v7, 2, v7
	v_cndmask_b32_e32 v0, 3, v0, vcc_lo
	v_and_b32_e32 v7, 0xfc, v7
	s_delay_alu instid0(VALU_DEP_2) | instskip(NEXT) | instid1(VALU_DEP_2)
	v_cmp_eq_u64_e32 vcc_lo, 0, v[0:1]
	v_and_or_b32 v0, v0, 3, v7
	s_and_b32 s10, s10, vcc_lo
	s_delay_alu instid0(VALU_DEP_1) | instid1(SALU_CYCLE_1)
	v_cndmask_b32_e64 v0, v0, 0, s10
	s_delay_alu instid0(VALU_DEP_1)
	v_or_b32_e32 v66, v0, v8
.LBB6_1016:                             ;   in Loop: Header=BB6_130 Depth=2
	s_or_b32 exec_lo, exec_lo, s42
                                        ; implicit-def: $vgpr8
.LBB6_1017:                             ;   in Loop: Header=BB6_130 Depth=2
	s_and_not1_saveexec_b32 s10, s15
; %bb.1018:                             ;   in Loop: Header=BB6_130 Depth=2
	v_or_b32_e32 v66, 0x7b, v8
; %bb.1019:                             ;   in Loop: Header=BB6_130 Depth=2
	s_or_b32 exec_lo, exec_lo, s10
                                        ; implicit-def: $vgpr7
                                        ; implicit-def: $vgpr0
.LBB6_1020:                             ;   in Loop: Header=BB6_130 Depth=2
	s_and_not1_saveexec_b32 s10, s11
	s_cbranch_execz .LBB6_1026
; %bb.1021:                             ;   in Loop: Header=BB6_130 Depth=2
	s_mov_b32 s11, exec_lo
                                        ; implicit-def: $vgpr66
	v_cmpx_ne_u64_e32 0, v[24:25]
	s_xor_b32 s11, exec_lo, s11
; %bb.1022:                             ;   in Loop: Header=BB6_130 Depth=2
	v_or_b32_e32 v66, 0x7f, v0
                                        ; implicit-def: $vgpr7
; %bb.1023:                             ;   in Loop: Header=BB6_130 Depth=2
	s_and_not1_saveexec_b32 s11, s11
; %bb.1024:                             ;   in Loop: Header=BB6_130 Depth=2
	v_cmp_lt_i32_e32 vcc_lo, -1, v7
	v_cndmask_b32_e32 v66, 0xfc, v93, vcc_lo
; %bb.1025:                             ;   in Loop: Header=BB6_130 Depth=2
	s_or_b32 exec_lo, exec_lo, s11
.LBB6_1026:                             ;   in Loop: Header=BB6_130 Depth=2
	s_delay_alu instid0(SALU_CYCLE_1) | instskip(SKIP_4) | instid1(VALU_DEP_2)
	s_or_b32 exec_lo, exec_lo, s10
	v_lshrrev_b32_e32 v6, 16, v51
	v_lshrrev_b32_e32 v0, 16, v39
	s_and_b32 vcc_lo, exec_lo, s14
	s_mov_b32 s11, -1
                                        ; implicit-def: $vgpr7
	v_and_b32_e32 v1, 0xff, v6
	s_delay_alu instid0(VALU_DEP_1)
	v_cmp_ne_u16_e64 s10, 0, v1
	s_cbranch_vccz .LBB6_1048
; %bb.1027:                             ;   in Loop: Header=BB6_130 Depth=2
	v_dual_mov_b32 v8, 0 :: v_dual_mov_b32 v7, 0
	s_and_saveexec_b32 s11, s10
	s_cbranch_execz .LBB6_1037
; %bb.1028:                             ;   in Loop: Header=BB6_130 Depth=2
	v_bfrev_b32_e32 v7, 1
	s_mov_b32 s15, exec_lo
	v_cmpx_ne_u16_e32 0x80, v1
	s_cbranch_execz .LBB6_1036
; %bb.1029:                             ;   in Loop: Header=BB6_130 Depth=2
	v_and_b32_e32 v7, 0x7c0000, v51
	v_bfe_u32 v9, v51, 16, 2
	s_delay_alu instid0(VALU_DEP_2) | instskip(SKIP_1) | instid1(SALU_CYCLE_1)
	v_cmp_ne_u32_e32 vcc_lo, 0x7c0000, v7
                                        ; implicit-def: $vgpr7
	s_and_saveexec_b32 s42, vcc_lo
	s_xor_b32 s42, exec_lo, s42
	s_cbranch_execz .LBB6_1033
; %bb.1030:                             ;   in Loop: Header=BB6_130 Depth=2
	v_bfe_u32 v7, v51, 18, 5
	s_mov_b32 s43, exec_lo
	s_delay_alu instid0(VALU_DEP_1)
	v_cmpx_eq_u32_e32 0, v7
; %bb.1031:                             ;   in Loop: Header=BB6_130 Depth=2
	v_clz_i32_u32_e32 v7, v9
	s_delay_alu instid0(VALU_DEP_1) | instskip(NEXT) | instid1(VALU_DEP_1)
	v_min_u32_e32 v7, 32, v7
	v_subrev_nc_u32_e32 v9, 29, v7
	s_delay_alu instid0(VALU_DEP_1) | instskip(NEXT) | instid1(VALU_DEP_1)
	v_lshlrev_b64_e32 v[68:69], v9, v[6:7]
	v_dual_sub_nc_u32 v7, 30, v7 :: v_dual_bitop2_b32 v9, 3, v68 bitop3:0x40
; %bb.1032:                             ;   in Loop: Header=BB6_130 Depth=2
	s_or_b32 exec_lo, exec_lo, s43
	v_lshlrev_b32_e32 v24, 24, v6
	s_delay_alu instid0(VALU_DEP_1) | instskip(NEXT) | instid1(VALU_DEP_1)
	v_and_b32_e32 v24, 0x80000000, v24
	v_lshl_add_u32 v7, v7, 23, v24
	s_delay_alu instid0(VALU_DEP_1) | instskip(NEXT) | instid1(VALU_DEP_1)
	v_lshl_or_b32 v7, v9, 21, v7
                                        ; implicit-def: $vgpr9
	v_add_nc_u32_e32 v7, 0x38000000, v7
.LBB6_1033:                             ;   in Loop: Header=BB6_130 Depth=2
	s_and_not1_saveexec_b32 s42, s42
; %bb.1034:                             ;   in Loop: Header=BB6_130 Depth=2
	v_bfe_i32 v7, v6, 0, 8
	s_delay_alu instid0(VALU_DEP_1) | instskip(SKIP_2) | instid1(VALU_DEP_2)
	v_cmp_lt_i16_e32 vcc_lo, -1, v7
	v_cndmask_b32_e32 v7, 0xff800000, v62, vcc_lo
	v_cmp_eq_u32_e32 vcc_lo, 0, v9
	v_cndmask_b32_e32 v7, 0x7f800001, v7, vcc_lo
; %bb.1035:                             ;   in Loop: Header=BB6_130 Depth=2
	s_or_b32 exec_lo, exec_lo, s42
.LBB6_1036:                             ;   in Loop: Header=BB6_130 Depth=2
	s_delay_alu instid0(SALU_CYCLE_1)
	s_or_b32 exec_lo, exec_lo, s15
.LBB6_1037:                             ;   in Loop: Header=BB6_130 Depth=2
	s_delay_alu instid0(SALU_CYCLE_1) | instskip(SKIP_2) | instid1(VALU_DEP_1)
	s_or_b32 exec_lo, exec_lo, s11
	v_and_b32_e32 v9, 0xff, v0
	s_mov_b32 s11, exec_lo
	v_cmpx_ne_u16_e32 0, v9
	s_cbranch_execz .LBB6_1047
; %bb.1038:                             ;   in Loop: Header=BB6_130 Depth=2
	v_bfrev_b32_e32 v8, 1
	s_mov_b32 s15, exec_lo
	v_cmpx_ne_u16_e32 0x80, v9
	s_cbranch_execz .LBB6_1046
; %bb.1039:                             ;   in Loop: Header=BB6_130 Depth=2
	v_and_b32_e32 v8, 0x7c0000, v39
	v_bfe_u32 v9, v39, 16, 2
	s_delay_alu instid0(VALU_DEP_2) | instskip(SKIP_1) | instid1(SALU_CYCLE_1)
	v_cmp_ne_u32_e32 vcc_lo, 0x7c0000, v8
                                        ; implicit-def: $vgpr8
	s_and_saveexec_b32 s42, vcc_lo
	s_xor_b32 s42, exec_lo, s42
	s_cbranch_execz .LBB6_1043
; %bb.1040:                             ;   in Loop: Header=BB6_130 Depth=2
	v_bfe_u32 v8, v39, 18, 5
	s_mov_b32 s43, exec_lo
	s_delay_alu instid0(VALU_DEP_1)
	v_cmpx_eq_u32_e32 0, v8
; %bb.1041:                             ;   in Loop: Header=BB6_130 Depth=2
	v_clz_i32_u32_e32 v8, v9
	s_delay_alu instid0(VALU_DEP_1) | instskip(NEXT) | instid1(VALU_DEP_1)
	v_min_u32_e32 v8, 32, v8
	v_subrev_nc_u32_e32 v9, 29, v8
	v_sub_nc_u32_e32 v8, 30, v8
	s_delay_alu instid0(VALU_DEP_2) | instskip(NEXT) | instid1(VALU_DEP_1)
	v_lshlrev_b64_e32 v[68:69], v9, v[0:1]
	v_and_b32_e32 v9, 3, v68
; %bb.1042:                             ;   in Loop: Header=BB6_130 Depth=2
	s_or_b32 exec_lo, exec_lo, s43
	v_lshlrev_b32_e32 v24, 24, v0
	s_delay_alu instid0(VALU_DEP_1) | instskip(NEXT) | instid1(VALU_DEP_1)
	v_and_b32_e32 v24, 0x80000000, v24
	v_lshl_add_u32 v8, v8, 23, v24
	s_delay_alu instid0(VALU_DEP_1) | instskip(NEXT) | instid1(VALU_DEP_1)
	v_lshl_or_b32 v8, v9, 21, v8
                                        ; implicit-def: $vgpr9
	v_add_nc_u32_e32 v8, 0x38000000, v8
.LBB6_1043:                             ;   in Loop: Header=BB6_130 Depth=2
	s_and_not1_saveexec_b32 s42, s42
; %bb.1044:                             ;   in Loop: Header=BB6_130 Depth=2
	v_bfe_i32 v8, v0, 0, 8
	s_delay_alu instid0(VALU_DEP_1) | instskip(SKIP_2) | instid1(VALU_DEP_2)
	v_cmp_lt_i16_e32 vcc_lo, -1, v8
	v_cndmask_b32_e32 v8, 0xff800000, v62, vcc_lo
	v_cmp_eq_u32_e32 vcc_lo, 0, v9
	v_cndmask_b32_e32 v8, 0x7f800001, v8, vcc_lo
; %bb.1045:                             ;   in Loop: Header=BB6_130 Depth=2
	s_or_b32 exec_lo, exec_lo, s42
.LBB6_1046:                             ;   in Loop: Header=BB6_130 Depth=2
	s_delay_alu instid0(SALU_CYCLE_1)
	s_or_b32 exec_lo, exec_lo, s15
.LBB6_1047:                             ;   in Loop: Header=BB6_130 Depth=2
	s_delay_alu instid0(SALU_CYCLE_1) | instskip(NEXT) | instid1(VALU_DEP_1)
	s_or_b32 exec_lo, exec_lo, s11
	v_dual_max_num_f32 v8, v8, v8 :: v_dual_max_num_f32 v7, v7, v7
	s_mov_b32 s11, 0
	s_delay_alu instid0(VALU_DEP_1)
	v_max_num_f32_e32 v7, v7, v8
.LBB6_1048:                             ;   in Loop: Header=BB6_130 Depth=2
	s_and_b32 vcc_lo, exec_lo, s11
	s_cbranch_vccz .LBB6_1070
; %bb.1049:                             ;   in Loop: Header=BB6_130 Depth=2
	v_dual_mov_b32 v8, 0 :: v_dual_mov_b32 v7, 0
	s_and_saveexec_b32 s11, s10
	s_cbranch_execz .LBB6_1059
; %bb.1050:                             ;   in Loop: Header=BB6_130 Depth=2
	v_bfrev_b32_e32 v7, 1
	s_mov_b32 s10, exec_lo
	v_cmpx_ne_u16_e32 0x80, v1
	s_cbranch_execz .LBB6_1058
; %bb.1051:                             ;   in Loop: Header=BB6_130 Depth=2
	v_and_b32_e32 v7, 0x7c0000, v51
	v_bfe_u32 v1, v51, 16, 2
	s_delay_alu instid0(VALU_DEP_2) | instskip(SKIP_1) | instid1(SALU_CYCLE_1)
	v_cmp_ne_u32_e32 vcc_lo, 0x7c0000, v7
                                        ; implicit-def: $vgpr7
	s_and_saveexec_b32 s15, vcc_lo
	s_xor_b32 s15, exec_lo, s15
	s_cbranch_execz .LBB6_1055
; %bb.1052:                             ;   in Loop: Header=BB6_130 Depth=2
	v_bfe_u32 v7, v51, 18, 5
	s_mov_b32 s42, exec_lo
	s_delay_alu instid0(VALU_DEP_1)
	v_cmpx_eq_u32_e32 0, v7
; %bb.1053:                             ;   in Loop: Header=BB6_130 Depth=2
	v_clz_i32_u32_e32 v1, v1
	s_delay_alu instid0(VALU_DEP_1) | instskip(NEXT) | instid1(VALU_DEP_1)
	v_min_u32_e32 v1, 32, v1
	v_subrev_nc_u32_e32 v7, 29, v1
	s_delay_alu instid0(VALU_DEP_1) | instskip(NEXT) | instid1(VALU_DEP_1)
	v_lshlrev_b64_e32 v[68:69], v7, v[6:7]
	v_dual_sub_nc_u32 v7, 30, v1 :: v_dual_bitop2_b32 v1, 3, v68 bitop3:0x40
; %bb.1054:                             ;   in Loop: Header=BB6_130 Depth=2
	s_or_b32 exec_lo, exec_lo, s42
	v_lshlrev_b32_e32 v6, 24, v6
	s_delay_alu instid0(VALU_DEP_1) | instskip(NEXT) | instid1(VALU_DEP_1)
	v_and_b32_e32 v6, 0x80000000, v6
	v_lshl_add_u32 v6, v7, 23, v6
	s_delay_alu instid0(VALU_DEP_1) | instskip(NEXT) | instid1(VALU_DEP_1)
	v_lshl_or_b32 v1, v1, 21, v6
                                        ; implicit-def: $vgpr6
	v_add_nc_u32_e32 v7, 0x38000000, v1
                                        ; implicit-def: $vgpr1
.LBB6_1055:                             ;   in Loop: Header=BB6_130 Depth=2
	s_and_not1_saveexec_b32 s15, s15
; %bb.1056:                             ;   in Loop: Header=BB6_130 Depth=2
	v_bfe_i32 v6, v6, 0, 8
	s_delay_alu instid0(VALU_DEP_1) | instskip(SKIP_2) | instid1(VALU_DEP_2)
	v_cmp_lt_i16_e32 vcc_lo, -1, v6
	v_cndmask_b32_e32 v6, 0xff800000, v62, vcc_lo
	v_cmp_eq_u32_e32 vcc_lo, 0, v1
	v_cndmask_b32_e32 v7, 0x7f800001, v6, vcc_lo
; %bb.1057:                             ;   in Loop: Header=BB6_130 Depth=2
	s_or_b32 exec_lo, exec_lo, s15
.LBB6_1058:                             ;   in Loop: Header=BB6_130 Depth=2
	s_delay_alu instid0(SALU_CYCLE_1)
	s_or_b32 exec_lo, exec_lo, s10
.LBB6_1059:                             ;   in Loop: Header=BB6_130 Depth=2
	s_delay_alu instid0(SALU_CYCLE_1) | instskip(SKIP_2) | instid1(VALU_DEP_1)
	s_or_b32 exec_lo, exec_lo, s11
	v_and_b32_e32 v1, 0xff, v0
	s_mov_b32 s10, exec_lo
	v_cmpx_ne_u16_e32 0, v1
	s_cbranch_execz .LBB6_1069
; %bb.1060:                             ;   in Loop: Header=BB6_130 Depth=2
	v_bfrev_b32_e32 v8, 1
	s_mov_b32 s11, exec_lo
	v_cmpx_ne_u16_e32 0x80, v1
	s_cbranch_execz .LBB6_1068
; %bb.1061:                             ;   in Loop: Header=BB6_130 Depth=2
	v_and_b32_e32 v6, 0x7c0000, v39
	v_bfe_u32 v1, v39, 16, 2
	s_mov_b32 s15, exec_lo
                                        ; implicit-def: $vgpr8
	s_delay_alu instid0(VALU_DEP_2)
	v_cmpx_ne_u32_e32 0x7c0000, v6
	s_xor_b32 s15, exec_lo, s15
	s_cbranch_execz .LBB6_1065
; %bb.1062:                             ;   in Loop: Header=BB6_130 Depth=2
	v_bfe_u32 v6, v39, 18, 5
	s_mov_b32 s42, exec_lo
	s_delay_alu instid0(VALU_DEP_1)
	v_cmpx_eq_u32_e32 0, v6
; %bb.1063:                             ;   in Loop: Header=BB6_130 Depth=2
	v_clz_i32_u32_e32 v1, v1
	s_delay_alu instid0(VALU_DEP_1) | instskip(NEXT) | instid1(VALU_DEP_1)
	v_min_u32_e32 v1, 32, v1
	v_subrev_nc_u32_e32 v6, 29, v1
	s_delay_alu instid0(VALU_DEP_1) | instskip(NEXT) | instid1(VALU_DEP_1)
	v_lshlrev_b64_e32 v[8:9], v6, v[0:1]
	v_dual_sub_nc_u32 v6, 30, v1 :: v_dual_bitop2_b32 v1, 3, v8 bitop3:0x40
; %bb.1064:                             ;   in Loop: Header=BB6_130 Depth=2
	s_or_b32 exec_lo, exec_lo, s42
	v_lshlrev_b32_e32 v0, 24, v0
	s_delay_alu instid0(VALU_DEP_1) | instskip(NEXT) | instid1(VALU_DEP_1)
	v_and_b32_e32 v0, 0x80000000, v0
	v_lshl_add_u32 v0, v6, 23, v0
	s_delay_alu instid0(VALU_DEP_1) | instskip(NEXT) | instid1(VALU_DEP_1)
	v_lshl_or_b32 v0, v1, 21, v0
                                        ; implicit-def: $vgpr1
	v_add_nc_u32_e32 v8, 0x38000000, v0
                                        ; implicit-def: $vgpr0
.LBB6_1065:                             ;   in Loop: Header=BB6_130 Depth=2
	s_and_not1_saveexec_b32 s15, s15
; %bb.1066:                             ;   in Loop: Header=BB6_130 Depth=2
	v_bfe_i32 v0, v0, 0, 8
	s_delay_alu instid0(VALU_DEP_1) | instskip(SKIP_2) | instid1(VALU_DEP_2)
	v_cmp_lt_i16_e32 vcc_lo, -1, v0
	v_cndmask_b32_e32 v0, 0xff800000, v62, vcc_lo
	v_cmp_eq_u32_e32 vcc_lo, 0, v1
	v_cndmask_b32_e32 v8, 0x7f800001, v0, vcc_lo
; %bb.1067:                             ;   in Loop: Header=BB6_130 Depth=2
	s_or_b32 exec_lo, exec_lo, s15
.LBB6_1068:                             ;   in Loop: Header=BB6_130 Depth=2
	s_delay_alu instid0(SALU_CYCLE_1)
	s_or_b32 exec_lo, exec_lo, s11
.LBB6_1069:                             ;   in Loop: Header=BB6_130 Depth=2
	s_delay_alu instid0(SALU_CYCLE_1) | instskip(NEXT) | instid1(VALU_DEP_1)
	s_or_b32 exec_lo, exec_lo, s10
	v_dual_max_num_f32 v0, v8, v8 :: v_dual_max_num_f32 v1, v7, v7
	s_delay_alu instid0(VALU_DEP_1)
	v_min_num_f32_e32 v7, v1, v0
.LBB6_1070:                             ;   in Loop: Header=BB6_130 Depth=2
	s_delay_alu instid0(VALU_DEP_1) | instskip(SKIP_2) | instid1(VALU_DEP_2)
	v_and_b32_e32 v0, 0x7f800000, v7
	v_mov_b32_e32 v1, v25
	v_and_b32_e32 v24, 0x7fffff, v7
                                        ; implicit-def: $vgpr67
	v_cmp_ne_u64_e32 vcc_lo, 0x7f800000, v[0:1]
	v_lshrrev_b32_e32 v0, 24, v7
	s_and_saveexec_b32 s10, vcc_lo
	s_delay_alu instid0(SALU_CYCLE_1)
	s_xor_b32 s11, exec_lo, s10
	s_cbranch_execz .LBB6_1084
; %bb.1071:                             ;   in Loop: Header=BB6_130 Depth=2
	v_and_b32_e32 v8, 0x7fffffff, v7
	v_mov_b32_e32 v9, v25
                                        ; implicit-def: $vgpr67
	s_delay_alu instid0(VALU_DEP_1) | instskip(SKIP_2) | instid1(SALU_CYCLE_1)
	v_cmp_gt_u64_e32 vcc_lo, 0x47600001, v[8:9]
	v_and_b32_e32 v8, 0x80, v0
	s_and_saveexec_b32 s10, vcc_lo
	s_xor_b32 s15, exec_lo, s10
	s_cbranch_execz .LBB6_1081
; %bb.1072:                             ;   in Loop: Header=BB6_130 Depth=2
	v_mov_b32_e32 v67, 0
	s_mov_b32 s42, exec_lo
	v_cmpx_ne_u32_e32 0, v7
	s_cbranch_execz .LBB6_1080
; %bb.1073:                             ;   in Loop: Header=BB6_130 Depth=2
	v_bfe_u32 v9, v7, 23, 8
	v_or_b32_e32 v6, 0x800000, v24
	s_delay_alu instid0(VALU_DEP_2) | instskip(SKIP_1) | instid1(VALU_DEP_2)
	v_sub_nc_u32_e32 v0, 0x71, v9
	v_cmp_gt_u32_e32 vcc_lo, 0x72, v9
	v_cndmask_b32_e32 v0, 0, v0, vcc_lo
	v_cmp_eq_u32_e32 vcc_lo, 0, v9
	s_delay_alu instid0(VALU_DEP_2) | instskip(NEXT) | instid1(VALU_DEP_1)
	v_cndmask_b32_e64 v67, v0, 0x70, vcc_lo
	v_dual_cndmask_b32 v24, v6, v24, vcc_lo :: v_dual_add_nc_u32 v0, 21, v67
	v_add_nc_u32_e32 v7, 20, v67
	s_delay_alu instid0(VALU_DEP_2) | instskip(NEXT) | instid1(VALU_DEP_2)
	v_lshlrev_b64_e64 v[0:1], v0, -1
	v_lshlrev_b64_e64 v[6:7], v7, 1
	s_delay_alu instid0(VALU_DEP_2) | instskip(NEXT) | instid1(VALU_DEP_3)
	v_bfi_b32 v69, v1, 0, 0
	v_bfi_b32 v68, v0, 0, v24
	v_lshrrev_b64 v[0:1], v67, v[24:25]
	s_delay_alu instid0(VALU_DEP_2) | instskip(NEXT) | instid1(VALU_DEP_2)
	v_cmp_eq_u64_e64 s10, v[68:69], v[6:7]
	v_mov_b64_e32 v[6:7], v[0:1]
	s_and_saveexec_b32 s43, s10
; %bb.1074:                             ;   in Loop: Header=BB6_130 Depth=2
	v_bfe_u32 v24, v0, 21, 1
	s_delay_alu instid0(VALU_DEP_1) | instskip(NEXT) | instid1(VALU_DEP_1)
	v_add_nc_u64_e32 v[6:7], v[0:1], v[24:25]
	v_add_nc_u64_e32 v[6:7], -1, v[6:7]
; %bb.1075:                             ;   in Loop: Header=BB6_130 Depth=2
	s_or_b32 exec_lo, exec_lo, s43
	v_add_nc_u32_e32 v1, 0xffffff81, v9
	v_lshrrev_b32_e32 v7, 23, v0
	s_mov_b32 s10, exec_lo
	s_delay_alu instid0(VALU_DEP_2) | instskip(NEXT) | instid1(VALU_DEP_1)
	v_cndmask_b32_e64 v1, v1, 0xffffff82, vcc_lo
	v_add3_u32 v7, v67, v1, v7
	v_and_b32_e32 v1, 0x1fffff, v6
                                        ; implicit-def: $vgpr6
	s_delay_alu instid0(VALU_DEP_1) | instskip(NEXT) | instid1(VALU_DEP_1)
	v_dual_add_nc_u32 v9, 14, v7 :: v_dual_add_nc_u32 v24, v1, v0
                                        ; implicit-def: $vgpr0_vgpr1
	v_cmpx_ne_u32_e32 0, v9
	s_xor_b32 s10, exec_lo, s10
; %bb.1076:                             ;   in Loop: Header=BB6_130 Depth=2
	s_delay_alu instid0(VALU_DEP_2) | instskip(SKIP_1) | instid1(VALU_DEP_1)
	v_cmp_lt_u64_e32 vcc_lo, 0xffffff, v[24:25]
	v_add_nc_u32_e32 v0, 15, v7
	v_cndmask_b32_e32 v6, v9, v0, vcc_lo
	v_cndmask_b32_e64 v0, 0, 1, vcc_lo
	s_delay_alu instid0(VALU_DEP_1)
	v_lshrrev_b64 v[0:1], v0, v[24:25]
; %bb.1077:                             ;   in Loop: Header=BB6_130 Depth=2
	s_and_not1_saveexec_b32 s10, s10
; %bb.1078:                             ;   in Loop: Header=BB6_130 Depth=2
	v_mov_b64_e32 v[0:1], v[24:25]
	v_bfe_u32 v6, v24, 23, 1
; %bb.1079:                             ;   in Loop: Header=BB6_130 Depth=2
	s_or_b32 exec_lo, exec_lo, s10
	s_delay_alu instid0(VALU_DEP_2) | instskip(NEXT) | instid1(VALU_DEP_2)
	v_lshrrev_b64 v[0:1], 21, v[0:1]
	v_cmp_gt_i32_e32 vcc_lo, 32, v6
	v_min_i32_e32 v7, 31, v6
	v_cmp_eq_u32_e64 s10, 0, v6
	s_delay_alu instid0(VALU_DEP_2) | instskip(SKIP_1) | instid1(VALU_DEP_2)
	v_dual_cndmask_b32 v1, 0, v1, vcc_lo :: v_dual_lshlrev_b32 v7, 2, v7
	v_cndmask_b32_e32 v0, 3, v0, vcc_lo
	v_and_b32_e32 v7, 0xfc, v7
	s_delay_alu instid0(VALU_DEP_2) | instskip(NEXT) | instid1(VALU_DEP_2)
	v_cmp_eq_u64_e32 vcc_lo, 0, v[0:1]
	v_and_or_b32 v0, v0, 3, v7
	s_and_b32 s10, s10, vcc_lo
	s_delay_alu instid0(VALU_DEP_1) | instid1(SALU_CYCLE_1)
	v_cndmask_b32_e64 v0, v0, 0, s10
	s_delay_alu instid0(VALU_DEP_1)
	v_or_b32_e32 v67, v0, v8
.LBB6_1080:                             ;   in Loop: Header=BB6_130 Depth=2
	s_or_b32 exec_lo, exec_lo, s42
                                        ; implicit-def: $vgpr8
.LBB6_1081:                             ;   in Loop: Header=BB6_130 Depth=2
	s_and_not1_saveexec_b32 s10, s15
; %bb.1082:                             ;   in Loop: Header=BB6_130 Depth=2
	v_or_b32_e32 v67, 0x7b, v8
; %bb.1083:                             ;   in Loop: Header=BB6_130 Depth=2
	s_or_b32 exec_lo, exec_lo, s10
                                        ; implicit-def: $vgpr7
                                        ; implicit-def: $vgpr0
.LBB6_1084:                             ;   in Loop: Header=BB6_130 Depth=2
	s_and_not1_saveexec_b32 s10, s11
	s_cbranch_execz .LBB6_1090
; %bb.1085:                             ;   in Loop: Header=BB6_130 Depth=2
	s_mov_b32 s11, exec_lo
                                        ; implicit-def: $vgpr67
	v_cmpx_ne_u64_e32 0, v[24:25]
	s_xor_b32 s11, exec_lo, s11
; %bb.1086:                             ;   in Loop: Header=BB6_130 Depth=2
	v_or_b32_e32 v67, 0x7f, v0
                                        ; implicit-def: $vgpr7
; %bb.1087:                             ;   in Loop: Header=BB6_130 Depth=2
	s_and_not1_saveexec_b32 s11, s11
; %bb.1088:                             ;   in Loop: Header=BB6_130 Depth=2
	v_cmp_lt_i32_e32 vcc_lo, -1, v7
	v_cndmask_b32_e32 v67, 0xfc, v93, vcc_lo
; %bb.1089:                             ;   in Loop: Header=BB6_130 Depth=2
	s_or_b32 exec_lo, exec_lo, s11
.LBB6_1090:                             ;   in Loop: Header=BB6_130 Depth=2
	s_delay_alu instid0(SALU_CYCLE_1)
	s_or_b32 exec_lo, exec_lo, s10
	v_cmp_lt_u64_e64 s10, s[16:17], v[50:51]
	v_lshrrev_b32_e32 v6, 24, v51
	v_lshrrev_b32_e32 v0, 24, v39
	s_and_b32 vcc_lo, exec_lo, s14
	s_mov_b32 s11, -1
                                        ; implicit-def: $vgpr1
	s_cbranch_vccz .LBB6_1112
; %bb.1091:                             ;   in Loop: Header=BB6_130 Depth=2
	v_dual_mov_b32 v7, 0 :: v_dual_mov_b32 v1, 0
	s_and_saveexec_b32 s11, s10
	s_cbranch_execz .LBB6_1101
; %bb.1092:                             ;   in Loop: Header=BB6_130 Depth=2
	v_bfrev_b32_e32 v1, 1
	s_mov_b32 s15, exec_lo
	v_cmpx_ne_u32_e32 0x80, v6
	s_cbranch_execz .LBB6_1100
; %bb.1093:                             ;   in Loop: Header=BB6_130 Depth=2
	v_and_b32_e32 v1, 0x7c000000, v51
	v_bfe_u32 v8, v51, 24, 2
	s_delay_alu instid0(VALU_DEP_2) | instskip(SKIP_1) | instid1(SALU_CYCLE_1)
	v_cmp_ne_u32_e32 vcc_lo, 0x7c000000, v1
                                        ; implicit-def: $vgpr1
	s_and_saveexec_b32 s42, vcc_lo
	s_xor_b32 s42, exec_lo, s42
	s_cbranch_execz .LBB6_1097
; %bb.1094:                             ;   in Loop: Header=BB6_130 Depth=2
	v_bfe_u32 v1, v51, 26, 5
	s_mov_b32 s43, exec_lo
	s_delay_alu instid0(VALU_DEP_1)
	v_cmpx_eq_u32_e32 0, v1
; %bb.1095:                             ;   in Loop: Header=BB6_130 Depth=2
	v_clz_i32_u32_e32 v1, v8
	s_delay_alu instid0(VALU_DEP_1) | instskip(NEXT) | instid1(VALU_DEP_1)
	v_min_u32_e32 v1, 32, v1
	v_subrev_nc_u32_e32 v8, 29, v1
	s_delay_alu instid0(VALU_DEP_1) | instskip(NEXT) | instid1(VALU_DEP_1)
	v_lshlrev_b64_e32 v[8:9], v8, v[6:7]
	v_dual_sub_nc_u32 v1, 30, v1 :: v_dual_bitop2_b32 v8, 3, v8 bitop3:0x40
; %bb.1096:                             ;   in Loop: Header=BB6_130 Depth=2
	s_or_b32 exec_lo, exec_lo, s43
	v_and_b32_e32 v9, 0x80000000, v51
	s_delay_alu instid0(VALU_DEP_1) | instskip(NEXT) | instid1(VALU_DEP_1)
	v_lshl_add_u32 v1, v1, 23, v9
	v_lshl_or_b32 v1, v8, 21, v1
                                        ; implicit-def: $vgpr8
	s_delay_alu instid0(VALU_DEP_1)
	v_add_nc_u32_e32 v1, 0x38000000, v1
.LBB6_1097:                             ;   in Loop: Header=BB6_130 Depth=2
	s_and_not1_saveexec_b32 s42, s42
; %bb.1098:                             ;   in Loop: Header=BB6_130 Depth=2
	v_cmp_lt_i64_e32 vcc_lo, -1, v[50:51]
	v_cndmask_b32_e32 v1, 0xff800000, v62, vcc_lo
	v_cmp_eq_u32_e32 vcc_lo, 0, v8
	s_delay_alu instid0(VALU_DEP_2)
	v_cndmask_b32_e32 v1, 0x7f800001, v1, vcc_lo
; %bb.1099:                             ;   in Loop: Header=BB6_130 Depth=2
	s_or_b32 exec_lo, exec_lo, s42
.LBB6_1100:                             ;   in Loop: Header=BB6_130 Depth=2
	s_delay_alu instid0(SALU_CYCLE_1)
	s_or_b32 exec_lo, exec_lo, s15
.LBB6_1101:                             ;   in Loop: Header=BB6_130 Depth=2
	s_delay_alu instid0(SALU_CYCLE_1) | instskip(NEXT) | instid1(SALU_CYCLE_1)
	s_or_b32 exec_lo, exec_lo, s11
	s_mov_b32 s11, exec_lo
	v_cmpx_lt_u64_e64 s[16:17], v[38:39]
	s_cbranch_execz .LBB6_1111
; %bb.1102:                             ;   in Loop: Header=BB6_130 Depth=2
	v_bfrev_b32_e32 v7, 1
	s_mov_b32 s15, exec_lo
	v_cmpx_ne_u32_e32 0x80, v0
	s_cbranch_execz .LBB6_1110
; %bb.1103:                             ;   in Loop: Header=BB6_130 Depth=2
	v_and_b32_e32 v7, 0x7c000000, v39
	v_bfe_u32 v8, v39, 24, 2
	s_delay_alu instid0(VALU_DEP_2) | instskip(SKIP_1) | instid1(SALU_CYCLE_1)
	v_cmp_ne_u32_e32 vcc_lo, 0x7c000000, v7
                                        ; implicit-def: $vgpr7
	s_and_saveexec_b32 s42, vcc_lo
	s_xor_b32 s42, exec_lo, s42
	s_cbranch_execz .LBB6_1107
; %bb.1104:                             ;   in Loop: Header=BB6_130 Depth=2
	v_bfe_u32 v7, v39, 26, 5
	s_mov_b32 s43, exec_lo
	s_delay_alu instid0(VALU_DEP_1)
	v_cmpx_eq_u32_e32 0, v7
; %bb.1105:                             ;   in Loop: Header=BB6_130 Depth=2
	v_clz_i32_u32_e32 v7, v8
	s_delay_alu instid0(VALU_DEP_1) | instskip(NEXT) | instid1(VALU_DEP_1)
	v_min_u32_e32 v7, 32, v7
	v_subrev_nc_u32_e32 v8, 29, v7
	s_delay_alu instid0(VALU_DEP_1) | instskip(NEXT) | instid1(VALU_DEP_1)
	v_lshlrev_b64_e32 v[8:9], v8, v[0:1]
	v_dual_sub_nc_u32 v7, 30, v7 :: v_dual_bitop2_b32 v8, 3, v8 bitop3:0x40
; %bb.1106:                             ;   in Loop: Header=BB6_130 Depth=2
	s_or_b32 exec_lo, exec_lo, s43
	v_and_b32_e32 v9, 0x80000000, v39
	s_delay_alu instid0(VALU_DEP_1) | instskip(NEXT) | instid1(VALU_DEP_1)
	v_lshl_add_u32 v7, v7, 23, v9
	v_lshl_or_b32 v7, v8, 21, v7
                                        ; implicit-def: $vgpr8
	s_delay_alu instid0(VALU_DEP_1)
	v_add_nc_u32_e32 v7, 0x38000000, v7
.LBB6_1107:                             ;   in Loop: Header=BB6_130 Depth=2
	s_and_not1_saveexec_b32 s42, s42
; %bb.1108:                             ;   in Loop: Header=BB6_130 Depth=2
	v_cmp_lt_i64_e32 vcc_lo, -1, v[38:39]
	v_cndmask_b32_e32 v7, 0xff800000, v62, vcc_lo
	v_cmp_eq_u32_e32 vcc_lo, 0, v8
	s_delay_alu instid0(VALU_DEP_2)
	v_cndmask_b32_e32 v7, 0x7f800001, v7, vcc_lo
; %bb.1109:                             ;   in Loop: Header=BB6_130 Depth=2
	s_or_b32 exec_lo, exec_lo, s42
.LBB6_1110:                             ;   in Loop: Header=BB6_130 Depth=2
	s_delay_alu instid0(SALU_CYCLE_1)
	s_or_b32 exec_lo, exec_lo, s15
.LBB6_1111:                             ;   in Loop: Header=BB6_130 Depth=2
	s_delay_alu instid0(SALU_CYCLE_1) | instskip(NEXT) | instid1(VALU_DEP_1)
	s_or_b32 exec_lo, exec_lo, s11
	v_dual_max_num_f32 v7, v7, v7 :: v_dual_max_num_f32 v1, v1, v1
	s_mov_b32 s11, 0
	s_delay_alu instid0(VALU_DEP_1)
	v_max_num_f32_e32 v1, v1, v7
.LBB6_1112:                             ;   in Loop: Header=BB6_130 Depth=2
	s_and_b32 vcc_lo, exec_lo, s11
	s_cbranch_vccz .LBB6_1134
; %bb.1113:                             ;   in Loop: Header=BB6_130 Depth=2
	v_dual_mov_b32 v7, 0 :: v_dual_mov_b32 v1, 0
	s_and_saveexec_b32 s11, s10
	s_cbranch_execz .LBB6_1123
; %bb.1114:                             ;   in Loop: Header=BB6_130 Depth=2
	v_bfrev_b32_e32 v1, 1
	s_mov_b32 s10, exec_lo
	v_cmpx_ne_u32_e32 0x80, v6
	s_cbranch_execz .LBB6_1122
; %bb.1115:                             ;   in Loop: Header=BB6_130 Depth=2
	v_and_b32_e32 v1, 0x7c000000, v51
	v_bfe_u32 v8, v51, 24, 2
	s_delay_alu instid0(VALU_DEP_2) | instskip(SKIP_1) | instid1(SALU_CYCLE_1)
	v_cmp_ne_u32_e32 vcc_lo, 0x7c000000, v1
                                        ; implicit-def: $vgpr1
	s_and_saveexec_b32 s15, vcc_lo
	s_xor_b32 s15, exec_lo, s15
	s_cbranch_execz .LBB6_1119
; %bb.1116:                             ;   in Loop: Header=BB6_130 Depth=2
	v_bfe_u32 v1, v51, 26, 5
	s_mov_b32 s42, exec_lo
	s_delay_alu instid0(VALU_DEP_1)
	v_cmpx_eq_u32_e32 0, v1
; %bb.1117:                             ;   in Loop: Header=BB6_130 Depth=2
	v_clz_i32_u32_e32 v1, v8
	s_delay_alu instid0(VALU_DEP_1) | instskip(NEXT) | instid1(VALU_DEP_1)
	v_min_u32_e32 v1, 32, v1
	v_subrev_nc_u32_e32 v8, 29, v1
	s_delay_alu instid0(VALU_DEP_1) | instskip(NEXT) | instid1(VALU_DEP_1)
	v_lshlrev_b64_e32 v[8:9], v8, v[6:7]
	v_dual_sub_nc_u32 v1, 30, v1 :: v_dual_bitop2_b32 v8, 3, v8 bitop3:0x40
; %bb.1118:                             ;   in Loop: Header=BB6_130 Depth=2
	s_or_b32 exec_lo, exec_lo, s42
	v_and_b32_e32 v6, 0x80000000, v51
                                        ; implicit-def: $vgpr50_vgpr51
	s_delay_alu instid0(VALU_DEP_1) | instskip(NEXT) | instid1(VALU_DEP_1)
	v_lshl_add_u32 v1, v1, 23, v6
	v_lshl_or_b32 v1, v8, 21, v1
                                        ; implicit-def: $vgpr8
	s_delay_alu instid0(VALU_DEP_1)
	v_add_nc_u32_e32 v1, 0x38000000, v1
.LBB6_1119:                             ;   in Loop: Header=BB6_130 Depth=2
	s_and_not1_saveexec_b32 s15, s15
; %bb.1120:                             ;   in Loop: Header=BB6_130 Depth=2
	v_cmp_lt_i64_e32 vcc_lo, -1, v[50:51]
	v_cndmask_b32_e32 v1, 0xff800000, v62, vcc_lo
	v_cmp_eq_u32_e32 vcc_lo, 0, v8
	s_delay_alu instid0(VALU_DEP_2)
	v_cndmask_b32_e32 v1, 0x7f800001, v1, vcc_lo
; %bb.1121:                             ;   in Loop: Header=BB6_130 Depth=2
	s_or_b32 exec_lo, exec_lo, s15
.LBB6_1122:                             ;   in Loop: Header=BB6_130 Depth=2
	s_delay_alu instid0(SALU_CYCLE_1)
	s_or_b32 exec_lo, exec_lo, s10
.LBB6_1123:                             ;   in Loop: Header=BB6_130 Depth=2
	s_delay_alu instid0(SALU_CYCLE_1) | instskip(NEXT) | instid1(SALU_CYCLE_1)
	s_or_b32 exec_lo, exec_lo, s11
	s_mov_b32 s10, exec_lo
	v_cmpx_lt_u64_e64 s[16:17], v[38:39]
	s_cbranch_execz .LBB6_1133
; %bb.1124:                             ;   in Loop: Header=BB6_130 Depth=2
	v_bfrev_b32_e32 v7, 1
	s_mov_b32 s11, exec_lo
	v_cmpx_ne_u32_e32 0x80, v0
	s_cbranch_execz .LBB6_1132
; %bb.1125:                             ;   in Loop: Header=BB6_130 Depth=2
	v_and_b32_e32 v7, 0x7c000000, v39
	v_bfe_u32 v6, v39, 24, 2
	s_delay_alu instid0(VALU_DEP_2) | instskip(SKIP_1) | instid1(SALU_CYCLE_1)
	v_cmp_ne_u32_e32 vcc_lo, 0x7c000000, v7
                                        ; implicit-def: $vgpr7
	s_and_saveexec_b32 s15, vcc_lo
	s_xor_b32 s15, exec_lo, s15
	s_cbranch_execz .LBB6_1129
; %bb.1126:                             ;   in Loop: Header=BB6_130 Depth=2
	v_bfe_u32 v7, v39, 26, 5
	s_mov_b32 s42, exec_lo
	s_delay_alu instid0(VALU_DEP_1)
	v_cmpx_eq_u32_e32 0, v7
; %bb.1127:                             ;   in Loop: Header=BB6_130 Depth=2
	v_clz_i32_u32_e32 v6, v6
	s_delay_alu instid0(VALU_DEP_1) | instskip(NEXT) | instid1(VALU_DEP_1)
	v_min_u32_e32 v8, 32, v6
	v_subrev_nc_u32_e32 v6, 29, v8
	s_delay_alu instid0(VALU_DEP_1) | instskip(NEXT) | instid1(VALU_DEP_1)
	v_lshlrev_b64_e32 v[6:7], v6, v[0:1]
	v_dual_sub_nc_u32 v7, 30, v8 :: v_dual_bitop2_b32 v6, 3, v6 bitop3:0x40
; %bb.1128:                             ;   in Loop: Header=BB6_130 Depth=2
	s_or_b32 exec_lo, exec_lo, s42
	v_and_b32_e32 v0, 0x80000000, v39
                                        ; implicit-def: $vgpr38_vgpr39
	s_delay_alu instid0(VALU_DEP_1) | instskip(NEXT) | instid1(VALU_DEP_1)
	v_lshl_add_u32 v0, v7, 23, v0
	v_lshl_or_b32 v0, v6, 21, v0
                                        ; implicit-def: $vgpr6
	s_delay_alu instid0(VALU_DEP_1)
	v_add_nc_u32_e32 v7, 0x38000000, v0
.LBB6_1129:                             ;   in Loop: Header=BB6_130 Depth=2
	s_and_not1_saveexec_b32 s15, s15
; %bb.1130:                             ;   in Loop: Header=BB6_130 Depth=2
	v_cmp_lt_i64_e32 vcc_lo, -1, v[38:39]
	v_cndmask_b32_e32 v0, 0xff800000, v62, vcc_lo
	v_cmp_eq_u32_e32 vcc_lo, 0, v6
	s_delay_alu instid0(VALU_DEP_2)
	v_cndmask_b32_e32 v7, 0x7f800001, v0, vcc_lo
; %bb.1131:                             ;   in Loop: Header=BB6_130 Depth=2
	s_or_b32 exec_lo, exec_lo, s15
.LBB6_1132:                             ;   in Loop: Header=BB6_130 Depth=2
	s_delay_alu instid0(SALU_CYCLE_1)
	s_or_b32 exec_lo, exec_lo, s11
.LBB6_1133:                             ;   in Loop: Header=BB6_130 Depth=2
	s_delay_alu instid0(SALU_CYCLE_1) | instskip(NEXT) | instid1(VALU_DEP_1)
	s_or_b32 exec_lo, exec_lo, s10
	v_dual_max_num_f32 v0, v7, v7 :: v_dual_max_num_f32 v1, v1, v1
	s_delay_alu instid0(VALU_DEP_1)
	v_min_num_f32_e32 v1, v1, v0
.LBB6_1134:                             ;   in Loop: Header=BB6_130 Depth=2
	s_delay_alu instid0(VALU_DEP_1) | instskip(SKIP_3) | instid1(VALU_DEP_2)
	v_and_b32_e32 v6, 0x7f800000, v1
	v_dual_mov_b32 v7, v25 :: v_dual_lshrrev_b32 v0, 24, v1
	v_and_b32_e32 v24, 0x7fffff, v1
                                        ; implicit-def: $vgpr38
	s_mov_b32 s10, exec_lo
	v_cmpx_ne_u64_e32 0x7f800000, v[6:7]
	s_xor_b32 s11, exec_lo, s10
	s_cbranch_execz .LBB6_1148
; %bb.1135:                             ;   in Loop: Header=BB6_130 Depth=2
	v_and_b32_e32 v6, 0x7fffffff, v1
	v_mov_b32_e32 v7, v25
	v_and_b32_e32 v8, 0x80, v0
                                        ; implicit-def: $vgpr38
	s_mov_b32 s10, exec_lo
	s_delay_alu instid0(VALU_DEP_2)
	v_cmpx_gt_u64_e32 0x47600001, v[6:7]
	s_xor_b32 s15, exec_lo, s10
	s_cbranch_execz .LBB6_1145
; %bb.1136:                             ;   in Loop: Header=BB6_130 Depth=2
	v_mov_b32_e32 v38, 0
	s_mov_b32 s42, exec_lo
	v_cmpx_ne_u32_e32 0, v1
	s_cbranch_execz .LBB6_1144
; %bb.1137:                             ;   in Loop: Header=BB6_130 Depth=2
	v_bfe_u32 v9, v1, 23, 8
	v_or_b32_e32 v6, 0x800000, v24
	s_delay_alu instid0(VALU_DEP_2) | instskip(SKIP_1) | instid1(VALU_DEP_2)
	v_sub_nc_u32_e32 v0, 0x71, v9
	v_cmp_gt_u32_e32 vcc_lo, 0x72, v9
	v_cndmask_b32_e32 v0, 0, v0, vcc_lo
	v_cmp_eq_u32_e32 vcc_lo, 0, v9
	s_delay_alu instid0(VALU_DEP_2) | instskip(NEXT) | instid1(VALU_DEP_1)
	v_cndmask_b32_e64 v38, v0, 0x70, vcc_lo
	v_dual_cndmask_b32 v24, v6, v24, vcc_lo :: v_dual_add_nc_u32 v0, 21, v38
	v_add_nc_u32_e32 v7, 20, v38
	s_delay_alu instid0(VALU_DEP_2) | instskip(NEXT) | instid1(VALU_DEP_2)
	v_lshlrev_b64_e64 v[0:1], v0, -1
	v_lshlrev_b64_e64 v[6:7], v7, 1
	s_delay_alu instid0(VALU_DEP_2) | instskip(NEXT) | instid1(VALU_DEP_3)
	v_bfi_b32 v51, v1, 0, 0
	v_bfi_b32 v50, v0, 0, v24
	v_lshrrev_b64 v[0:1], v38, v[24:25]
	s_delay_alu instid0(VALU_DEP_2) | instskip(NEXT) | instid1(VALU_DEP_2)
	v_cmp_eq_u64_e64 s10, v[50:51], v[6:7]
	v_mov_b64_e32 v[6:7], v[0:1]
	s_and_saveexec_b32 s43, s10
; %bb.1138:                             ;   in Loop: Header=BB6_130 Depth=2
	v_bfe_u32 v24, v0, 21, 1
	s_delay_alu instid0(VALU_DEP_1) | instskip(NEXT) | instid1(VALU_DEP_1)
	v_add_nc_u64_e32 v[6:7], v[0:1], v[24:25]
	v_add_nc_u64_e32 v[6:7], -1, v[6:7]
; %bb.1139:                             ;   in Loop: Header=BB6_130 Depth=2
	s_or_b32 exec_lo, exec_lo, s43
	v_add_nc_u32_e32 v1, 0xffffff81, v9
	v_lshrrev_b32_e32 v7, 23, v0
	s_mov_b32 s10, exec_lo
	s_delay_alu instid0(VALU_DEP_2) | instskip(NEXT) | instid1(VALU_DEP_1)
	v_cndmask_b32_e64 v1, v1, 0xffffff82, vcc_lo
	v_add3_u32 v7, v38, v1, v7
	v_and_b32_e32 v1, 0x1fffff, v6
                                        ; implicit-def: $vgpr6
	s_delay_alu instid0(VALU_DEP_1) | instskip(NEXT) | instid1(VALU_DEP_1)
	v_dual_add_nc_u32 v9, 14, v7 :: v_dual_add_nc_u32 v24, v1, v0
                                        ; implicit-def: $vgpr0_vgpr1
	v_cmpx_ne_u32_e32 0, v9
	s_xor_b32 s10, exec_lo, s10
; %bb.1140:                             ;   in Loop: Header=BB6_130 Depth=2
	s_delay_alu instid0(VALU_DEP_2) | instskip(SKIP_1) | instid1(VALU_DEP_1)
	v_cmp_lt_u64_e32 vcc_lo, 0xffffff, v[24:25]
	v_add_nc_u32_e32 v0, 15, v7
	v_cndmask_b32_e32 v6, v9, v0, vcc_lo
	v_cndmask_b32_e64 v0, 0, 1, vcc_lo
	s_delay_alu instid0(VALU_DEP_1)
	v_lshrrev_b64 v[0:1], v0, v[24:25]
; %bb.1141:                             ;   in Loop: Header=BB6_130 Depth=2
	s_and_not1_saveexec_b32 s10, s10
; %bb.1142:                             ;   in Loop: Header=BB6_130 Depth=2
	v_mov_b64_e32 v[0:1], v[24:25]
	v_bfe_u32 v6, v24, 23, 1
; %bb.1143:                             ;   in Loop: Header=BB6_130 Depth=2
	s_or_b32 exec_lo, exec_lo, s10
	s_delay_alu instid0(VALU_DEP_2) | instskip(NEXT) | instid1(VALU_DEP_2)
	v_lshrrev_b64 v[0:1], 21, v[0:1]
	v_cmp_gt_i32_e32 vcc_lo, 32, v6
	v_min_i32_e32 v7, 31, v6
	v_cmp_eq_u32_e64 s10, 0, v6
	s_delay_alu instid0(VALU_DEP_2) | instskip(SKIP_1) | instid1(VALU_DEP_2)
	v_dual_cndmask_b32 v1, 0, v1, vcc_lo :: v_dual_lshlrev_b32 v7, 2, v7
	v_cndmask_b32_e32 v0, 3, v0, vcc_lo
	v_and_b32_e32 v7, 0xfc, v7
	s_delay_alu instid0(VALU_DEP_2) | instskip(NEXT) | instid1(VALU_DEP_2)
	v_cmp_eq_u64_e32 vcc_lo, 0, v[0:1]
	v_and_or_b32 v0, v0, 3, v7
	s_and_b32 s10, s10, vcc_lo
	s_delay_alu instid0(VALU_DEP_1) | instid1(SALU_CYCLE_1)
	v_cndmask_b32_e64 v0, v0, 0, s10
	s_delay_alu instid0(VALU_DEP_1)
	v_or_b32_e32 v38, v0, v8
.LBB6_1144:                             ;   in Loop: Header=BB6_130 Depth=2
	s_or_b32 exec_lo, exec_lo, s42
                                        ; implicit-def: $vgpr8
.LBB6_1145:                             ;   in Loop: Header=BB6_130 Depth=2
	s_and_not1_saveexec_b32 s10, s15
; %bb.1146:                             ;   in Loop: Header=BB6_130 Depth=2
	v_or_b32_e32 v38, 0x7b, v8
; %bb.1147:                             ;   in Loop: Header=BB6_130 Depth=2
	s_or_b32 exec_lo, exec_lo, s10
                                        ; implicit-def: $vgpr1
                                        ; implicit-def: $vgpr0
.LBB6_1148:                             ;   in Loop: Header=BB6_130 Depth=2
	s_and_not1_saveexec_b32 s10, s11
	s_cbranch_execz .LBB6_1154
; %bb.1149:                             ;   in Loop: Header=BB6_130 Depth=2
	s_mov_b32 s11, exec_lo
                                        ; implicit-def: $vgpr38
	v_cmpx_ne_u64_e32 0, v[24:25]
	s_xor_b32 s11, exec_lo, s11
; %bb.1150:                             ;   in Loop: Header=BB6_130 Depth=2
	v_or_b32_e32 v38, 0x7f, v0
                                        ; implicit-def: $vgpr1
; %bb.1151:                             ;   in Loop: Header=BB6_130 Depth=2
	s_and_not1_saveexec_b32 s11, s11
; %bb.1152:                             ;   in Loop: Header=BB6_130 Depth=2
	v_cmp_lt_i32_e32 vcc_lo, -1, v1
	v_cndmask_b32_e32 v38, 0xfc, v93, vcc_lo
; %bb.1153:                             ;   in Loop: Header=BB6_130 Depth=2
	s_or_b32 exec_lo, exec_lo, s11
.LBB6_1154:                             ;   in Loop: Header=BB6_130 Depth=2
	s_delay_alu instid0(SALU_CYCLE_1)
	s_or_b32 exec_lo, exec_lo, s10
	s_wait_loadcnt 0x5
	v_and_b32_e32 v6, 0xff, v32
	v_bfe_i32 v1, v32, 0, 8
	s_wait_loadcnt 0x2
	v_bfe_i32 v0, v26, 0, 8
	s_and_not1_b32 vcc_lo, exec_lo, s14
	s_mov_b32 s11, -1
	v_cmp_ne_u16_e64 s10, 0, v6
                                        ; implicit-def: $vgpr6
	s_cbranch_vccnz .LBB6_1176
; %bb.1155:                             ;   in Loop: Header=BB6_130 Depth=2
	v_dual_mov_b32 v7, 0 :: v_dual_mov_b32 v6, 0
	s_and_saveexec_b32 s11, s10
	s_cbranch_execz .LBB6_1165
; %bb.1156:                             ;   in Loop: Header=BB6_130 Depth=2
	v_bfrev_b32_e32 v6, 1
	s_mov_b32 s15, exec_lo
	v_cmpx_ne_u16_e32 0xff80, v1
	s_cbranch_execz .LBB6_1164
; %bb.1157:                             ;   in Loop: Header=BB6_130 Depth=2
	v_and_b32_e32 v6, 0x7c, v32
	v_and_b32_e32 v8, 3, v32
	s_delay_alu instid0(VALU_DEP_2) | instskip(SKIP_1) | instid1(SALU_CYCLE_1)
	v_cmp_ne_u32_e32 vcc_lo, 0x7c, v6
                                        ; implicit-def: $vgpr6
	s_and_saveexec_b32 s42, vcc_lo
	s_xor_b32 s42, exec_lo, s42
	s_cbranch_execz .LBB6_1161
; %bb.1158:                             ;   in Loop: Header=BB6_130 Depth=2
	v_bfe_u32 v6, v32, 2, 5
	s_mov_b32 s43, exec_lo
	s_delay_alu instid0(VALU_DEP_1)
	v_cmpx_eq_u32_e32 0, v6
; %bb.1159:                             ;   in Loop: Header=BB6_130 Depth=2
	v_clz_i32_u32_e32 v6, v8
	s_delay_alu instid0(VALU_DEP_1) | instskip(NEXT) | instid1(VALU_DEP_1)
	v_min_u32_e32 v6, 32, v6
	v_subrev_nc_u32_e32 v8, 29, v6
	s_delay_alu instid0(VALU_DEP_1) | instskip(NEXT) | instid1(VALU_DEP_1)
	v_lshlrev_b64_e32 v[8:9], v8, v[32:33]
	v_dual_sub_nc_u32 v6, 30, v6 :: v_dual_bitop2_b32 v8, 3, v8 bitop3:0x40
; %bb.1160:                             ;   in Loop: Header=BB6_130 Depth=2
	s_or_b32 exec_lo, exec_lo, s43
	v_lshlrev_b32_e32 v9, 24, v32
	s_delay_alu instid0(VALU_DEP_1) | instskip(NEXT) | instid1(VALU_DEP_1)
	v_and_b32_e32 v9, 0x80000000, v9
	v_lshl_add_u32 v6, v6, 23, v9
	s_delay_alu instid0(VALU_DEP_1) | instskip(NEXT) | instid1(VALU_DEP_1)
	v_lshl_or_b32 v6, v8, 21, v6
                                        ; implicit-def: $vgpr8
	v_add_nc_u32_e32 v6, 0x38000000, v6
.LBB6_1161:                             ;   in Loop: Header=BB6_130 Depth=2
	s_and_not1_saveexec_b32 s42, s42
; %bb.1162:                             ;   in Loop: Header=BB6_130 Depth=2
	v_cmp_lt_i16_e32 vcc_lo, -1, v1
	v_cndmask_b32_e32 v6, 0xff800000, v62, vcc_lo
	v_cmp_eq_u32_e32 vcc_lo, 0, v8
	s_delay_alu instid0(VALU_DEP_2)
	v_cndmask_b32_e32 v6, 0x7f800001, v6, vcc_lo
; %bb.1163:                             ;   in Loop: Header=BB6_130 Depth=2
	s_or_b32 exec_lo, exec_lo, s42
.LBB6_1164:                             ;   in Loop: Header=BB6_130 Depth=2
	s_delay_alu instid0(SALU_CYCLE_1)
	s_or_b32 exec_lo, exec_lo, s15
.LBB6_1165:                             ;   in Loop: Header=BB6_130 Depth=2
	s_delay_alu instid0(SALU_CYCLE_1) | instskip(NEXT) | instid1(SALU_CYCLE_1)
	s_or_b32 exec_lo, exec_lo, s11
	s_mov_b32 s11, exec_lo
	v_cmpx_ne_u16_e32 0, v0
	s_cbranch_execz .LBB6_1175
; %bb.1166:                             ;   in Loop: Header=BB6_130 Depth=2
	v_bfrev_b32_e32 v7, 1
	s_mov_b32 s15, exec_lo
	v_cmpx_ne_u16_e32 0xff80, v0
	s_cbranch_execz .LBB6_1174
; %bb.1167:                             ;   in Loop: Header=BB6_130 Depth=2
	v_and_b32_e32 v7, 0x7c, v26
	v_and_b32_e32 v8, 3, v26
	s_delay_alu instid0(VALU_DEP_2) | instskip(SKIP_1) | instid1(SALU_CYCLE_1)
	v_cmp_ne_u32_e32 vcc_lo, 0x7c, v7
                                        ; implicit-def: $vgpr7
	s_and_saveexec_b32 s42, vcc_lo
	s_xor_b32 s42, exec_lo, s42
	s_cbranch_execz .LBB6_1171
; %bb.1168:                             ;   in Loop: Header=BB6_130 Depth=2
	v_bfe_u32 v7, v26, 2, 5
	s_mov_b32 s43, exec_lo
	s_delay_alu instid0(VALU_DEP_1)
	v_cmpx_eq_u32_e32 0, v7
; %bb.1169:                             ;   in Loop: Header=BB6_130 Depth=2
	v_clz_i32_u32_e32 v7, v8
	s_delay_alu instid0(VALU_DEP_1) | instskip(NEXT) | instid1(VALU_DEP_1)
	v_min_u32_e32 v7, 32, v7
	v_subrev_nc_u32_e32 v8, 29, v7
	s_delay_alu instid0(VALU_DEP_1) | instskip(NEXT) | instid1(VALU_DEP_1)
	v_lshlrev_b64_e32 v[8:9], v8, v[26:27]
	v_dual_sub_nc_u32 v7, 30, v7 :: v_dual_bitop2_b32 v8, 3, v8 bitop3:0x40
; %bb.1170:                             ;   in Loop: Header=BB6_130 Depth=2
	s_or_b32 exec_lo, exec_lo, s43
	v_lshlrev_b32_e32 v9, 24, v26
	s_delay_alu instid0(VALU_DEP_1) | instskip(NEXT) | instid1(VALU_DEP_1)
	v_and_b32_e32 v9, 0x80000000, v9
	v_lshl_add_u32 v7, v7, 23, v9
	s_delay_alu instid0(VALU_DEP_1) | instskip(NEXT) | instid1(VALU_DEP_1)
	v_lshl_or_b32 v7, v8, 21, v7
                                        ; implicit-def: $vgpr8
	v_add_nc_u32_e32 v7, 0x38000000, v7
.LBB6_1171:                             ;   in Loop: Header=BB6_130 Depth=2
	s_and_not1_saveexec_b32 s42, s42
; %bb.1172:                             ;   in Loop: Header=BB6_130 Depth=2
	v_cmp_lt_i16_e32 vcc_lo, -1, v0
	v_cndmask_b32_e32 v7, 0xff800000, v62, vcc_lo
	v_cmp_eq_u32_e32 vcc_lo, 0, v8
	s_delay_alu instid0(VALU_DEP_2)
	v_cndmask_b32_e32 v7, 0x7f800001, v7, vcc_lo
; %bb.1173:                             ;   in Loop: Header=BB6_130 Depth=2
	s_or_b32 exec_lo, exec_lo, s42
.LBB6_1174:                             ;   in Loop: Header=BB6_130 Depth=2
	s_delay_alu instid0(SALU_CYCLE_1)
	s_or_b32 exec_lo, exec_lo, s15
.LBB6_1175:                             ;   in Loop: Header=BB6_130 Depth=2
	s_delay_alu instid0(SALU_CYCLE_1) | instskip(NEXT) | instid1(VALU_DEP_1)
	s_or_b32 exec_lo, exec_lo, s11
	v_dual_max_num_f32 v7, v7, v7 :: v_dual_max_num_f32 v6, v6, v6
	s_mov_b32 s11, 0
	s_delay_alu instid0(VALU_DEP_1)
	v_max_num_f32_e32 v6, v6, v7
.LBB6_1176:                             ;   in Loop: Header=BB6_130 Depth=2
	s_and_b32 vcc_lo, exec_lo, s11
	s_cbranch_vccz .LBB6_1198
; %bb.1177:                             ;   in Loop: Header=BB6_130 Depth=2
	v_dual_mov_b32 v7, 0 :: v_dual_mov_b32 v6, 0
	s_and_saveexec_b32 s11, s10
	s_cbranch_execz .LBB6_1187
; %bb.1178:                             ;   in Loop: Header=BB6_130 Depth=2
	v_bfrev_b32_e32 v6, 1
	s_mov_b32 s10, exec_lo
	v_cmpx_ne_u16_e32 0xff80, v1
	s_cbranch_execz .LBB6_1186
; %bb.1179:                             ;   in Loop: Header=BB6_130 Depth=2
	v_and_b32_e32 v6, 0x7c, v32
	v_and_b32_e32 v8, 3, v32
	s_delay_alu instid0(VALU_DEP_2) | instskip(SKIP_1) | instid1(SALU_CYCLE_1)
	v_cmp_ne_u32_e32 vcc_lo, 0x7c, v6
                                        ; implicit-def: $vgpr6
	s_and_saveexec_b32 s15, vcc_lo
	s_xor_b32 s15, exec_lo, s15
	s_cbranch_execz .LBB6_1183
; %bb.1180:                             ;   in Loop: Header=BB6_130 Depth=2
	v_bfe_u32 v1, v32, 2, 5
	s_mov_b32 s42, exec_lo
	s_delay_alu instid0(VALU_DEP_1)
	v_cmpx_eq_u32_e32 0, v1
; %bb.1181:                             ;   in Loop: Header=BB6_130 Depth=2
	v_clz_i32_u32_e32 v1, v8
	s_delay_alu instid0(VALU_DEP_1) | instskip(NEXT) | instid1(VALU_DEP_1)
	v_min_u32_e32 v1, 32, v1
	v_subrev_nc_u32_e32 v6, 29, v1
	s_delay_alu instid0(VALU_DEP_1) | instskip(NEXT) | instid1(VALU_DEP_1)
	v_lshlrev_b64_e32 v[8:9], v6, v[32:33]
	v_dual_sub_nc_u32 v1, 30, v1 :: v_dual_bitop2_b32 v8, 3, v8 bitop3:0x40
; %bb.1182:                             ;   in Loop: Header=BB6_130 Depth=2
	s_or_b32 exec_lo, exec_lo, s42
	v_lshlrev_b32_e32 v6, 24, v32
	s_delay_alu instid0(VALU_DEP_1) | instskip(NEXT) | instid1(VALU_DEP_1)
	v_and_b32_e32 v6, 0x80000000, v6
	v_lshl_add_u32 v1, v1, 23, v6
	s_delay_alu instid0(VALU_DEP_1) | instskip(NEXT) | instid1(VALU_DEP_1)
	v_lshl_or_b32 v1, v8, 21, v1
                                        ; implicit-def: $vgpr8
	v_add_nc_u32_e32 v6, 0x38000000, v1
                                        ; implicit-def: $vgpr1
.LBB6_1183:                             ;   in Loop: Header=BB6_130 Depth=2
	s_and_not1_saveexec_b32 s15, s15
; %bb.1184:                             ;   in Loop: Header=BB6_130 Depth=2
	v_cmp_lt_i16_e32 vcc_lo, -1, v1
	v_cndmask_b32_e32 v1, 0xff800000, v62, vcc_lo
	v_cmp_eq_u32_e32 vcc_lo, 0, v8
	s_delay_alu instid0(VALU_DEP_2)
	v_cndmask_b32_e32 v6, 0x7f800001, v1, vcc_lo
; %bb.1185:                             ;   in Loop: Header=BB6_130 Depth=2
	s_or_b32 exec_lo, exec_lo, s15
.LBB6_1186:                             ;   in Loop: Header=BB6_130 Depth=2
	s_delay_alu instid0(SALU_CYCLE_1)
	s_or_b32 exec_lo, exec_lo, s10
.LBB6_1187:                             ;   in Loop: Header=BB6_130 Depth=2
	s_delay_alu instid0(SALU_CYCLE_1) | instskip(NEXT) | instid1(SALU_CYCLE_1)
	s_or_b32 exec_lo, exec_lo, s11
	s_mov_b32 s10, exec_lo
	v_cmpx_ne_u16_e32 0, v0
	s_cbranch_execz .LBB6_1197
; %bb.1188:                             ;   in Loop: Header=BB6_130 Depth=2
	v_bfrev_b32_e32 v7, 1
	s_mov_b32 s11, exec_lo
	v_cmpx_ne_u16_e32 0xff80, v0
	s_cbranch_execz .LBB6_1196
; %bb.1189:                             ;   in Loop: Header=BB6_130 Depth=2
	v_and_b32_e32 v7, 0x7c, v26
	v_and_b32_e32 v1, 3, v26
	s_delay_alu instid0(VALU_DEP_2) | instskip(SKIP_1) | instid1(SALU_CYCLE_1)
	v_cmp_ne_u32_e32 vcc_lo, 0x7c, v7
                                        ; implicit-def: $vgpr7
	s_and_saveexec_b32 s15, vcc_lo
	s_xor_b32 s15, exec_lo, s15
	s_cbranch_execz .LBB6_1193
; %bb.1190:                             ;   in Loop: Header=BB6_130 Depth=2
	v_bfe_u32 v0, v26, 2, 5
	s_mov_b32 s42, exec_lo
	s_delay_alu instid0(VALU_DEP_1)
	v_cmpx_eq_u32_e32 0, v0
; %bb.1191:                             ;   in Loop: Header=BB6_130 Depth=2
	v_clz_i32_u32_e32 v0, v1
	s_delay_alu instid0(VALU_DEP_1) | instskip(NEXT) | instid1(VALU_DEP_1)
	v_min_u32_e32 v0, 32, v0
	v_subrev_nc_u32_e32 v1, 29, v0
	v_sub_nc_u32_e32 v0, 30, v0
	s_delay_alu instid0(VALU_DEP_2) | instskip(NEXT) | instid1(VALU_DEP_1)
	v_lshlrev_b64_e32 v[8:9], v1, v[26:27]
	v_and_b32_e32 v1, 3, v8
; %bb.1192:                             ;   in Loop: Header=BB6_130 Depth=2
	s_or_b32 exec_lo, exec_lo, s42
	v_lshlrev_b32_e32 v7, 24, v26
	s_delay_alu instid0(VALU_DEP_1) | instskip(NEXT) | instid1(VALU_DEP_1)
	v_and_b32_e32 v7, 0x80000000, v7
	v_lshl_add_u32 v0, v0, 23, v7
	s_delay_alu instid0(VALU_DEP_1) | instskip(NEXT) | instid1(VALU_DEP_1)
	v_lshl_or_b32 v0, v1, 21, v0
                                        ; implicit-def: $vgpr1
	v_add_nc_u32_e32 v7, 0x38000000, v0
                                        ; implicit-def: $vgpr0
.LBB6_1193:                             ;   in Loop: Header=BB6_130 Depth=2
	s_and_not1_saveexec_b32 s15, s15
; %bb.1194:                             ;   in Loop: Header=BB6_130 Depth=2
	v_cmp_lt_i16_e32 vcc_lo, -1, v0
	v_cndmask_b32_e32 v0, 0xff800000, v62, vcc_lo
	v_cmp_eq_u32_e32 vcc_lo, 0, v1
	s_delay_alu instid0(VALU_DEP_2)
	v_cndmask_b32_e32 v7, 0x7f800001, v0, vcc_lo
; %bb.1195:                             ;   in Loop: Header=BB6_130 Depth=2
	s_or_b32 exec_lo, exec_lo, s15
.LBB6_1196:                             ;   in Loop: Header=BB6_130 Depth=2
	s_delay_alu instid0(SALU_CYCLE_1)
	s_or_b32 exec_lo, exec_lo, s11
.LBB6_1197:                             ;   in Loop: Header=BB6_130 Depth=2
	s_delay_alu instid0(SALU_CYCLE_1) | instskip(NEXT) | instid1(VALU_DEP_1)
	s_or_b32 exec_lo, exec_lo, s10
	v_dual_max_num_f32 v0, v7, v7 :: v_dual_max_num_f32 v1, v6, v6
	s_delay_alu instid0(VALU_DEP_1)
	v_min_num_f32_e32 v6, v1, v0
.LBB6_1198:                             ;   in Loop: Header=BB6_130 Depth=2
	s_delay_alu instid0(VALU_DEP_1) | instskip(SKIP_2) | instid1(VALU_DEP_2)
	v_and_b32_e32 v0, 0x7f800000, v6
	v_mov_b32_e32 v1, v25
	v_and_b32_e32 v24, 0x7fffff, v6
                                        ; implicit-def: $vgpr39
	v_cmp_ne_u64_e32 vcc_lo, 0x7f800000, v[0:1]
	v_lshrrev_b32_e32 v0, 24, v6
	s_and_saveexec_b32 s10, vcc_lo
	s_delay_alu instid0(SALU_CYCLE_1)
	s_xor_b32 s11, exec_lo, s10
	s_cbranch_execz .LBB6_1212
; %bb.1199:                             ;   in Loop: Header=BB6_130 Depth=2
	v_and_b32_e32 v8, 0x7fffffff, v6
	v_mov_b32_e32 v9, v25
                                        ; implicit-def: $vgpr39
	s_delay_alu instid0(VALU_DEP_1) | instskip(SKIP_2) | instid1(SALU_CYCLE_1)
	v_cmp_gt_u64_e32 vcc_lo, 0x47600001, v[8:9]
	v_and_b32_e32 v8, 0x80, v0
	s_and_saveexec_b32 s10, vcc_lo
	s_xor_b32 s15, exec_lo, s10
	s_cbranch_execz .LBB6_1209
; %bb.1200:                             ;   in Loop: Header=BB6_130 Depth=2
	v_mov_b32_e32 v39, 0
	s_mov_b32 s42, exec_lo
	v_cmpx_ne_u32_e32 0, v6
	s_cbranch_execz .LBB6_1208
; %bb.1201:                             ;   in Loop: Header=BB6_130 Depth=2
	v_bfe_u32 v9, v6, 23, 8
	v_or_b32_e32 v6, 0x800000, v24
	s_delay_alu instid0(VALU_DEP_2) | instskip(SKIP_1) | instid1(VALU_DEP_2)
	v_sub_nc_u32_e32 v0, 0x71, v9
	v_cmp_gt_u32_e32 vcc_lo, 0x72, v9
	v_cndmask_b32_e32 v0, 0, v0, vcc_lo
	v_cmp_eq_u32_e32 vcc_lo, 0, v9
	s_delay_alu instid0(VALU_DEP_2) | instskip(NEXT) | instid1(VALU_DEP_1)
	v_cndmask_b32_e64 v39, v0, 0x70, vcc_lo
	v_dual_cndmask_b32 v24, v6, v24, vcc_lo :: v_dual_add_nc_u32 v0, 21, v39
	v_add_nc_u32_e32 v7, 20, v39
	s_delay_alu instid0(VALU_DEP_2) | instskip(NEXT) | instid1(VALU_DEP_2)
	v_lshlrev_b64_e64 v[0:1], v0, -1
	v_lshlrev_b64_e64 v[6:7], v7, 1
	s_delay_alu instid0(VALU_DEP_2) | instskip(NEXT) | instid1(VALU_DEP_3)
	v_bfi_b32 v51, v1, 0, 0
	v_bfi_b32 v50, v0, 0, v24
	v_lshrrev_b64 v[0:1], v39, v[24:25]
	s_delay_alu instid0(VALU_DEP_2) | instskip(NEXT) | instid1(VALU_DEP_2)
	v_cmp_eq_u64_e64 s10, v[50:51], v[6:7]
	v_mov_b64_e32 v[6:7], v[0:1]
	s_and_saveexec_b32 s43, s10
; %bb.1202:                             ;   in Loop: Header=BB6_130 Depth=2
	v_bfe_u32 v24, v0, 21, 1
	s_delay_alu instid0(VALU_DEP_1) | instskip(NEXT) | instid1(VALU_DEP_1)
	v_add_nc_u64_e32 v[6:7], v[0:1], v[24:25]
	v_add_nc_u64_e32 v[6:7], -1, v[6:7]
; %bb.1203:                             ;   in Loop: Header=BB6_130 Depth=2
	s_or_b32 exec_lo, exec_lo, s43
	v_add_nc_u32_e32 v1, 0xffffff81, v9
	v_lshrrev_b32_e32 v7, 23, v0
	s_mov_b32 s10, exec_lo
	s_delay_alu instid0(VALU_DEP_2) | instskip(NEXT) | instid1(VALU_DEP_1)
	v_cndmask_b32_e64 v1, v1, 0xffffff82, vcc_lo
	v_add3_u32 v7, v39, v1, v7
	v_and_b32_e32 v1, 0x1fffff, v6
                                        ; implicit-def: $vgpr6
	s_delay_alu instid0(VALU_DEP_1) | instskip(NEXT) | instid1(VALU_DEP_1)
	v_dual_add_nc_u32 v9, 14, v7 :: v_dual_add_nc_u32 v24, v1, v0
                                        ; implicit-def: $vgpr0_vgpr1
	v_cmpx_ne_u32_e32 0, v9
	s_xor_b32 s10, exec_lo, s10
; %bb.1204:                             ;   in Loop: Header=BB6_130 Depth=2
	s_delay_alu instid0(VALU_DEP_2) | instskip(SKIP_1) | instid1(VALU_DEP_1)
	v_cmp_lt_u64_e32 vcc_lo, 0xffffff, v[24:25]
	v_add_nc_u32_e32 v0, 15, v7
	v_cndmask_b32_e32 v6, v9, v0, vcc_lo
	v_cndmask_b32_e64 v0, 0, 1, vcc_lo
	s_delay_alu instid0(VALU_DEP_1)
	v_lshrrev_b64 v[0:1], v0, v[24:25]
; %bb.1205:                             ;   in Loop: Header=BB6_130 Depth=2
	s_and_not1_saveexec_b32 s10, s10
; %bb.1206:                             ;   in Loop: Header=BB6_130 Depth=2
	v_mov_b64_e32 v[0:1], v[24:25]
	v_bfe_u32 v6, v24, 23, 1
; %bb.1207:                             ;   in Loop: Header=BB6_130 Depth=2
	s_or_b32 exec_lo, exec_lo, s10
	s_delay_alu instid0(VALU_DEP_2) | instskip(NEXT) | instid1(VALU_DEP_2)
	v_lshrrev_b64 v[0:1], 21, v[0:1]
	v_cmp_gt_i32_e32 vcc_lo, 32, v6
	v_min_i32_e32 v7, 31, v6
	v_cmp_eq_u32_e64 s10, 0, v6
	s_delay_alu instid0(VALU_DEP_2) | instskip(SKIP_1) | instid1(VALU_DEP_2)
	v_dual_cndmask_b32 v1, 0, v1, vcc_lo :: v_dual_lshlrev_b32 v7, 2, v7
	v_cndmask_b32_e32 v0, 3, v0, vcc_lo
	v_and_b32_e32 v7, 0xfc, v7
	s_delay_alu instid0(VALU_DEP_2) | instskip(NEXT) | instid1(VALU_DEP_2)
	v_cmp_eq_u64_e32 vcc_lo, 0, v[0:1]
	v_and_or_b32 v0, v0, 3, v7
	s_and_b32 s10, s10, vcc_lo
	s_delay_alu instid0(VALU_DEP_1) | instid1(SALU_CYCLE_1)
	v_cndmask_b32_e64 v0, v0, 0, s10
	s_delay_alu instid0(VALU_DEP_1)
	v_or_b32_e32 v39, v0, v8
.LBB6_1208:                             ;   in Loop: Header=BB6_130 Depth=2
	s_or_b32 exec_lo, exec_lo, s42
                                        ; implicit-def: $vgpr8
.LBB6_1209:                             ;   in Loop: Header=BB6_130 Depth=2
	s_and_not1_saveexec_b32 s10, s15
; %bb.1210:                             ;   in Loop: Header=BB6_130 Depth=2
	v_or_b32_e32 v39, 0x7b, v8
; %bb.1211:                             ;   in Loop: Header=BB6_130 Depth=2
	s_or_b32 exec_lo, exec_lo, s10
                                        ; implicit-def: $vgpr6
                                        ; implicit-def: $vgpr0
.LBB6_1212:                             ;   in Loop: Header=BB6_130 Depth=2
	s_and_not1_saveexec_b32 s10, s11
	s_cbranch_execz .LBB6_1218
; %bb.1213:                             ;   in Loop: Header=BB6_130 Depth=2
	s_mov_b32 s11, exec_lo
                                        ; implicit-def: $vgpr39
	v_cmpx_ne_u64_e32 0, v[24:25]
	s_xor_b32 s11, exec_lo, s11
; %bb.1214:                             ;   in Loop: Header=BB6_130 Depth=2
	v_or_b32_e32 v39, 0x7f, v0
                                        ; implicit-def: $vgpr6
; %bb.1215:                             ;   in Loop: Header=BB6_130 Depth=2
	s_and_not1_saveexec_b32 s11, s11
; %bb.1216:                             ;   in Loop: Header=BB6_130 Depth=2
	v_cmp_lt_i32_e32 vcc_lo, -1, v6
	v_cndmask_b32_e32 v39, 0xfc, v93, vcc_lo
; %bb.1217:                             ;   in Loop: Header=BB6_130 Depth=2
	s_or_b32 exec_lo, exec_lo, s11
.LBB6_1218:                             ;   in Loop: Header=BB6_130 Depth=2
	s_delay_alu instid0(SALU_CYCLE_1) | instskip(SKIP_4) | instid1(VALU_DEP_2)
	s_or_b32 exec_lo, exec_lo, s10
	v_lshrrev_b16 v24, 8, v32
	v_lshrrev_b16 v0, 8, v26
	s_and_not1_b32 vcc_lo, exec_lo, s14
	s_mov_b32 s11, -1
                                        ; implicit-def: $vgpr1
	v_and_b32_e32 v6, 0xffff, v24
	v_cmp_ne_u16_e64 s10, 0, v24
	s_cbranch_vccnz .LBB6_1240
; %bb.1219:                             ;   in Loop: Header=BB6_130 Depth=2
	v_dual_mov_b32 v1, 0 :: v_dual_mov_b32 v7, 0
	s_and_saveexec_b32 s11, s10
	s_cbranch_execz .LBB6_1229
; %bb.1220:                             ;   in Loop: Header=BB6_130 Depth=2
	v_bfrev_b32_e32 v7, 1
	s_mov_b32 s15, exec_lo
	v_cmpx_ne_u16_e32 0x80, v24
	s_cbranch_execz .LBB6_1228
; %bb.1221:                             ;   in Loop: Header=BB6_130 Depth=2
	v_and_b32_e32 v7, 0x7c, v6
	v_and_b32_e32 v8, 3, v6
	s_delay_alu instid0(VALU_DEP_2) | instskip(SKIP_1) | instid1(SALU_CYCLE_1)
	v_cmp_ne_u32_e32 vcc_lo, 0x7c, v7
                                        ; implicit-def: $vgpr7
	s_and_saveexec_b32 s42, vcc_lo
	s_xor_b32 s42, exec_lo, s42
	s_cbranch_execz .LBB6_1225
; %bb.1222:                             ;   in Loop: Header=BB6_130 Depth=2
	v_bfe_u32 v7, v6, 2, 5
	s_mov_b32 s43, exec_lo
	s_delay_alu instid0(VALU_DEP_1)
	v_cmpx_eq_u32_e32 0, v7
; %bb.1223:                             ;   in Loop: Header=BB6_130 Depth=2
	v_clz_i32_u32_e32 v7, v8
	s_delay_alu instid0(VALU_DEP_1) | instskip(NEXT) | instid1(VALU_DEP_1)
	v_min_u32_e32 v7, 32, v7
	v_subrev_nc_u32_e32 v8, 29, v7
	s_delay_alu instid0(VALU_DEP_1) | instskip(NEXT) | instid1(VALU_DEP_1)
	v_lshlrev_b64_e32 v[8:9], v8, v[24:25]
	v_dual_sub_nc_u32 v7, 30, v7 :: v_dual_bitop2_b32 v8, 3, v8 bitop3:0x40
; %bb.1224:                             ;   in Loop: Header=BB6_130 Depth=2
	s_or_b32 exec_lo, exec_lo, s43
	v_lshlrev_b32_e32 v9, 16, v32
	s_delay_alu instid0(VALU_DEP_1) | instskip(NEXT) | instid1(VALU_DEP_1)
	v_and_b32_e32 v9, 0x80000000, v9
	v_lshl_add_u32 v7, v7, 23, v9
	s_delay_alu instid0(VALU_DEP_1) | instskip(NEXT) | instid1(VALU_DEP_1)
	v_lshl_or_b32 v7, v8, 21, v7
                                        ; implicit-def: $vgpr8
	v_add_nc_u32_e32 v7, 0x38000000, v7
.LBB6_1225:                             ;   in Loop: Header=BB6_130 Depth=2
	s_and_not1_saveexec_b32 s42, s42
; %bb.1226:                             ;   in Loop: Header=BB6_130 Depth=2
	v_cmp_lt_i16_e32 vcc_lo, -1, v32
	v_cndmask_b32_e32 v7, 0xff800000, v62, vcc_lo
	v_cmp_eq_u32_e32 vcc_lo, 0, v8
	s_delay_alu instid0(VALU_DEP_2)
	v_cndmask_b32_e32 v7, 0x7f800001, v7, vcc_lo
; %bb.1227:                             ;   in Loop: Header=BB6_130 Depth=2
	s_or_b32 exec_lo, exec_lo, s42
.LBB6_1228:                             ;   in Loop: Header=BB6_130 Depth=2
	s_delay_alu instid0(SALU_CYCLE_1)
	s_or_b32 exec_lo, exec_lo, s15
.LBB6_1229:                             ;   in Loop: Header=BB6_130 Depth=2
	s_delay_alu instid0(SALU_CYCLE_1) | instskip(NEXT) | instid1(SALU_CYCLE_1)
	s_or_b32 exec_lo, exec_lo, s11
	s_mov_b32 s11, exec_lo
	v_cmpx_ne_u16_e32 0, v0
	s_cbranch_execz .LBB6_1239
; %bb.1230:                             ;   in Loop: Header=BB6_130 Depth=2
	v_bfrev_b32_e32 v1, 1
	s_mov_b32 s15, exec_lo
	v_cmpx_ne_u16_e32 0x80, v0
	s_cbranch_execz .LBB6_1238
; %bb.1231:                             ;   in Loop: Header=BB6_130 Depth=2
	v_and_b32_e32 v9, 0xffff, v0
	s_delay_alu instid0(VALU_DEP_1) | instskip(SKIP_1) | instid1(VALU_DEP_2)
	v_and_b32_e32 v1, 0x7c, v9
	v_and_b32_e32 v8, 3, v9
	v_cmp_ne_u32_e32 vcc_lo, 0x7c, v1
                                        ; implicit-def: $vgpr1
	s_and_saveexec_b32 s42, vcc_lo
	s_delay_alu instid0(SALU_CYCLE_1)
	s_xor_b32 s42, exec_lo, s42
	s_cbranch_execz .LBB6_1235
; %bb.1232:                             ;   in Loop: Header=BB6_130 Depth=2
	v_bfe_u32 v1, v9, 2, 5
	s_mov_b32 s43, exec_lo
	s_delay_alu instid0(VALU_DEP_1)
	v_cmpx_eq_u32_e32 0, v1
; %bb.1233:                             ;   in Loop: Header=BB6_130 Depth=2
	v_clz_i32_u32_e32 v1, v8
	s_delay_alu instid0(VALU_DEP_1) | instskip(SKIP_1) | instid1(VALU_DEP_2)
	v_min_u32_e32 v50, 32, v1
	v_mov_b32_e32 v1, v25
	v_subrev_nc_u32_e32 v8, 29, v50
	s_delay_alu instid0(VALU_DEP_1) | instskip(NEXT) | instid1(VALU_DEP_1)
	v_lshlrev_b64_e32 v[8:9], v8, v[0:1]
	v_dual_sub_nc_u32 v1, 30, v50 :: v_dual_bitop2_b32 v8, 3, v8 bitop3:0x40
; %bb.1234:                             ;   in Loop: Header=BB6_130 Depth=2
	s_or_b32 exec_lo, exec_lo, s43
	v_lshlrev_b32_e32 v9, 16, v26
	s_delay_alu instid0(VALU_DEP_1) | instskip(NEXT) | instid1(VALU_DEP_1)
	v_and_b32_e32 v9, 0x80000000, v9
	v_lshl_add_u32 v1, v1, 23, v9
	s_delay_alu instid0(VALU_DEP_1) | instskip(NEXT) | instid1(VALU_DEP_1)
	v_lshl_or_b32 v1, v8, 21, v1
                                        ; implicit-def: $vgpr8
	v_add_nc_u32_e32 v1, 0x38000000, v1
.LBB6_1235:                             ;   in Loop: Header=BB6_130 Depth=2
	s_and_not1_saveexec_b32 s42, s42
; %bb.1236:                             ;   in Loop: Header=BB6_130 Depth=2
	v_cmp_lt_i16_e32 vcc_lo, -1, v26
	v_cndmask_b32_e32 v1, 0xff800000, v62, vcc_lo
	v_cmp_eq_u32_e32 vcc_lo, 0, v8
	s_delay_alu instid0(VALU_DEP_2)
	v_cndmask_b32_e32 v1, 0x7f800001, v1, vcc_lo
; %bb.1237:                             ;   in Loop: Header=BB6_130 Depth=2
	s_or_b32 exec_lo, exec_lo, s42
.LBB6_1238:                             ;   in Loop: Header=BB6_130 Depth=2
	s_delay_alu instid0(SALU_CYCLE_1)
	s_or_b32 exec_lo, exec_lo, s15
.LBB6_1239:                             ;   in Loop: Header=BB6_130 Depth=2
	s_delay_alu instid0(SALU_CYCLE_1) | instskip(NEXT) | instid1(VALU_DEP_1)
	s_or_b32 exec_lo, exec_lo, s11
	v_dual_max_num_f32 v1, v1, v1 :: v_dual_max_num_f32 v7, v7, v7
	s_mov_b32 s11, 0
	s_delay_alu instid0(VALU_DEP_1)
	v_max_num_f32_e32 v1, v7, v1
.LBB6_1240:                             ;   in Loop: Header=BB6_130 Depth=2
	s_and_b32 vcc_lo, exec_lo, s11
	s_cbranch_vccz .LBB6_1262
; %bb.1241:                             ;   in Loop: Header=BB6_130 Depth=2
	v_dual_mov_b32 v1, 0 :: v_dual_mov_b32 v7, 0
	s_and_saveexec_b32 s11, s10
	s_cbranch_execz .LBB6_1251
; %bb.1242:                             ;   in Loop: Header=BB6_130 Depth=2
	v_bfrev_b32_e32 v7, 1
	s_mov_b32 s10, exec_lo
	v_cmpx_ne_u16_e32 0x80, v24
	s_cbranch_execz .LBB6_1250
; %bb.1243:                             ;   in Loop: Header=BB6_130 Depth=2
	v_and_b32_e32 v7, 0x7c, v6
	v_and_b32_e32 v8, 3, v6
	s_delay_alu instid0(VALU_DEP_2) | instskip(SKIP_1) | instid1(SALU_CYCLE_1)
	v_cmp_ne_u32_e32 vcc_lo, 0x7c, v7
                                        ; implicit-def: $vgpr7
	s_and_saveexec_b32 s15, vcc_lo
	s_xor_b32 s15, exec_lo, s15
	s_cbranch_execz .LBB6_1247
; %bb.1244:                             ;   in Loop: Header=BB6_130 Depth=2
	v_bfe_u32 v6, v6, 2, 5
	s_mov_b32 s42, exec_lo
	s_delay_alu instid0(VALU_DEP_1)
	v_cmpx_eq_u32_e32 0, v6
; %bb.1245:                             ;   in Loop: Header=BB6_130 Depth=2
	v_clz_i32_u32_e32 v6, v8
	s_delay_alu instid0(VALU_DEP_1) | instskip(NEXT) | instid1(VALU_DEP_1)
	v_min_u32_e32 v6, 32, v6
	v_subrev_nc_u32_e32 v7, 29, v6
	s_delay_alu instid0(VALU_DEP_1) | instskip(NEXT) | instid1(VALU_DEP_1)
	v_lshlrev_b64_e32 v[8:9], v7, v[24:25]
	v_dual_sub_nc_u32 v6, 30, v6 :: v_dual_bitop2_b32 v8, 3, v8 bitop3:0x40
; %bb.1246:                             ;   in Loop: Header=BB6_130 Depth=2
	s_or_b32 exec_lo, exec_lo, s42
	v_lshlrev_b32_e32 v7, 16, v32
	s_delay_alu instid0(VALU_DEP_1) | instskip(NEXT) | instid1(VALU_DEP_1)
	v_and_b32_e32 v7, 0x80000000, v7
	v_lshl_add_u32 v6, v6, 23, v7
	s_delay_alu instid0(VALU_DEP_1) | instskip(NEXT) | instid1(VALU_DEP_1)
	v_lshl_or_b32 v6, v8, 21, v6
                                        ; implicit-def: $vgpr8
	v_add_nc_u32_e32 v7, 0x38000000, v6
.LBB6_1247:                             ;   in Loop: Header=BB6_130 Depth=2
	s_and_not1_saveexec_b32 s15, s15
; %bb.1248:                             ;   in Loop: Header=BB6_130 Depth=2
	v_cmp_lt_i16_e32 vcc_lo, -1, v32
	v_cndmask_b32_e32 v6, 0xff800000, v62, vcc_lo
	v_cmp_eq_u32_e32 vcc_lo, 0, v8
	s_delay_alu instid0(VALU_DEP_2)
	v_cndmask_b32_e32 v7, 0x7f800001, v6, vcc_lo
; %bb.1249:                             ;   in Loop: Header=BB6_130 Depth=2
	s_or_b32 exec_lo, exec_lo, s15
.LBB6_1250:                             ;   in Loop: Header=BB6_130 Depth=2
	s_delay_alu instid0(SALU_CYCLE_1)
	s_or_b32 exec_lo, exec_lo, s10
.LBB6_1251:                             ;   in Loop: Header=BB6_130 Depth=2
	s_delay_alu instid0(SALU_CYCLE_1) | instskip(NEXT) | instid1(SALU_CYCLE_1)
	s_or_b32 exec_lo, exec_lo, s11
	s_mov_b32 s10, exec_lo
	v_cmpx_ne_u16_e32 0, v0
	s_cbranch_execz .LBB6_1261
; %bb.1252:                             ;   in Loop: Header=BB6_130 Depth=2
	v_bfrev_b32_e32 v1, 1
	s_mov_b32 s11, exec_lo
	v_cmpx_ne_u16_e32 0x80, v0
	s_cbranch_execz .LBB6_1260
; %bb.1253:                             ;   in Loop: Header=BB6_130 Depth=2
	v_and_b32_e32 v8, 0xffff, v0
	s_delay_alu instid0(VALU_DEP_1) | instskip(SKIP_1) | instid1(VALU_DEP_2)
	v_and_b32_e32 v1, 0x7c, v8
	v_and_b32_e32 v6, 3, v8
	v_cmp_ne_u32_e32 vcc_lo, 0x7c, v1
                                        ; implicit-def: $vgpr1
	s_and_saveexec_b32 s15, vcc_lo
	s_delay_alu instid0(SALU_CYCLE_1)
	s_xor_b32 s15, exec_lo, s15
	s_cbranch_execz .LBB6_1257
; %bb.1254:                             ;   in Loop: Header=BB6_130 Depth=2
	v_bfe_u32 v1, v8, 2, 5
	s_mov_b32 s42, exec_lo
	s_delay_alu instid0(VALU_DEP_1)
	v_cmpx_eq_u32_e32 0, v1
; %bb.1255:                             ;   in Loop: Header=BB6_130 Depth=2
	v_clz_i32_u32_e32 v1, v6
	s_delay_alu instid0(VALU_DEP_1) | instskip(SKIP_1) | instid1(VALU_DEP_2)
	v_min_u32_e32 v6, 32, v1
	v_mov_b32_e32 v1, v25
	v_subrev_nc_u32_e32 v8, 29, v6
	s_delay_alu instid0(VALU_DEP_1) | instskip(NEXT) | instid1(VALU_DEP_1)
	v_lshlrev_b64_e32 v[0:1], v8, v[0:1]
	v_dual_sub_nc_u32 v1, 30, v6 :: v_dual_bitop2_b32 v6, 3, v0 bitop3:0x40
; %bb.1256:                             ;   in Loop: Header=BB6_130 Depth=2
	s_or_b32 exec_lo, exec_lo, s42
	v_lshlrev_b32_e32 v0, 16, v26
	s_delay_alu instid0(VALU_DEP_1) | instskip(NEXT) | instid1(VALU_DEP_1)
	v_and_b32_e32 v0, 0x80000000, v0
	v_lshl_add_u32 v0, v1, 23, v0
	s_delay_alu instid0(VALU_DEP_1) | instskip(NEXT) | instid1(VALU_DEP_1)
	v_lshl_or_b32 v0, v6, 21, v0
                                        ; implicit-def: $vgpr6
	v_add_nc_u32_e32 v1, 0x38000000, v0
.LBB6_1257:                             ;   in Loop: Header=BB6_130 Depth=2
	s_and_not1_saveexec_b32 s15, s15
; %bb.1258:                             ;   in Loop: Header=BB6_130 Depth=2
	v_cmp_lt_i16_e32 vcc_lo, -1, v26
	v_cndmask_b32_e32 v0, 0xff800000, v62, vcc_lo
	v_cmp_eq_u32_e32 vcc_lo, 0, v6
	s_delay_alu instid0(VALU_DEP_2)
	v_cndmask_b32_e32 v1, 0x7f800001, v0, vcc_lo
; %bb.1259:                             ;   in Loop: Header=BB6_130 Depth=2
	s_or_b32 exec_lo, exec_lo, s15
.LBB6_1260:                             ;   in Loop: Header=BB6_130 Depth=2
	s_delay_alu instid0(SALU_CYCLE_1)
	s_or_b32 exec_lo, exec_lo, s11
.LBB6_1261:                             ;   in Loop: Header=BB6_130 Depth=2
	s_delay_alu instid0(SALU_CYCLE_1) | instskip(NEXT) | instid1(VALU_DEP_1)
	s_or_b32 exec_lo, exec_lo, s10
	v_dual_max_num_f32 v0, v1, v1 :: v_dual_max_num_f32 v1, v7, v7
	s_delay_alu instid0(VALU_DEP_1)
	v_min_num_f32_e32 v1, v1, v0
.LBB6_1262:                             ;   in Loop: Header=BB6_130 Depth=2
	s_delay_alu instid0(VALU_DEP_1) | instskip(SKIP_3) | instid1(VALU_DEP_2)
	v_and_b32_e32 v6, 0x7f800000, v1
	v_dual_mov_b32 v7, v25 :: v_dual_lshrrev_b32 v0, 24, v1
	v_and_b32_e32 v24, 0x7fffff, v1
                                        ; implicit-def: $vgpr50
	s_mov_b32 s10, exec_lo
	v_cmpx_ne_u64_e32 0x7f800000, v[6:7]
	s_xor_b32 s11, exec_lo, s10
	s_cbranch_execz .LBB6_1276
; %bb.1263:                             ;   in Loop: Header=BB6_130 Depth=2
	v_and_b32_e32 v6, 0x7fffffff, v1
	v_mov_b32_e32 v7, v25
	v_and_b32_e32 v8, 0x80, v0
                                        ; implicit-def: $vgpr50
	s_mov_b32 s10, exec_lo
	s_delay_alu instid0(VALU_DEP_2)
	v_cmpx_gt_u64_e32 0x47600001, v[6:7]
	s_xor_b32 s15, exec_lo, s10
	s_cbranch_execz .LBB6_1273
; %bb.1264:                             ;   in Loop: Header=BB6_130 Depth=2
	v_mov_b32_e32 v50, 0
	s_mov_b32 s42, exec_lo
	v_cmpx_ne_u32_e32 0, v1
	s_cbranch_execz .LBB6_1272
; %bb.1265:                             ;   in Loop: Header=BB6_130 Depth=2
	v_bfe_u32 v9, v1, 23, 8
	v_or_b32_e32 v6, 0x800000, v24
	s_delay_alu instid0(VALU_DEP_2) | instskip(SKIP_1) | instid1(VALU_DEP_2)
	v_sub_nc_u32_e32 v0, 0x71, v9
	v_cmp_gt_u32_e32 vcc_lo, 0x72, v9
	v_cndmask_b32_e32 v0, 0, v0, vcc_lo
	v_cmp_eq_u32_e32 vcc_lo, 0, v9
	s_delay_alu instid0(VALU_DEP_2) | instskip(NEXT) | instid1(VALU_DEP_1)
	v_cndmask_b32_e64 v50, v0, 0x70, vcc_lo
	v_dual_cndmask_b32 v24, v6, v24, vcc_lo :: v_dual_add_nc_u32 v0, 21, v50
	v_add_nc_u32_e32 v7, 20, v50
	s_delay_alu instid0(VALU_DEP_2) | instskip(NEXT) | instid1(VALU_DEP_2)
	v_lshlrev_b64_e64 v[0:1], v0, -1
	v_lshlrev_b64_e64 v[6:7], v7, 1
	s_delay_alu instid0(VALU_DEP_2) | instskip(NEXT) | instid1(VALU_DEP_3)
	v_bfi_b32 v69, v1, 0, 0
	v_bfi_b32 v68, v0, 0, v24
	v_lshrrev_b64 v[0:1], v50, v[24:25]
	s_delay_alu instid0(VALU_DEP_2) | instskip(NEXT) | instid1(VALU_DEP_2)
	v_cmp_eq_u64_e64 s10, v[68:69], v[6:7]
	v_mov_b64_e32 v[6:7], v[0:1]
	s_and_saveexec_b32 s43, s10
; %bb.1266:                             ;   in Loop: Header=BB6_130 Depth=2
	v_bfe_u32 v24, v0, 21, 1
	s_delay_alu instid0(VALU_DEP_1) | instskip(NEXT) | instid1(VALU_DEP_1)
	v_add_nc_u64_e32 v[6:7], v[0:1], v[24:25]
	v_add_nc_u64_e32 v[6:7], -1, v[6:7]
; %bb.1267:                             ;   in Loop: Header=BB6_130 Depth=2
	s_or_b32 exec_lo, exec_lo, s43
	v_add_nc_u32_e32 v1, 0xffffff81, v9
	v_lshrrev_b32_e32 v7, 23, v0
	s_mov_b32 s10, exec_lo
	s_delay_alu instid0(VALU_DEP_2) | instskip(NEXT) | instid1(VALU_DEP_1)
	v_cndmask_b32_e64 v1, v1, 0xffffff82, vcc_lo
	v_add3_u32 v7, v50, v1, v7
	v_and_b32_e32 v1, 0x1fffff, v6
                                        ; implicit-def: $vgpr6
	s_delay_alu instid0(VALU_DEP_1) | instskip(NEXT) | instid1(VALU_DEP_1)
	v_dual_add_nc_u32 v9, 14, v7 :: v_dual_add_nc_u32 v24, v1, v0
                                        ; implicit-def: $vgpr0_vgpr1
	v_cmpx_ne_u32_e32 0, v9
	s_xor_b32 s10, exec_lo, s10
; %bb.1268:                             ;   in Loop: Header=BB6_130 Depth=2
	s_delay_alu instid0(VALU_DEP_2) | instskip(SKIP_1) | instid1(VALU_DEP_1)
	v_cmp_lt_u64_e32 vcc_lo, 0xffffff, v[24:25]
	v_add_nc_u32_e32 v0, 15, v7
	v_cndmask_b32_e32 v6, v9, v0, vcc_lo
	v_cndmask_b32_e64 v0, 0, 1, vcc_lo
	s_delay_alu instid0(VALU_DEP_1)
	v_lshrrev_b64 v[0:1], v0, v[24:25]
; %bb.1269:                             ;   in Loop: Header=BB6_130 Depth=2
	s_and_not1_saveexec_b32 s10, s10
; %bb.1270:                             ;   in Loop: Header=BB6_130 Depth=2
	v_mov_b64_e32 v[0:1], v[24:25]
	v_bfe_u32 v6, v24, 23, 1
; %bb.1271:                             ;   in Loop: Header=BB6_130 Depth=2
	s_or_b32 exec_lo, exec_lo, s10
	s_delay_alu instid0(VALU_DEP_2) | instskip(NEXT) | instid1(VALU_DEP_2)
	v_lshrrev_b64 v[0:1], 21, v[0:1]
	v_cmp_gt_i32_e32 vcc_lo, 32, v6
	v_min_i32_e32 v7, 31, v6
	v_cmp_eq_u32_e64 s10, 0, v6
	s_delay_alu instid0(VALU_DEP_2) | instskip(SKIP_1) | instid1(VALU_DEP_2)
	v_dual_cndmask_b32 v1, 0, v1, vcc_lo :: v_dual_lshlrev_b32 v7, 2, v7
	v_cndmask_b32_e32 v0, 3, v0, vcc_lo
	v_and_b32_e32 v7, 0xfc, v7
	s_delay_alu instid0(VALU_DEP_2) | instskip(NEXT) | instid1(VALU_DEP_2)
	v_cmp_eq_u64_e32 vcc_lo, 0, v[0:1]
	v_and_or_b32 v0, v0, 3, v7
	s_and_b32 s10, s10, vcc_lo
	s_delay_alu instid0(VALU_DEP_1) | instid1(SALU_CYCLE_1)
	v_cndmask_b32_e64 v0, v0, 0, s10
	s_delay_alu instid0(VALU_DEP_1)
	v_or_b32_e32 v50, v0, v8
.LBB6_1272:                             ;   in Loop: Header=BB6_130 Depth=2
	s_or_b32 exec_lo, exec_lo, s42
                                        ; implicit-def: $vgpr8
.LBB6_1273:                             ;   in Loop: Header=BB6_130 Depth=2
	s_and_not1_saveexec_b32 s10, s15
; %bb.1274:                             ;   in Loop: Header=BB6_130 Depth=2
	v_or_b32_e32 v50, 0x7b, v8
; %bb.1275:                             ;   in Loop: Header=BB6_130 Depth=2
	s_or_b32 exec_lo, exec_lo, s10
                                        ; implicit-def: $vgpr1
                                        ; implicit-def: $vgpr0
.LBB6_1276:                             ;   in Loop: Header=BB6_130 Depth=2
	s_and_not1_saveexec_b32 s10, s11
	s_cbranch_execz .LBB6_1282
; %bb.1277:                             ;   in Loop: Header=BB6_130 Depth=2
	s_mov_b32 s11, exec_lo
                                        ; implicit-def: $vgpr50
	v_cmpx_ne_u64_e32 0, v[24:25]
	s_xor_b32 s11, exec_lo, s11
; %bb.1278:                             ;   in Loop: Header=BB6_130 Depth=2
	v_or_b32_e32 v50, 0x7f, v0
                                        ; implicit-def: $vgpr1
; %bb.1279:                             ;   in Loop: Header=BB6_130 Depth=2
	s_and_not1_saveexec_b32 s11, s11
; %bb.1280:                             ;   in Loop: Header=BB6_130 Depth=2
	v_cmp_lt_i32_e32 vcc_lo, -1, v1
	v_cndmask_b32_e32 v50, 0xfc, v93, vcc_lo
; %bb.1281:                             ;   in Loop: Header=BB6_130 Depth=2
	s_or_b32 exec_lo, exec_lo, s11
.LBB6_1282:                             ;   in Loop: Header=BB6_130 Depth=2
	s_delay_alu instid0(SALU_CYCLE_1) | instskip(SKIP_3) | instid1(VALU_DEP_1)
	s_or_b32 exec_lo, exec_lo, s10
	v_dual_lshrrev_b32 v6, 16, v32 :: v_dual_lshrrev_b32 v0, 16, v26
	s_and_not1_b32 vcc_lo, exec_lo, s14
	s_mov_b32 s11, -1
                                        ; implicit-def: $vgpr7
	v_and_b32_e32 v1, 0xff, v6
	s_delay_alu instid0(VALU_DEP_1)
	v_cmp_ne_u16_e64 s10, 0, v1
	s_cbranch_vccnz .LBB6_1304
; %bb.1283:                             ;   in Loop: Header=BB6_130 Depth=2
	v_dual_mov_b32 v8, 0 :: v_dual_mov_b32 v7, 0
	s_and_saveexec_b32 s11, s10
	s_cbranch_execz .LBB6_1293
; %bb.1284:                             ;   in Loop: Header=BB6_130 Depth=2
	v_bfrev_b32_e32 v7, 1
	s_mov_b32 s15, exec_lo
	v_cmpx_ne_u16_e32 0x80, v1
	s_cbranch_execz .LBB6_1292
; %bb.1285:                             ;   in Loop: Header=BB6_130 Depth=2
	v_and_b32_e32 v7, 0x7c0000, v32
	v_bfe_u32 v9, v32, 16, 2
	s_delay_alu instid0(VALU_DEP_2) | instskip(SKIP_1) | instid1(SALU_CYCLE_1)
	v_cmp_ne_u32_e32 vcc_lo, 0x7c0000, v7
                                        ; implicit-def: $vgpr7
	s_and_saveexec_b32 s42, vcc_lo
	s_xor_b32 s42, exec_lo, s42
	s_cbranch_execz .LBB6_1289
; %bb.1286:                             ;   in Loop: Header=BB6_130 Depth=2
	v_bfe_u32 v7, v32, 18, 5
	s_mov_b32 s43, exec_lo
	s_delay_alu instid0(VALU_DEP_1)
	v_cmpx_eq_u32_e32 0, v7
; %bb.1287:                             ;   in Loop: Header=BB6_130 Depth=2
	v_clz_i32_u32_e32 v7, v9
	s_delay_alu instid0(VALU_DEP_1) | instskip(NEXT) | instid1(VALU_DEP_1)
	v_min_u32_e32 v7, 32, v7
	v_subrev_nc_u32_e32 v9, 29, v7
	s_delay_alu instid0(VALU_DEP_1) | instskip(NEXT) | instid1(VALU_DEP_1)
	v_lshlrev_b64_e32 v[68:69], v9, v[6:7]
	v_dual_sub_nc_u32 v7, 30, v7 :: v_dual_bitop2_b32 v9, 3, v68 bitop3:0x40
; %bb.1288:                             ;   in Loop: Header=BB6_130 Depth=2
	s_or_b32 exec_lo, exec_lo, s43
	v_lshlrev_b32_e32 v24, 24, v6
	s_delay_alu instid0(VALU_DEP_1) | instskip(NEXT) | instid1(VALU_DEP_1)
	v_and_b32_e32 v24, 0x80000000, v24
	v_lshl_add_u32 v7, v7, 23, v24
	s_delay_alu instid0(VALU_DEP_1) | instskip(NEXT) | instid1(VALU_DEP_1)
	v_lshl_or_b32 v7, v9, 21, v7
                                        ; implicit-def: $vgpr9
	v_add_nc_u32_e32 v7, 0x38000000, v7
.LBB6_1289:                             ;   in Loop: Header=BB6_130 Depth=2
	s_and_not1_saveexec_b32 s42, s42
; %bb.1290:                             ;   in Loop: Header=BB6_130 Depth=2
	v_bfe_i32 v7, v6, 0, 8
	s_delay_alu instid0(VALU_DEP_1) | instskip(SKIP_2) | instid1(VALU_DEP_2)
	v_cmp_lt_i16_e32 vcc_lo, -1, v7
	v_cndmask_b32_e32 v7, 0xff800000, v62, vcc_lo
	v_cmp_eq_u32_e32 vcc_lo, 0, v9
	v_cndmask_b32_e32 v7, 0x7f800001, v7, vcc_lo
; %bb.1291:                             ;   in Loop: Header=BB6_130 Depth=2
	s_or_b32 exec_lo, exec_lo, s42
.LBB6_1292:                             ;   in Loop: Header=BB6_130 Depth=2
	s_delay_alu instid0(SALU_CYCLE_1)
	s_or_b32 exec_lo, exec_lo, s15
.LBB6_1293:                             ;   in Loop: Header=BB6_130 Depth=2
	s_delay_alu instid0(SALU_CYCLE_1) | instskip(SKIP_2) | instid1(VALU_DEP_1)
	s_or_b32 exec_lo, exec_lo, s11
	v_and_b32_e32 v9, 0xff, v0
	s_mov_b32 s11, exec_lo
	v_cmpx_ne_u16_e32 0, v9
	s_cbranch_execz .LBB6_1303
; %bb.1294:                             ;   in Loop: Header=BB6_130 Depth=2
	v_bfrev_b32_e32 v8, 1
	s_mov_b32 s15, exec_lo
	v_cmpx_ne_u16_e32 0x80, v9
	s_cbranch_execz .LBB6_1302
; %bb.1295:                             ;   in Loop: Header=BB6_130 Depth=2
	v_and_b32_e32 v8, 0x7c0000, v26
	v_bfe_u32 v9, v26, 16, 2
	s_delay_alu instid0(VALU_DEP_2) | instskip(SKIP_1) | instid1(SALU_CYCLE_1)
	v_cmp_ne_u32_e32 vcc_lo, 0x7c0000, v8
                                        ; implicit-def: $vgpr8
	s_and_saveexec_b32 s42, vcc_lo
	s_xor_b32 s42, exec_lo, s42
	s_cbranch_execz .LBB6_1299
; %bb.1296:                             ;   in Loop: Header=BB6_130 Depth=2
	v_bfe_u32 v8, v26, 18, 5
	s_mov_b32 s43, exec_lo
	s_delay_alu instid0(VALU_DEP_1)
	v_cmpx_eq_u32_e32 0, v8
; %bb.1297:                             ;   in Loop: Header=BB6_130 Depth=2
	v_clz_i32_u32_e32 v8, v9
	s_delay_alu instid0(VALU_DEP_1) | instskip(NEXT) | instid1(VALU_DEP_1)
	v_min_u32_e32 v8, 32, v8
	v_subrev_nc_u32_e32 v9, 29, v8
	v_sub_nc_u32_e32 v8, 30, v8
	s_delay_alu instid0(VALU_DEP_2) | instskip(NEXT) | instid1(VALU_DEP_1)
	v_lshlrev_b64_e32 v[68:69], v9, v[0:1]
	v_and_b32_e32 v9, 3, v68
; %bb.1298:                             ;   in Loop: Header=BB6_130 Depth=2
	s_or_b32 exec_lo, exec_lo, s43
	v_lshlrev_b32_e32 v24, 24, v0
	s_delay_alu instid0(VALU_DEP_1) | instskip(NEXT) | instid1(VALU_DEP_1)
	v_and_b32_e32 v24, 0x80000000, v24
	v_lshl_add_u32 v8, v8, 23, v24
	s_delay_alu instid0(VALU_DEP_1) | instskip(NEXT) | instid1(VALU_DEP_1)
	v_lshl_or_b32 v8, v9, 21, v8
                                        ; implicit-def: $vgpr9
	v_add_nc_u32_e32 v8, 0x38000000, v8
.LBB6_1299:                             ;   in Loop: Header=BB6_130 Depth=2
	s_and_not1_saveexec_b32 s42, s42
; %bb.1300:                             ;   in Loop: Header=BB6_130 Depth=2
	v_bfe_i32 v8, v0, 0, 8
	s_delay_alu instid0(VALU_DEP_1) | instskip(SKIP_2) | instid1(VALU_DEP_2)
	v_cmp_lt_i16_e32 vcc_lo, -1, v8
	v_cndmask_b32_e32 v8, 0xff800000, v62, vcc_lo
	v_cmp_eq_u32_e32 vcc_lo, 0, v9
	v_cndmask_b32_e32 v8, 0x7f800001, v8, vcc_lo
; %bb.1301:                             ;   in Loop: Header=BB6_130 Depth=2
	s_or_b32 exec_lo, exec_lo, s42
.LBB6_1302:                             ;   in Loop: Header=BB6_130 Depth=2
	s_delay_alu instid0(SALU_CYCLE_1)
	s_or_b32 exec_lo, exec_lo, s15
.LBB6_1303:                             ;   in Loop: Header=BB6_130 Depth=2
	s_delay_alu instid0(SALU_CYCLE_1) | instskip(NEXT) | instid1(VALU_DEP_1)
	s_or_b32 exec_lo, exec_lo, s11
	v_dual_max_num_f32 v8, v8, v8 :: v_dual_max_num_f32 v7, v7, v7
	s_mov_b32 s11, 0
	s_delay_alu instid0(VALU_DEP_1)
	v_max_num_f32_e32 v7, v7, v8
.LBB6_1304:                             ;   in Loop: Header=BB6_130 Depth=2
	s_and_b32 vcc_lo, exec_lo, s11
	s_cbranch_vccz .LBB6_1326
; %bb.1305:                             ;   in Loop: Header=BB6_130 Depth=2
	v_dual_mov_b32 v8, 0 :: v_dual_mov_b32 v7, 0
	s_and_saveexec_b32 s11, s10
	s_cbranch_execz .LBB6_1315
; %bb.1306:                             ;   in Loop: Header=BB6_130 Depth=2
	v_bfrev_b32_e32 v7, 1
	s_mov_b32 s10, exec_lo
	v_cmpx_ne_u16_e32 0x80, v1
	s_cbranch_execz .LBB6_1314
; %bb.1307:                             ;   in Loop: Header=BB6_130 Depth=2
	v_and_b32_e32 v7, 0x7c0000, v32
	v_bfe_u32 v1, v32, 16, 2
	s_delay_alu instid0(VALU_DEP_2) | instskip(SKIP_1) | instid1(SALU_CYCLE_1)
	v_cmp_ne_u32_e32 vcc_lo, 0x7c0000, v7
                                        ; implicit-def: $vgpr7
	s_and_saveexec_b32 s15, vcc_lo
	s_xor_b32 s15, exec_lo, s15
	s_cbranch_execz .LBB6_1311
; %bb.1308:                             ;   in Loop: Header=BB6_130 Depth=2
	v_bfe_u32 v7, v32, 18, 5
	s_mov_b32 s42, exec_lo
	s_delay_alu instid0(VALU_DEP_1)
	v_cmpx_eq_u32_e32 0, v7
; %bb.1309:                             ;   in Loop: Header=BB6_130 Depth=2
	v_clz_i32_u32_e32 v1, v1
	s_delay_alu instid0(VALU_DEP_1) | instskip(NEXT) | instid1(VALU_DEP_1)
	v_min_u32_e32 v1, 32, v1
	v_subrev_nc_u32_e32 v7, 29, v1
	s_delay_alu instid0(VALU_DEP_1) | instskip(NEXT) | instid1(VALU_DEP_1)
	v_lshlrev_b64_e32 v[68:69], v7, v[6:7]
	v_dual_sub_nc_u32 v7, 30, v1 :: v_dual_bitop2_b32 v1, 3, v68 bitop3:0x40
; %bb.1310:                             ;   in Loop: Header=BB6_130 Depth=2
	s_or_b32 exec_lo, exec_lo, s42
	v_lshlrev_b32_e32 v6, 24, v6
	s_delay_alu instid0(VALU_DEP_1) | instskip(NEXT) | instid1(VALU_DEP_1)
	v_and_b32_e32 v6, 0x80000000, v6
	v_lshl_add_u32 v6, v7, 23, v6
	s_delay_alu instid0(VALU_DEP_1) | instskip(NEXT) | instid1(VALU_DEP_1)
	v_lshl_or_b32 v1, v1, 21, v6
                                        ; implicit-def: $vgpr6
	v_add_nc_u32_e32 v7, 0x38000000, v1
                                        ; implicit-def: $vgpr1
.LBB6_1311:                             ;   in Loop: Header=BB6_130 Depth=2
	s_and_not1_saveexec_b32 s15, s15
; %bb.1312:                             ;   in Loop: Header=BB6_130 Depth=2
	v_bfe_i32 v6, v6, 0, 8
	s_delay_alu instid0(VALU_DEP_1) | instskip(SKIP_2) | instid1(VALU_DEP_2)
	v_cmp_lt_i16_e32 vcc_lo, -1, v6
	v_cndmask_b32_e32 v6, 0xff800000, v62, vcc_lo
	v_cmp_eq_u32_e32 vcc_lo, 0, v1
	v_cndmask_b32_e32 v7, 0x7f800001, v6, vcc_lo
; %bb.1313:                             ;   in Loop: Header=BB6_130 Depth=2
	s_or_b32 exec_lo, exec_lo, s15
.LBB6_1314:                             ;   in Loop: Header=BB6_130 Depth=2
	s_delay_alu instid0(SALU_CYCLE_1)
	s_or_b32 exec_lo, exec_lo, s10
.LBB6_1315:                             ;   in Loop: Header=BB6_130 Depth=2
	s_delay_alu instid0(SALU_CYCLE_1) | instskip(SKIP_2) | instid1(VALU_DEP_1)
	s_or_b32 exec_lo, exec_lo, s11
	v_and_b32_e32 v1, 0xff, v0
	s_mov_b32 s10, exec_lo
	v_cmpx_ne_u16_e32 0, v1
	s_cbranch_execz .LBB6_1325
; %bb.1316:                             ;   in Loop: Header=BB6_130 Depth=2
	v_bfrev_b32_e32 v8, 1
	s_mov_b32 s11, exec_lo
	v_cmpx_ne_u16_e32 0x80, v1
	s_cbranch_execz .LBB6_1324
; %bb.1317:                             ;   in Loop: Header=BB6_130 Depth=2
	v_and_b32_e32 v6, 0x7c0000, v26
	v_bfe_u32 v1, v26, 16, 2
	s_mov_b32 s15, exec_lo
                                        ; implicit-def: $vgpr8
	s_delay_alu instid0(VALU_DEP_2)
	v_cmpx_ne_u32_e32 0x7c0000, v6
	s_xor_b32 s15, exec_lo, s15
	s_cbranch_execz .LBB6_1321
; %bb.1318:                             ;   in Loop: Header=BB6_130 Depth=2
	v_bfe_u32 v6, v26, 18, 5
	s_mov_b32 s42, exec_lo
	s_delay_alu instid0(VALU_DEP_1)
	v_cmpx_eq_u32_e32 0, v6
; %bb.1319:                             ;   in Loop: Header=BB6_130 Depth=2
	v_clz_i32_u32_e32 v1, v1
	s_delay_alu instid0(VALU_DEP_1) | instskip(NEXT) | instid1(VALU_DEP_1)
	v_min_u32_e32 v1, 32, v1
	v_subrev_nc_u32_e32 v6, 29, v1
	s_delay_alu instid0(VALU_DEP_1) | instskip(NEXT) | instid1(VALU_DEP_1)
	v_lshlrev_b64_e32 v[8:9], v6, v[0:1]
	v_dual_sub_nc_u32 v6, 30, v1 :: v_dual_bitop2_b32 v1, 3, v8 bitop3:0x40
; %bb.1320:                             ;   in Loop: Header=BB6_130 Depth=2
	s_or_b32 exec_lo, exec_lo, s42
	v_lshlrev_b32_e32 v0, 24, v0
	s_delay_alu instid0(VALU_DEP_1) | instskip(NEXT) | instid1(VALU_DEP_1)
	v_and_b32_e32 v0, 0x80000000, v0
	v_lshl_add_u32 v0, v6, 23, v0
	s_delay_alu instid0(VALU_DEP_1) | instskip(NEXT) | instid1(VALU_DEP_1)
	v_lshl_or_b32 v0, v1, 21, v0
                                        ; implicit-def: $vgpr1
	v_add_nc_u32_e32 v8, 0x38000000, v0
                                        ; implicit-def: $vgpr0
.LBB6_1321:                             ;   in Loop: Header=BB6_130 Depth=2
	s_and_not1_saveexec_b32 s15, s15
; %bb.1322:                             ;   in Loop: Header=BB6_130 Depth=2
	v_bfe_i32 v0, v0, 0, 8
	s_delay_alu instid0(VALU_DEP_1) | instskip(SKIP_2) | instid1(VALU_DEP_2)
	v_cmp_lt_i16_e32 vcc_lo, -1, v0
	v_cndmask_b32_e32 v0, 0xff800000, v62, vcc_lo
	v_cmp_eq_u32_e32 vcc_lo, 0, v1
	v_cndmask_b32_e32 v8, 0x7f800001, v0, vcc_lo
; %bb.1323:                             ;   in Loop: Header=BB6_130 Depth=2
	s_or_b32 exec_lo, exec_lo, s15
.LBB6_1324:                             ;   in Loop: Header=BB6_130 Depth=2
	s_delay_alu instid0(SALU_CYCLE_1)
	s_or_b32 exec_lo, exec_lo, s11
.LBB6_1325:                             ;   in Loop: Header=BB6_130 Depth=2
	s_delay_alu instid0(SALU_CYCLE_1) | instskip(NEXT) | instid1(VALU_DEP_1)
	s_or_b32 exec_lo, exec_lo, s10
	v_dual_max_num_f32 v0, v8, v8 :: v_dual_max_num_f32 v1, v7, v7
	s_delay_alu instid0(VALU_DEP_1)
	v_min_num_f32_e32 v7, v1, v0
.LBB6_1326:                             ;   in Loop: Header=BB6_130 Depth=2
	s_delay_alu instid0(VALU_DEP_1) | instskip(SKIP_2) | instid1(VALU_DEP_2)
	v_and_b32_e32 v0, 0x7f800000, v7
	v_mov_b32_e32 v1, v25
	v_and_b32_e32 v24, 0x7fffff, v7
                                        ; implicit-def: $vgpr51
	v_cmp_ne_u64_e32 vcc_lo, 0x7f800000, v[0:1]
	v_lshrrev_b32_e32 v0, 24, v7
	s_and_saveexec_b32 s10, vcc_lo
	s_delay_alu instid0(SALU_CYCLE_1)
	s_xor_b32 s11, exec_lo, s10
	s_cbranch_execz .LBB6_1340
; %bb.1327:                             ;   in Loop: Header=BB6_130 Depth=2
	v_and_b32_e32 v8, 0x7fffffff, v7
	v_mov_b32_e32 v9, v25
                                        ; implicit-def: $vgpr51
	s_delay_alu instid0(VALU_DEP_1) | instskip(SKIP_2) | instid1(SALU_CYCLE_1)
	v_cmp_gt_u64_e32 vcc_lo, 0x47600001, v[8:9]
	v_and_b32_e32 v8, 0x80, v0
	s_and_saveexec_b32 s10, vcc_lo
	s_xor_b32 s15, exec_lo, s10
	s_cbranch_execz .LBB6_1337
; %bb.1328:                             ;   in Loop: Header=BB6_130 Depth=2
	v_mov_b32_e32 v51, 0
	s_mov_b32 s42, exec_lo
	v_cmpx_ne_u32_e32 0, v7
	s_cbranch_execz .LBB6_1336
; %bb.1329:                             ;   in Loop: Header=BB6_130 Depth=2
	v_bfe_u32 v9, v7, 23, 8
	v_or_b32_e32 v6, 0x800000, v24
	s_delay_alu instid0(VALU_DEP_2) | instskip(SKIP_1) | instid1(VALU_DEP_2)
	v_sub_nc_u32_e32 v0, 0x71, v9
	v_cmp_gt_u32_e32 vcc_lo, 0x72, v9
	v_cndmask_b32_e32 v0, 0, v0, vcc_lo
	v_cmp_eq_u32_e32 vcc_lo, 0, v9
	s_delay_alu instid0(VALU_DEP_2) | instskip(NEXT) | instid1(VALU_DEP_1)
	v_cndmask_b32_e64 v51, v0, 0x70, vcc_lo
	v_dual_cndmask_b32 v24, v6, v24, vcc_lo :: v_dual_add_nc_u32 v0, 21, v51
	v_add_nc_u32_e32 v7, 20, v51
	s_delay_alu instid0(VALU_DEP_2) | instskip(NEXT) | instid1(VALU_DEP_2)
	v_lshlrev_b64_e64 v[0:1], v0, -1
	v_lshlrev_b64_e64 v[6:7], v7, 1
	s_delay_alu instid0(VALU_DEP_2) | instskip(NEXT) | instid1(VALU_DEP_3)
	v_bfi_b32 v69, v1, 0, 0
	v_bfi_b32 v68, v0, 0, v24
	v_lshrrev_b64 v[0:1], v51, v[24:25]
	s_delay_alu instid0(VALU_DEP_2) | instskip(NEXT) | instid1(VALU_DEP_2)
	v_cmp_eq_u64_e64 s10, v[68:69], v[6:7]
	v_mov_b64_e32 v[6:7], v[0:1]
	s_and_saveexec_b32 s43, s10
; %bb.1330:                             ;   in Loop: Header=BB6_130 Depth=2
	v_bfe_u32 v24, v0, 21, 1
	s_delay_alu instid0(VALU_DEP_1) | instskip(NEXT) | instid1(VALU_DEP_1)
	v_add_nc_u64_e32 v[6:7], v[0:1], v[24:25]
	v_add_nc_u64_e32 v[6:7], -1, v[6:7]
; %bb.1331:                             ;   in Loop: Header=BB6_130 Depth=2
	s_or_b32 exec_lo, exec_lo, s43
	v_add_nc_u32_e32 v1, 0xffffff81, v9
	v_lshrrev_b32_e32 v7, 23, v0
	s_mov_b32 s10, exec_lo
	s_delay_alu instid0(VALU_DEP_2) | instskip(NEXT) | instid1(VALU_DEP_1)
	v_cndmask_b32_e64 v1, v1, 0xffffff82, vcc_lo
	v_add3_u32 v7, v51, v1, v7
	v_and_b32_e32 v1, 0x1fffff, v6
                                        ; implicit-def: $vgpr6
	s_delay_alu instid0(VALU_DEP_1) | instskip(NEXT) | instid1(VALU_DEP_1)
	v_dual_add_nc_u32 v9, 14, v7 :: v_dual_add_nc_u32 v24, v1, v0
                                        ; implicit-def: $vgpr0_vgpr1
	v_cmpx_ne_u32_e32 0, v9
	s_xor_b32 s10, exec_lo, s10
; %bb.1332:                             ;   in Loop: Header=BB6_130 Depth=2
	s_delay_alu instid0(VALU_DEP_2) | instskip(SKIP_1) | instid1(VALU_DEP_1)
	v_cmp_lt_u64_e32 vcc_lo, 0xffffff, v[24:25]
	v_add_nc_u32_e32 v0, 15, v7
	v_cndmask_b32_e32 v6, v9, v0, vcc_lo
	v_cndmask_b32_e64 v0, 0, 1, vcc_lo
	s_delay_alu instid0(VALU_DEP_1)
	v_lshrrev_b64 v[0:1], v0, v[24:25]
; %bb.1333:                             ;   in Loop: Header=BB6_130 Depth=2
	s_and_not1_saveexec_b32 s10, s10
; %bb.1334:                             ;   in Loop: Header=BB6_130 Depth=2
	v_mov_b64_e32 v[0:1], v[24:25]
	v_bfe_u32 v6, v24, 23, 1
; %bb.1335:                             ;   in Loop: Header=BB6_130 Depth=2
	s_or_b32 exec_lo, exec_lo, s10
	s_delay_alu instid0(VALU_DEP_2) | instskip(NEXT) | instid1(VALU_DEP_2)
	v_lshrrev_b64 v[0:1], 21, v[0:1]
	v_cmp_gt_i32_e32 vcc_lo, 32, v6
	v_min_i32_e32 v7, 31, v6
	v_cmp_eq_u32_e64 s10, 0, v6
	s_delay_alu instid0(VALU_DEP_2) | instskip(SKIP_1) | instid1(VALU_DEP_2)
	v_dual_cndmask_b32 v1, 0, v1, vcc_lo :: v_dual_lshlrev_b32 v7, 2, v7
	v_cndmask_b32_e32 v0, 3, v0, vcc_lo
	v_and_b32_e32 v7, 0xfc, v7
	s_delay_alu instid0(VALU_DEP_2) | instskip(NEXT) | instid1(VALU_DEP_2)
	v_cmp_eq_u64_e32 vcc_lo, 0, v[0:1]
	v_and_or_b32 v0, v0, 3, v7
	s_and_b32 s10, s10, vcc_lo
	s_delay_alu instid0(VALU_DEP_1) | instid1(SALU_CYCLE_1)
	v_cndmask_b32_e64 v0, v0, 0, s10
	s_delay_alu instid0(VALU_DEP_1)
	v_or_b32_e32 v51, v0, v8
.LBB6_1336:                             ;   in Loop: Header=BB6_130 Depth=2
	s_or_b32 exec_lo, exec_lo, s42
                                        ; implicit-def: $vgpr8
.LBB6_1337:                             ;   in Loop: Header=BB6_130 Depth=2
	s_and_not1_saveexec_b32 s10, s15
; %bb.1338:                             ;   in Loop: Header=BB6_130 Depth=2
	v_or_b32_e32 v51, 0x7b, v8
; %bb.1339:                             ;   in Loop: Header=BB6_130 Depth=2
	s_or_b32 exec_lo, exec_lo, s10
                                        ; implicit-def: $vgpr7
                                        ; implicit-def: $vgpr0
.LBB6_1340:                             ;   in Loop: Header=BB6_130 Depth=2
	s_and_not1_saveexec_b32 s10, s11
	s_cbranch_execz .LBB6_1346
; %bb.1341:                             ;   in Loop: Header=BB6_130 Depth=2
	s_mov_b32 s11, exec_lo
                                        ; implicit-def: $vgpr51
	v_cmpx_ne_u64_e32 0, v[24:25]
	s_xor_b32 s11, exec_lo, s11
; %bb.1342:                             ;   in Loop: Header=BB6_130 Depth=2
	v_or_b32_e32 v51, 0x7f, v0
                                        ; implicit-def: $vgpr7
; %bb.1343:                             ;   in Loop: Header=BB6_130 Depth=2
	s_and_not1_saveexec_b32 s11, s11
; %bb.1344:                             ;   in Loop: Header=BB6_130 Depth=2
	v_cmp_lt_i32_e32 vcc_lo, -1, v7
	v_cndmask_b32_e32 v51, 0xfc, v93, vcc_lo
; %bb.1345:                             ;   in Loop: Header=BB6_130 Depth=2
	s_or_b32 exec_lo, exec_lo, s11
.LBB6_1346:                             ;   in Loop: Header=BB6_130 Depth=2
	s_delay_alu instid0(SALU_CYCLE_1)
	s_or_b32 exec_lo, exec_lo, s10
	v_dual_lshrrev_b32 v6, 24, v32 :: v_dual_lshrrev_b32 v0, 24, v26
	v_cmp_lt_u32_e64 s10, 0xffffff, v32
	s_and_not1_b32 vcc_lo, exec_lo, s14
	s_mov_b32 s11, -1
                                        ; implicit-def: $vgpr1
	s_cbranch_vccnz .LBB6_1368
; %bb.1347:                             ;   in Loop: Header=BB6_130 Depth=2
	v_dual_mov_b32 v7, 0 :: v_dual_mov_b32 v1, 0
	s_and_saveexec_b32 s11, s10
	s_cbranch_execz .LBB6_1357
; %bb.1348:                             ;   in Loop: Header=BB6_130 Depth=2
	v_bfrev_b32_e32 v1, 1
	s_mov_b32 s15, exec_lo
	v_cmpx_ne_u32_e32 0x80, v6
	s_cbranch_execz .LBB6_1356
; %bb.1349:                             ;   in Loop: Header=BB6_130 Depth=2
	v_and_b32_e32 v1, 0x7c000000, v32
	v_bfe_u32 v8, v32, 24, 2
	s_delay_alu instid0(VALU_DEP_2) | instskip(SKIP_1) | instid1(SALU_CYCLE_1)
	v_cmp_ne_u32_e32 vcc_lo, 0x7c000000, v1
                                        ; implicit-def: $vgpr1
	s_and_saveexec_b32 s42, vcc_lo
	s_xor_b32 s42, exec_lo, s42
	s_cbranch_execz .LBB6_1353
; %bb.1350:                             ;   in Loop: Header=BB6_130 Depth=2
	v_bfe_u32 v1, v32, 26, 5
	s_mov_b32 s43, exec_lo
	s_delay_alu instid0(VALU_DEP_1)
	v_cmpx_eq_u32_e32 0, v1
; %bb.1351:                             ;   in Loop: Header=BB6_130 Depth=2
	v_clz_i32_u32_e32 v1, v8
	s_delay_alu instid0(VALU_DEP_1) | instskip(NEXT) | instid1(VALU_DEP_1)
	v_min_u32_e32 v1, 32, v1
	v_subrev_nc_u32_e32 v8, 29, v1
	s_delay_alu instid0(VALU_DEP_1) | instskip(NEXT) | instid1(VALU_DEP_1)
	v_lshlrev_b64_e32 v[8:9], v8, v[6:7]
	v_dual_sub_nc_u32 v1, 30, v1 :: v_dual_bitop2_b32 v8, 3, v8 bitop3:0x40
; %bb.1352:                             ;   in Loop: Header=BB6_130 Depth=2
	s_or_b32 exec_lo, exec_lo, s43
	v_and_b32_e32 v9, 0x80000000, v32
	s_delay_alu instid0(VALU_DEP_1) | instskip(NEXT) | instid1(VALU_DEP_1)
	v_lshl_add_u32 v1, v1, 23, v9
	v_lshl_or_b32 v1, v8, 21, v1
                                        ; implicit-def: $vgpr8
	s_delay_alu instid0(VALU_DEP_1)
	v_add_nc_u32_e32 v1, 0x38000000, v1
.LBB6_1353:                             ;   in Loop: Header=BB6_130 Depth=2
	s_and_not1_saveexec_b32 s42, s42
; %bb.1354:                             ;   in Loop: Header=BB6_130 Depth=2
	v_cmp_lt_i32_e32 vcc_lo, -1, v32
	v_cndmask_b32_e32 v1, 0xff800000, v62, vcc_lo
	v_cmp_eq_u32_e32 vcc_lo, 0, v8
	s_delay_alu instid0(VALU_DEP_2)
	v_cndmask_b32_e32 v1, 0x7f800001, v1, vcc_lo
; %bb.1355:                             ;   in Loop: Header=BB6_130 Depth=2
	s_or_b32 exec_lo, exec_lo, s42
.LBB6_1356:                             ;   in Loop: Header=BB6_130 Depth=2
	s_delay_alu instid0(SALU_CYCLE_1)
	s_or_b32 exec_lo, exec_lo, s15
.LBB6_1357:                             ;   in Loop: Header=BB6_130 Depth=2
	s_delay_alu instid0(SALU_CYCLE_1) | instskip(NEXT) | instid1(SALU_CYCLE_1)
	s_or_b32 exec_lo, exec_lo, s11
	s_mov_b32 s11, exec_lo
	v_cmpx_lt_u32_e32 0xffffff, v26
	s_cbranch_execz .LBB6_1367
; %bb.1358:                             ;   in Loop: Header=BB6_130 Depth=2
	v_bfrev_b32_e32 v7, 1
	s_mov_b32 s15, exec_lo
	v_cmpx_ne_u32_e32 0x80, v0
	s_cbranch_execz .LBB6_1366
; %bb.1359:                             ;   in Loop: Header=BB6_130 Depth=2
	v_and_b32_e32 v7, 0x7c000000, v26
	v_bfe_u32 v8, v26, 24, 2
	s_delay_alu instid0(VALU_DEP_2) | instskip(SKIP_1) | instid1(SALU_CYCLE_1)
	v_cmp_ne_u32_e32 vcc_lo, 0x7c000000, v7
                                        ; implicit-def: $vgpr7
	s_and_saveexec_b32 s42, vcc_lo
	s_xor_b32 s42, exec_lo, s42
	s_cbranch_execz .LBB6_1363
; %bb.1360:                             ;   in Loop: Header=BB6_130 Depth=2
	v_bfe_u32 v7, v26, 26, 5
	s_mov_b32 s43, exec_lo
	s_delay_alu instid0(VALU_DEP_1)
	v_cmpx_eq_u32_e32 0, v7
; %bb.1361:                             ;   in Loop: Header=BB6_130 Depth=2
	v_clz_i32_u32_e32 v7, v8
	s_delay_alu instid0(VALU_DEP_1) | instskip(NEXT) | instid1(VALU_DEP_1)
	v_min_u32_e32 v7, 32, v7
	v_subrev_nc_u32_e32 v8, 29, v7
	s_delay_alu instid0(VALU_DEP_1) | instskip(NEXT) | instid1(VALU_DEP_1)
	v_lshlrev_b64_e32 v[8:9], v8, v[0:1]
	v_dual_sub_nc_u32 v7, 30, v7 :: v_dual_bitop2_b32 v8, 3, v8 bitop3:0x40
; %bb.1362:                             ;   in Loop: Header=BB6_130 Depth=2
	s_or_b32 exec_lo, exec_lo, s43
	v_and_b32_e32 v9, 0x80000000, v26
	s_delay_alu instid0(VALU_DEP_1) | instskip(NEXT) | instid1(VALU_DEP_1)
	v_lshl_add_u32 v7, v7, 23, v9
	v_lshl_or_b32 v7, v8, 21, v7
                                        ; implicit-def: $vgpr8
	s_delay_alu instid0(VALU_DEP_1)
	v_add_nc_u32_e32 v7, 0x38000000, v7
.LBB6_1363:                             ;   in Loop: Header=BB6_130 Depth=2
	s_and_not1_saveexec_b32 s42, s42
; %bb.1364:                             ;   in Loop: Header=BB6_130 Depth=2
	v_cmp_lt_i32_e32 vcc_lo, -1, v26
	v_cndmask_b32_e32 v7, 0xff800000, v62, vcc_lo
	v_cmp_eq_u32_e32 vcc_lo, 0, v8
	s_delay_alu instid0(VALU_DEP_2)
	v_cndmask_b32_e32 v7, 0x7f800001, v7, vcc_lo
; %bb.1365:                             ;   in Loop: Header=BB6_130 Depth=2
	s_or_b32 exec_lo, exec_lo, s42
.LBB6_1366:                             ;   in Loop: Header=BB6_130 Depth=2
	s_delay_alu instid0(SALU_CYCLE_1)
	s_or_b32 exec_lo, exec_lo, s15
.LBB6_1367:                             ;   in Loop: Header=BB6_130 Depth=2
	s_delay_alu instid0(SALU_CYCLE_1) | instskip(NEXT) | instid1(VALU_DEP_1)
	s_or_b32 exec_lo, exec_lo, s11
	v_dual_max_num_f32 v7, v7, v7 :: v_dual_max_num_f32 v1, v1, v1
	s_mov_b32 s11, 0
	s_delay_alu instid0(VALU_DEP_1)
	v_max_num_f32_e32 v1, v1, v7
.LBB6_1368:                             ;   in Loop: Header=BB6_130 Depth=2
	s_and_b32 vcc_lo, exec_lo, s11
	s_cbranch_vccz .LBB6_1390
; %bb.1369:                             ;   in Loop: Header=BB6_130 Depth=2
	v_dual_mov_b32 v7, 0 :: v_dual_mov_b32 v1, 0
	s_and_saveexec_b32 s11, s10
	s_cbranch_execz .LBB6_1379
; %bb.1370:                             ;   in Loop: Header=BB6_130 Depth=2
	v_bfrev_b32_e32 v1, 1
	s_mov_b32 s10, exec_lo
	v_cmpx_ne_u32_e32 0x80, v6
	s_cbranch_execz .LBB6_1378
; %bb.1371:                             ;   in Loop: Header=BB6_130 Depth=2
	v_and_b32_e32 v1, 0x7c000000, v32
	v_bfe_u32 v8, v32, 24, 2
	s_delay_alu instid0(VALU_DEP_2) | instskip(SKIP_1) | instid1(SALU_CYCLE_1)
	v_cmp_ne_u32_e32 vcc_lo, 0x7c000000, v1
                                        ; implicit-def: $vgpr1
	s_and_saveexec_b32 s15, vcc_lo
	s_xor_b32 s15, exec_lo, s15
	s_cbranch_execz .LBB6_1375
; %bb.1372:                             ;   in Loop: Header=BB6_130 Depth=2
	v_bfe_u32 v1, v32, 26, 5
	s_mov_b32 s42, exec_lo
	s_delay_alu instid0(VALU_DEP_1)
	v_cmpx_eq_u32_e32 0, v1
; %bb.1373:                             ;   in Loop: Header=BB6_130 Depth=2
	v_clz_i32_u32_e32 v1, v8
	s_delay_alu instid0(VALU_DEP_1) | instskip(NEXT) | instid1(VALU_DEP_1)
	v_min_u32_e32 v1, 32, v1
	v_subrev_nc_u32_e32 v8, 29, v1
	s_delay_alu instid0(VALU_DEP_1) | instskip(NEXT) | instid1(VALU_DEP_1)
	v_lshlrev_b64_e32 v[8:9], v8, v[6:7]
	v_dual_sub_nc_u32 v1, 30, v1 :: v_dual_bitop2_b32 v8, 3, v8 bitop3:0x40
; %bb.1374:                             ;   in Loop: Header=BB6_130 Depth=2
	s_or_b32 exec_lo, exec_lo, s42
	v_and_b32_e32 v6, 0x80000000, v32
	s_delay_alu instid0(VALU_DEP_1) | instskip(NEXT) | instid1(VALU_DEP_1)
	v_lshl_add_u32 v1, v1, 23, v6
	v_lshl_or_b32 v1, v8, 21, v1
                                        ; implicit-def: $vgpr8
	s_delay_alu instid0(VALU_DEP_1)
	v_add_nc_u32_e32 v1, 0x38000000, v1
.LBB6_1375:                             ;   in Loop: Header=BB6_130 Depth=2
	s_and_not1_saveexec_b32 s15, s15
; %bb.1376:                             ;   in Loop: Header=BB6_130 Depth=2
	v_cmp_lt_i32_e32 vcc_lo, -1, v32
	v_cndmask_b32_e32 v1, 0xff800000, v62, vcc_lo
	v_cmp_eq_u32_e32 vcc_lo, 0, v8
	s_delay_alu instid0(VALU_DEP_2)
	v_cndmask_b32_e32 v1, 0x7f800001, v1, vcc_lo
; %bb.1377:                             ;   in Loop: Header=BB6_130 Depth=2
	s_or_b32 exec_lo, exec_lo, s15
.LBB6_1378:                             ;   in Loop: Header=BB6_130 Depth=2
	s_delay_alu instid0(SALU_CYCLE_1)
	s_or_b32 exec_lo, exec_lo, s10
.LBB6_1379:                             ;   in Loop: Header=BB6_130 Depth=2
	s_delay_alu instid0(SALU_CYCLE_1) | instskip(NEXT) | instid1(SALU_CYCLE_1)
	s_or_b32 exec_lo, exec_lo, s11
	s_mov_b32 s10, exec_lo
	v_cmpx_lt_u32_e32 0xffffff, v26
	s_cbranch_execz .LBB6_1389
; %bb.1380:                             ;   in Loop: Header=BB6_130 Depth=2
	v_bfrev_b32_e32 v7, 1
	s_mov_b32 s11, exec_lo
	v_cmpx_ne_u32_e32 0x80, v0
	s_cbranch_execz .LBB6_1388
; %bb.1381:                             ;   in Loop: Header=BB6_130 Depth=2
	v_and_b32_e32 v7, 0x7c000000, v26
	v_bfe_u32 v6, v26, 24, 2
	s_delay_alu instid0(VALU_DEP_2) | instskip(SKIP_1) | instid1(SALU_CYCLE_1)
	v_cmp_ne_u32_e32 vcc_lo, 0x7c000000, v7
                                        ; implicit-def: $vgpr7
	s_and_saveexec_b32 s15, vcc_lo
	s_xor_b32 s15, exec_lo, s15
	s_cbranch_execz .LBB6_1385
; %bb.1382:                             ;   in Loop: Header=BB6_130 Depth=2
	v_bfe_u32 v7, v26, 26, 5
	s_mov_b32 s42, exec_lo
	s_delay_alu instid0(VALU_DEP_1)
	v_cmpx_eq_u32_e32 0, v7
; %bb.1383:                             ;   in Loop: Header=BB6_130 Depth=2
	v_clz_i32_u32_e32 v6, v6
	s_delay_alu instid0(VALU_DEP_1) | instskip(NEXT) | instid1(VALU_DEP_1)
	v_min_u32_e32 v8, 32, v6
	v_subrev_nc_u32_e32 v6, 29, v8
	s_delay_alu instid0(VALU_DEP_1) | instskip(NEXT) | instid1(VALU_DEP_1)
	v_lshlrev_b64_e32 v[6:7], v6, v[0:1]
	v_dual_sub_nc_u32 v7, 30, v8 :: v_dual_bitop2_b32 v6, 3, v6 bitop3:0x40
; %bb.1384:                             ;   in Loop: Header=BB6_130 Depth=2
	s_or_b32 exec_lo, exec_lo, s42
	v_and_b32_e32 v0, 0x80000000, v26
	s_delay_alu instid0(VALU_DEP_1) | instskip(NEXT) | instid1(VALU_DEP_1)
	v_lshl_add_u32 v0, v7, 23, v0
	v_lshl_or_b32 v0, v6, 21, v0
                                        ; implicit-def: $vgpr6
	s_delay_alu instid0(VALU_DEP_1)
	v_add_nc_u32_e32 v7, 0x38000000, v0
.LBB6_1385:                             ;   in Loop: Header=BB6_130 Depth=2
	s_and_not1_saveexec_b32 s15, s15
; %bb.1386:                             ;   in Loop: Header=BB6_130 Depth=2
	v_cmp_lt_i32_e32 vcc_lo, -1, v26
	v_cndmask_b32_e32 v0, 0xff800000, v62, vcc_lo
	v_cmp_eq_u32_e32 vcc_lo, 0, v6
	s_delay_alu instid0(VALU_DEP_2)
	v_cndmask_b32_e32 v7, 0x7f800001, v0, vcc_lo
; %bb.1387:                             ;   in Loop: Header=BB6_130 Depth=2
	s_or_b32 exec_lo, exec_lo, s15
.LBB6_1388:                             ;   in Loop: Header=BB6_130 Depth=2
	s_delay_alu instid0(SALU_CYCLE_1)
	s_or_b32 exec_lo, exec_lo, s11
.LBB6_1389:                             ;   in Loop: Header=BB6_130 Depth=2
	s_delay_alu instid0(SALU_CYCLE_1) | instskip(NEXT) | instid1(VALU_DEP_1)
	s_or_b32 exec_lo, exec_lo, s10
	v_dual_max_num_f32 v0, v7, v7 :: v_dual_max_num_f32 v1, v1, v1
	s_delay_alu instid0(VALU_DEP_1)
	v_min_num_f32_e32 v1, v1, v0
.LBB6_1390:                             ;   in Loop: Header=BB6_130 Depth=2
	s_delay_alu instid0(VALU_DEP_1) | instskip(SKIP_3) | instid1(VALU_DEP_2)
	v_and_b32_e32 v6, 0x7f800000, v1
	v_dual_mov_b32 v7, v25 :: v_dual_lshrrev_b32 v0, 24, v1
	v_and_b32_e32 v24, 0x7fffff, v1
                                        ; implicit-def: $vgpr68
	s_mov_b32 s10, exec_lo
	v_cmpx_ne_u64_e32 0x7f800000, v[6:7]
	s_xor_b32 s11, exec_lo, s10
	s_cbranch_execz .LBB6_1404
; %bb.1391:                             ;   in Loop: Header=BB6_130 Depth=2
	v_and_b32_e32 v6, 0x7fffffff, v1
	v_mov_b32_e32 v7, v25
	v_and_b32_e32 v8, 0x80, v0
                                        ; implicit-def: $vgpr68
	s_mov_b32 s10, exec_lo
	s_delay_alu instid0(VALU_DEP_2)
	v_cmpx_gt_u64_e32 0x47600001, v[6:7]
	s_xor_b32 s15, exec_lo, s10
	s_cbranch_execz .LBB6_1401
; %bb.1392:                             ;   in Loop: Header=BB6_130 Depth=2
	v_mov_b32_e32 v68, 0
	s_mov_b32 s42, exec_lo
	v_cmpx_ne_u32_e32 0, v1
	s_cbranch_execz .LBB6_1400
; %bb.1393:                             ;   in Loop: Header=BB6_130 Depth=2
	v_bfe_u32 v9, v1, 23, 8
	v_or_b32_e32 v6, 0x800000, v24
	s_delay_alu instid0(VALU_DEP_2) | instskip(SKIP_1) | instid1(VALU_DEP_2)
	v_sub_nc_u32_e32 v0, 0x71, v9
	v_cmp_gt_u32_e32 vcc_lo, 0x72, v9
	v_cndmask_b32_e32 v0, 0, v0, vcc_lo
	v_cmp_eq_u32_e32 vcc_lo, 0, v9
	s_delay_alu instid0(VALU_DEP_2) | instskip(SKIP_1) | instid1(VALU_DEP_2)
	v_cndmask_b32_e64 v68, v0, 0x70, vcc_lo
	v_cndmask_b32_e32 v24, v6, v24, vcc_lo
	v_dual_add_nc_u32 v0, 21, v68 :: v_dual_add_nc_u32 v7, 20, v68
	s_delay_alu instid0(VALU_DEP_1) | instskip(NEXT) | instid1(VALU_DEP_2)
	v_lshlrev_b64_e64 v[0:1], v0, -1
	v_lshlrev_b64_e64 v[6:7], v7, 1
	s_delay_alu instid0(VALU_DEP_2) | instskip(NEXT) | instid1(VALU_DEP_3)
	v_bfi_b32 v71, v1, 0, 0
	v_bfi_b32 v70, v0, 0, v24
	v_lshrrev_b64 v[0:1], v68, v[24:25]
	s_delay_alu instid0(VALU_DEP_2) | instskip(NEXT) | instid1(VALU_DEP_2)
	v_cmp_eq_u64_e64 s10, v[70:71], v[6:7]
	v_mov_b64_e32 v[6:7], v[0:1]
	s_and_saveexec_b32 s43, s10
; %bb.1394:                             ;   in Loop: Header=BB6_130 Depth=2
	v_bfe_u32 v24, v0, 21, 1
	s_delay_alu instid0(VALU_DEP_1) | instskip(NEXT) | instid1(VALU_DEP_1)
	v_add_nc_u64_e32 v[6:7], v[0:1], v[24:25]
	v_add_nc_u64_e32 v[6:7], -1, v[6:7]
; %bb.1395:                             ;   in Loop: Header=BB6_130 Depth=2
	s_or_b32 exec_lo, exec_lo, s43
	v_add_nc_u32_e32 v1, 0xffffff81, v9
	v_lshrrev_b32_e32 v7, 23, v0
	s_mov_b32 s10, exec_lo
	s_delay_alu instid0(VALU_DEP_2) | instskip(NEXT) | instid1(VALU_DEP_1)
	v_cndmask_b32_e64 v1, v1, 0xffffff82, vcc_lo
	v_add3_u32 v7, v68, v1, v7
	v_and_b32_e32 v1, 0x1fffff, v6
                                        ; implicit-def: $vgpr6
	s_delay_alu instid0(VALU_DEP_1) | instskip(NEXT) | instid1(VALU_DEP_1)
	v_dual_add_nc_u32 v9, 14, v7 :: v_dual_add_nc_u32 v24, v1, v0
                                        ; implicit-def: $vgpr0_vgpr1
	v_cmpx_ne_u32_e32 0, v9
	s_xor_b32 s10, exec_lo, s10
; %bb.1396:                             ;   in Loop: Header=BB6_130 Depth=2
	s_delay_alu instid0(VALU_DEP_2) | instskip(SKIP_1) | instid1(VALU_DEP_1)
	v_cmp_lt_u64_e32 vcc_lo, 0xffffff, v[24:25]
	v_add_nc_u32_e32 v0, 15, v7
	v_cndmask_b32_e32 v6, v9, v0, vcc_lo
	v_cndmask_b32_e64 v0, 0, 1, vcc_lo
	s_delay_alu instid0(VALU_DEP_1)
	v_lshrrev_b64 v[0:1], v0, v[24:25]
; %bb.1397:                             ;   in Loop: Header=BB6_130 Depth=2
	s_and_not1_saveexec_b32 s10, s10
; %bb.1398:                             ;   in Loop: Header=BB6_130 Depth=2
	v_mov_b64_e32 v[0:1], v[24:25]
	v_bfe_u32 v6, v24, 23, 1
; %bb.1399:                             ;   in Loop: Header=BB6_130 Depth=2
	s_or_b32 exec_lo, exec_lo, s10
	s_delay_alu instid0(VALU_DEP_2) | instskip(NEXT) | instid1(VALU_DEP_2)
	v_lshrrev_b64 v[0:1], 21, v[0:1]
	v_cmp_gt_i32_e32 vcc_lo, 32, v6
	v_min_i32_e32 v7, 31, v6
	v_cmp_eq_u32_e64 s10, 0, v6
	s_delay_alu instid0(VALU_DEP_2) | instskip(SKIP_1) | instid1(VALU_DEP_2)
	v_dual_cndmask_b32 v1, 0, v1, vcc_lo :: v_dual_lshlrev_b32 v7, 2, v7
	v_cndmask_b32_e32 v0, 3, v0, vcc_lo
	v_and_b32_e32 v7, 0xfc, v7
	s_delay_alu instid0(VALU_DEP_2) | instskip(NEXT) | instid1(VALU_DEP_2)
	v_cmp_eq_u64_e32 vcc_lo, 0, v[0:1]
	v_and_or_b32 v0, v0, 3, v7
	s_and_b32 s10, s10, vcc_lo
	s_delay_alu instid0(VALU_DEP_1) | instid1(SALU_CYCLE_1)
	v_cndmask_b32_e64 v0, v0, 0, s10
	s_delay_alu instid0(VALU_DEP_1)
	v_or_b32_e32 v68, v0, v8
.LBB6_1400:                             ;   in Loop: Header=BB6_130 Depth=2
	s_or_b32 exec_lo, exec_lo, s42
                                        ; implicit-def: $vgpr8
.LBB6_1401:                             ;   in Loop: Header=BB6_130 Depth=2
	s_and_not1_saveexec_b32 s10, s15
; %bb.1402:                             ;   in Loop: Header=BB6_130 Depth=2
	v_or_b32_e32 v68, 0x7b, v8
; %bb.1403:                             ;   in Loop: Header=BB6_130 Depth=2
	s_or_b32 exec_lo, exec_lo, s10
                                        ; implicit-def: $vgpr1
                                        ; implicit-def: $vgpr0
.LBB6_1404:                             ;   in Loop: Header=BB6_130 Depth=2
	s_and_not1_saveexec_b32 s10, s11
	s_cbranch_execz .LBB6_1410
; %bb.1405:                             ;   in Loop: Header=BB6_130 Depth=2
	s_mov_b32 s11, exec_lo
                                        ; implicit-def: $vgpr68
	v_cmpx_ne_u64_e32 0, v[24:25]
	s_xor_b32 s11, exec_lo, s11
; %bb.1406:                             ;   in Loop: Header=BB6_130 Depth=2
	v_or_b32_e32 v68, 0x7f, v0
                                        ; implicit-def: $vgpr1
; %bb.1407:                             ;   in Loop: Header=BB6_130 Depth=2
	s_and_not1_saveexec_b32 s11, s11
; %bb.1408:                             ;   in Loop: Header=BB6_130 Depth=2
	v_cmp_lt_i32_e32 vcc_lo, -1, v1
	v_cndmask_b32_e32 v68, 0xfc, v93, vcc_lo
; %bb.1409:                             ;   in Loop: Header=BB6_130 Depth=2
	s_or_b32 exec_lo, exec_lo, s11
.LBB6_1410:                             ;   in Loop: Header=BB6_130 Depth=2
	s_delay_alu instid0(SALU_CYCLE_1) | instskip(SKIP_4) | instid1(VALU_DEP_3)
	s_or_b32 exec_lo, exec_lo, s10
	v_and_b32_e32 v6, 0xff, v33
	v_dual_mov_b32 v24, v33 :: v_dual_mov_b32 v0, v27
	v_mov_b32_e32 v1, v25
	s_and_not1_b32 vcc_lo, exec_lo, s14
	v_cmp_ne_u16_e64 s10, 0, v6
	s_mov_b32 s11, -1
                                        ; implicit-def: $vgpr8
	s_cbranch_vccnz .LBB6_1432
; %bb.1411:                             ;   in Loop: Header=BB6_130 Depth=2
	v_dual_mov_b32 v8, 0 :: v_dual_mov_b32 v7, 0
	s_and_saveexec_b32 s11, s10
	s_cbranch_execz .LBB6_1421
; %bb.1412:                             ;   in Loop: Header=BB6_130 Depth=2
	v_bfrev_b32_e32 v7, 1
	s_mov_b32 s15, exec_lo
	v_cmpx_ne_u16_e32 0x80, v6
	s_cbranch_execz .LBB6_1420
; %bb.1413:                             ;   in Loop: Header=BB6_130 Depth=2
	v_and_b32_e32 v7, 0x7c, v33
	v_and_b32_e32 v9, 3, v33
	s_delay_alu instid0(VALU_DEP_2) | instskip(SKIP_1) | instid1(SALU_CYCLE_1)
	v_cmp_ne_u32_e32 vcc_lo, 0x7c, v7
                                        ; implicit-def: $vgpr7
	s_and_saveexec_b32 s42, vcc_lo
	s_xor_b32 s42, exec_lo, s42
	s_cbranch_execz .LBB6_1417
; %bb.1414:                             ;   in Loop: Header=BB6_130 Depth=2
	v_bfe_u32 v7, v33, 2, 5
	s_mov_b32 s43, exec_lo
	s_delay_alu instid0(VALU_DEP_1)
	v_cmpx_eq_u32_e32 0, v7
; %bb.1415:                             ;   in Loop: Header=BB6_130 Depth=2
	v_clz_i32_u32_e32 v7, v9
	s_delay_alu instid0(VALU_DEP_1) | instskip(NEXT) | instid1(VALU_DEP_1)
	v_min_u32_e32 v7, 32, v7
	v_subrev_nc_u32_e32 v9, 29, v7
	s_delay_alu instid0(VALU_DEP_1) | instskip(NEXT) | instid1(VALU_DEP_1)
	v_lshlrev_b64_e32 v[70:71], v9, v[24:25]
	v_dual_sub_nc_u32 v7, 30, v7 :: v_dual_bitop2_b32 v9, 3, v70 bitop3:0x40
; %bb.1416:                             ;   in Loop: Header=BB6_130 Depth=2
	s_or_b32 exec_lo, exec_lo, s43
	v_lshlrev_b32_e32 v69, 24, v33
	s_delay_alu instid0(VALU_DEP_1) | instskip(NEXT) | instid1(VALU_DEP_1)
	v_and_b32_e32 v69, 0x80000000, v69
	v_lshl_add_u32 v7, v7, 23, v69
	s_delay_alu instid0(VALU_DEP_1) | instskip(NEXT) | instid1(VALU_DEP_1)
	v_lshl_or_b32 v7, v9, 21, v7
                                        ; implicit-def: $vgpr9
	v_add_nc_u32_e32 v7, 0x38000000, v7
.LBB6_1417:                             ;   in Loop: Header=BB6_130 Depth=2
	s_and_not1_saveexec_b32 s42, s42
; %bb.1418:                             ;   in Loop: Header=BB6_130 Depth=2
	v_bfe_i32 v7, v33, 0, 8
	s_delay_alu instid0(VALU_DEP_1) | instskip(SKIP_2) | instid1(VALU_DEP_2)
	v_cmp_lt_i16_e32 vcc_lo, -1, v7
	v_cndmask_b32_e32 v7, 0xff800000, v62, vcc_lo
	v_cmp_eq_u32_e32 vcc_lo, 0, v9
	v_cndmask_b32_e32 v7, 0x7f800001, v7, vcc_lo
; %bb.1419:                             ;   in Loop: Header=BB6_130 Depth=2
	s_or_b32 exec_lo, exec_lo, s42
.LBB6_1420:                             ;   in Loop: Header=BB6_130 Depth=2
	s_delay_alu instid0(SALU_CYCLE_1)
	s_or_b32 exec_lo, exec_lo, s15
.LBB6_1421:                             ;   in Loop: Header=BB6_130 Depth=2
	s_delay_alu instid0(SALU_CYCLE_1) | instskip(SKIP_2) | instid1(VALU_DEP_1)
	s_or_b32 exec_lo, exec_lo, s11
	v_and_b32_e32 v9, 0xff, v27
	s_mov_b32 s11, exec_lo
	v_cmpx_ne_u16_e32 0, v9
	s_cbranch_execz .LBB6_1431
; %bb.1422:                             ;   in Loop: Header=BB6_130 Depth=2
	v_bfrev_b32_e32 v8, 1
	s_mov_b32 s15, exec_lo
	v_cmpx_ne_u16_e32 0x80, v9
	s_cbranch_execz .LBB6_1430
; %bb.1423:                             ;   in Loop: Header=BB6_130 Depth=2
	v_and_b32_e32 v8, 0x7c, v27
	v_and_b32_e32 v9, 3, v27
	s_delay_alu instid0(VALU_DEP_2) | instskip(SKIP_1) | instid1(SALU_CYCLE_1)
	v_cmp_ne_u32_e32 vcc_lo, 0x7c, v8
                                        ; implicit-def: $vgpr8
	s_and_saveexec_b32 s42, vcc_lo
	s_xor_b32 s42, exec_lo, s42
	s_cbranch_execz .LBB6_1427
; %bb.1424:                             ;   in Loop: Header=BB6_130 Depth=2
	v_bfe_u32 v8, v27, 2, 5
	s_mov_b32 s43, exec_lo
	s_delay_alu instid0(VALU_DEP_1)
	v_cmpx_eq_u32_e32 0, v8
; %bb.1425:                             ;   in Loop: Header=BB6_130 Depth=2
	v_clz_i32_u32_e32 v8, v9
	s_delay_alu instid0(VALU_DEP_1) | instskip(NEXT) | instid1(VALU_DEP_1)
	v_min_u32_e32 v8, 32, v8
	v_subrev_nc_u32_e32 v9, 29, v8
	s_delay_alu instid0(VALU_DEP_1) | instskip(NEXT) | instid1(VALU_DEP_1)
	v_lshlrev_b64_e32 v[70:71], v9, v[0:1]
	v_dual_sub_nc_u32 v8, 30, v8 :: v_dual_bitop2_b32 v9, 3, v70 bitop3:0x40
; %bb.1426:                             ;   in Loop: Header=BB6_130 Depth=2
	s_or_b32 exec_lo, exec_lo, s43
	v_lshlrev_b32_e32 v69, 24, v27
	s_delay_alu instid0(VALU_DEP_1) | instskip(NEXT) | instid1(VALU_DEP_1)
	v_and_b32_e32 v69, 0x80000000, v69
	v_lshl_add_u32 v8, v8, 23, v69
	s_delay_alu instid0(VALU_DEP_1) | instskip(NEXT) | instid1(VALU_DEP_1)
	v_lshl_or_b32 v8, v9, 21, v8
                                        ; implicit-def: $vgpr9
	v_add_nc_u32_e32 v8, 0x38000000, v8
.LBB6_1427:                             ;   in Loop: Header=BB6_130 Depth=2
	s_and_not1_saveexec_b32 s42, s42
; %bb.1428:                             ;   in Loop: Header=BB6_130 Depth=2
	v_bfe_i32 v8, v27, 0, 8
	s_delay_alu instid0(VALU_DEP_1) | instskip(SKIP_2) | instid1(VALU_DEP_2)
	v_cmp_lt_i16_e32 vcc_lo, -1, v8
	v_cndmask_b32_e32 v8, 0xff800000, v62, vcc_lo
	v_cmp_eq_u32_e32 vcc_lo, 0, v9
	v_cndmask_b32_e32 v8, 0x7f800001, v8, vcc_lo
; %bb.1429:                             ;   in Loop: Header=BB6_130 Depth=2
	s_or_b32 exec_lo, exec_lo, s42
.LBB6_1430:                             ;   in Loop: Header=BB6_130 Depth=2
	s_delay_alu instid0(SALU_CYCLE_1)
	s_or_b32 exec_lo, exec_lo, s15
.LBB6_1431:                             ;   in Loop: Header=BB6_130 Depth=2
	s_delay_alu instid0(SALU_CYCLE_1) | instskip(NEXT) | instid1(VALU_DEP_1)
	s_or_b32 exec_lo, exec_lo, s11
	v_dual_max_num_f32 v8, v8, v8 :: v_dual_max_num_f32 v7, v7, v7
	s_mov_b32 s11, 0
	s_delay_alu instid0(VALU_DEP_1)
	v_max_num_f32_e32 v8, v7, v8
.LBB6_1432:                             ;   in Loop: Header=BB6_130 Depth=2
	s_and_b32 vcc_lo, exec_lo, s11
	s_cbranch_vccz .LBB6_1454
; %bb.1433:                             ;   in Loop: Header=BB6_130 Depth=2
	v_dual_mov_b32 v8, 0 :: v_dual_mov_b32 v7, 0
	s_and_saveexec_b32 s11, s10
	s_cbranch_execz .LBB6_1443
; %bb.1434:                             ;   in Loop: Header=BB6_130 Depth=2
	v_bfrev_b32_e32 v7, 1
	s_mov_b32 s10, exec_lo
	v_cmpx_ne_u16_e32 0x80, v6
	s_cbranch_execz .LBB6_1442
; %bb.1435:                             ;   in Loop: Header=BB6_130 Depth=2
	v_and_b32_e32 v7, 0x7c, v33
	v_and_b32_e32 v6, 3, v33
	s_delay_alu instid0(VALU_DEP_2) | instskip(SKIP_1) | instid1(SALU_CYCLE_1)
	v_cmp_ne_u32_e32 vcc_lo, 0x7c, v7
                                        ; implicit-def: $vgpr7
	s_and_saveexec_b32 s15, vcc_lo
	s_xor_b32 s15, exec_lo, s15
	s_cbranch_execz .LBB6_1439
; %bb.1436:                             ;   in Loop: Header=BB6_130 Depth=2
	v_bfe_u32 v7, v33, 2, 5
	s_mov_b32 s42, exec_lo
	s_delay_alu instid0(VALU_DEP_1)
	v_cmpx_eq_u32_e32 0, v7
; %bb.1437:                             ;   in Loop: Header=BB6_130 Depth=2
	v_clz_i32_u32_e32 v6, v6
	s_delay_alu instid0(VALU_DEP_1) | instskip(NEXT) | instid1(VALU_DEP_1)
	v_min_u32_e32 v9, 32, v6
	v_subrev_nc_u32_e32 v6, 29, v9
	s_delay_alu instid0(VALU_DEP_1) | instskip(NEXT) | instid1(VALU_DEP_1)
	v_lshlrev_b64_e32 v[6:7], v6, v[24:25]
	v_dual_sub_nc_u32 v7, 30, v9 :: v_dual_bitop2_b32 v6, 3, v6 bitop3:0x40
; %bb.1438:                             ;   in Loop: Header=BB6_130 Depth=2
	s_or_b32 exec_lo, exec_lo, s42
	v_lshlrev_b32_e32 v9, 24, v33
	s_delay_alu instid0(VALU_DEP_1) | instskip(NEXT) | instid1(VALU_DEP_1)
	v_and_b32_e32 v9, 0x80000000, v9
	v_lshl_add_u32 v7, v7, 23, v9
	s_delay_alu instid0(VALU_DEP_1) | instskip(NEXT) | instid1(VALU_DEP_1)
	v_lshl_or_b32 v6, v6, 21, v7
	v_add_nc_u32_e32 v7, 0x38000000, v6
                                        ; implicit-def: $vgpr6
.LBB6_1439:                             ;   in Loop: Header=BB6_130 Depth=2
	s_and_not1_saveexec_b32 s15, s15
; %bb.1440:                             ;   in Loop: Header=BB6_130 Depth=2
	v_bfe_i32 v7, v33, 0, 8
	s_delay_alu instid0(VALU_DEP_1) | instskip(SKIP_2) | instid1(VALU_DEP_2)
	v_cmp_lt_i16_e32 vcc_lo, -1, v7
	v_cndmask_b32_e32 v7, 0xff800000, v62, vcc_lo
	v_cmp_eq_u32_e32 vcc_lo, 0, v6
	v_cndmask_b32_e32 v7, 0x7f800001, v7, vcc_lo
; %bb.1441:                             ;   in Loop: Header=BB6_130 Depth=2
	s_or_b32 exec_lo, exec_lo, s15
.LBB6_1442:                             ;   in Loop: Header=BB6_130 Depth=2
	s_delay_alu instid0(SALU_CYCLE_1)
	s_or_b32 exec_lo, exec_lo, s10
.LBB6_1443:                             ;   in Loop: Header=BB6_130 Depth=2
	s_delay_alu instid0(SALU_CYCLE_1) | instskip(SKIP_2) | instid1(VALU_DEP_1)
	s_or_b32 exec_lo, exec_lo, s11
	v_and_b32_e32 v6, 0xff, v27
	s_mov_b32 s10, exec_lo
	v_cmpx_ne_u16_e32 0, v6
	s_cbranch_execz .LBB6_1453
; %bb.1444:                             ;   in Loop: Header=BB6_130 Depth=2
	v_bfrev_b32_e32 v8, 1
	s_mov_b32 s11, exec_lo
	v_cmpx_ne_u16_e32 0x80, v6
	s_cbranch_execz .LBB6_1452
; %bb.1445:                             ;   in Loop: Header=BB6_130 Depth=2
	v_and_b32_e32 v8, 0x7c, v27
	v_and_b32_e32 v6, 3, v27
	s_delay_alu instid0(VALU_DEP_2) | instskip(SKIP_1) | instid1(SALU_CYCLE_1)
	v_cmp_ne_u32_e32 vcc_lo, 0x7c, v8
                                        ; implicit-def: $vgpr8
	s_and_saveexec_b32 s15, vcc_lo
	s_xor_b32 s15, exec_lo, s15
	s_cbranch_execz .LBB6_1449
; %bb.1446:                             ;   in Loop: Header=BB6_130 Depth=2
	v_bfe_u32 v8, v27, 2, 5
	s_mov_b32 s42, exec_lo
	s_delay_alu instid0(VALU_DEP_1)
	v_cmpx_eq_u32_e32 0, v8
; %bb.1447:                             ;   in Loop: Header=BB6_130 Depth=2
	v_clz_i32_u32_e32 v6, v6
	s_delay_alu instid0(VALU_DEP_1) | instskip(NEXT) | instid1(VALU_DEP_1)
	v_min_u32_e32 v6, 32, v6
	v_subrev_nc_u32_e32 v8, 29, v6
	s_delay_alu instid0(VALU_DEP_1) | instskip(SKIP_1) | instid1(VALU_DEP_2)
	v_lshlrev_b64_e32 v[70:71], v8, v[0:1]
	v_sub_nc_u32_e32 v8, 30, v6
	v_and_b32_e32 v6, 3, v70
; %bb.1448:                             ;   in Loop: Header=BB6_130 Depth=2
	s_or_b32 exec_lo, exec_lo, s42
	v_lshlrev_b32_e32 v1, 24, v27
	s_delay_alu instid0(VALU_DEP_1) | instskip(NEXT) | instid1(VALU_DEP_1)
	v_and_b32_e32 v1, 0x80000000, v1
	v_lshl_add_u32 v1, v8, 23, v1
	s_delay_alu instid0(VALU_DEP_1) | instskip(NEXT) | instid1(VALU_DEP_1)
	v_lshl_or_b32 v1, v6, 21, v1
                                        ; implicit-def: $vgpr6
	v_add_nc_u32_e32 v8, 0x38000000, v1
.LBB6_1449:                             ;   in Loop: Header=BB6_130 Depth=2
	s_and_not1_saveexec_b32 s15, s15
; %bb.1450:                             ;   in Loop: Header=BB6_130 Depth=2
	v_bfe_i32 v1, v27, 0, 8
	s_delay_alu instid0(VALU_DEP_1) | instskip(SKIP_2) | instid1(VALU_DEP_2)
	v_cmp_lt_i16_e32 vcc_lo, -1, v1
	v_cndmask_b32_e32 v1, 0xff800000, v62, vcc_lo
	v_cmp_eq_u32_e32 vcc_lo, 0, v6
	v_cndmask_b32_e32 v8, 0x7f800001, v1, vcc_lo
; %bb.1451:                             ;   in Loop: Header=BB6_130 Depth=2
	s_or_b32 exec_lo, exec_lo, s15
.LBB6_1452:                             ;   in Loop: Header=BB6_130 Depth=2
	s_delay_alu instid0(SALU_CYCLE_1)
	s_or_b32 exec_lo, exec_lo, s11
.LBB6_1453:                             ;   in Loop: Header=BB6_130 Depth=2
	s_delay_alu instid0(SALU_CYCLE_1) | instskip(NEXT) | instid1(VALU_DEP_1)
	s_or_b32 exec_lo, exec_lo, s10
	v_dual_max_num_f32 v1, v8, v8 :: v_dual_max_num_f32 v6, v7, v7
	s_delay_alu instid0(VALU_DEP_1)
	v_min_num_f32_e32 v8, v6, v1
.LBB6_1454:                             ;   in Loop: Header=BB6_130 Depth=2
	s_delay_alu instid0(VALU_DEP_1) | instskip(SKIP_4) | instid1(VALU_DEP_3)
	v_and_b32_e32 v70, 0x7f800000, v8
	v_dual_mov_b32 v71, v25 :: v_dual_mov_b32 v7, v25
	v_and_b32_e32 v6, 0x7fffff, v8
	v_lshrrev_b32_e32 v1, 24, v8
                                        ; implicit-def: $vgpr69
	s_mov_b32 s10, exec_lo
	v_cmpx_ne_u64_e32 0x7f800000, v[70:71]
	s_xor_b32 s11, exec_lo, s10
	s_cbranch_execz .LBB6_1468
; %bb.1455:                             ;   in Loop: Header=BB6_130 Depth=2
	v_and_b32_e32 v70, 0x7fffffff, v8
	v_mov_b32_e32 v71, v25
	v_and_b32_e32 v1, 0x80, v1
                                        ; implicit-def: $vgpr69
	s_mov_b32 s10, exec_lo
	s_delay_alu instid0(VALU_DEP_2)
	v_cmpx_gt_u64_e32 0x47600001, v[70:71]
	s_xor_b32 s15, exec_lo, s10
	s_cbranch_execz .LBB6_1465
; %bb.1456:                             ;   in Loop: Header=BB6_130 Depth=2
	v_mov_b32_e32 v69, 0
	s_mov_b32 s42, exec_lo
	v_cmpx_ne_u32_e32 0, v8
	s_cbranch_execz .LBB6_1464
; %bb.1457:                             ;   in Loop: Header=BB6_130 Depth=2
	v_bfe_u32 v69, v8, 23, 8
	v_or_b32_e32 v71, 0x800000, v6
	s_delay_alu instid0(VALU_DEP_2) | instskip(SKIP_1) | instid1(VALU_DEP_2)
	v_sub_nc_u32_e32 v8, 0x71, v69
	v_cmp_gt_u32_e32 vcc_lo, 0x72, v69
	v_cndmask_b32_e32 v8, 0, v8, vcc_lo
	v_cmp_eq_u32_e32 vcc_lo, 0, v69
	s_delay_alu instid0(VALU_DEP_2) | instskip(SKIP_1) | instid1(VALU_DEP_2)
	v_cndmask_b32_e64 v70, v8, 0x70, vcc_lo
	v_cndmask_b32_e32 v6, v71, v6, vcc_lo
	v_dual_add_nc_u32 v8, 21, v70 :: v_dual_add_nc_u32 v80, 20, v70
	s_delay_alu instid0(VALU_DEP_1) | instskip(NEXT) | instid1(VALU_DEP_2)
	v_lshlrev_b64_e64 v[8:9], v8, -1
	v_lshlrev_b64_e64 v[80:81], v80, 1
	s_delay_alu instid0(VALU_DEP_2) | instskip(SKIP_1) | instid1(VALU_DEP_4)
	v_bfi_b32 v8, v8, 0, v6
	v_lshrrev_b64 v[6:7], v70, v[6:7]
	v_bfi_b32 v9, v9, 0, 0
	s_delay_alu instid0(VALU_DEP_1) | instskip(NEXT) | instid1(VALU_DEP_3)
	v_cmp_eq_u64_e64 s10, v[8:9], v[80:81]
	v_mov_b64_e32 v[8:9], v[6:7]
	s_and_saveexec_b32 s43, s10
; %bb.1458:                             ;   in Loop: Header=BB6_130 Depth=2
	v_bfe_u32 v8, v6, 21, 1
	v_mov_b32_e32 v9, v25
	s_delay_alu instid0(VALU_DEP_1) | instskip(NEXT) | instid1(VALU_DEP_1)
	v_add_nc_u64_e32 v[8:9], v[6:7], v[8:9]
	v_add_nc_u64_e32 v[8:9], -1, v[8:9]
; %bb.1459:                             ;   in Loop: Header=BB6_130 Depth=2
	s_or_b32 exec_lo, exec_lo, s43
	v_add_nc_u32_e32 v7, 0xffffff81, v69
	v_lshrrev_b32_e32 v9, 23, v6
	s_mov_b32 s10, exec_lo
	s_delay_alu instid0(VALU_DEP_2) | instskip(NEXT) | instid1(VALU_DEP_1)
	v_cndmask_b32_e64 v7, v7, 0xffffff82, vcc_lo
	v_add3_u32 v9, v70, v7, v9
	v_and_b32_e32 v7, 0x1fffff, v8
                                        ; implicit-def: $vgpr8
	s_delay_alu instid0(VALU_DEP_1) | instskip(SKIP_1) | instid1(VALU_DEP_2)
	v_dual_add_nc_u32 v69, 14, v9 :: v_dual_add_nc_u32 v6, v7, v6
	v_mov_b32_e32 v7, v25
	v_cmpx_ne_u32_e32 0, v69
	s_xor_b32 s10, exec_lo, s10
; %bb.1460:                             ;   in Loop: Header=BB6_130 Depth=2
	s_delay_alu instid0(VALU_DEP_2) | instskip(SKIP_2) | instid1(VALU_DEP_2)
	v_cmp_lt_u64_e32 vcc_lo, 0xffffff, v[6:7]
	v_add_nc_u32_e32 v8, 15, v9
	v_cndmask_b32_e64 v9, 0, 1, vcc_lo
	v_cndmask_b32_e32 v8, v69, v8, vcc_lo
	s_delay_alu instid0(VALU_DEP_2)
	v_lshrrev_b64 v[6:7], v9, v[6:7]
; %bb.1461:                             ;   in Loop: Header=BB6_130 Depth=2
	s_and_not1_saveexec_b32 s10, s10
; %bb.1462:                             ;   in Loop: Header=BB6_130 Depth=2
	s_delay_alu instid0(VALU_DEP_1)
	v_bfe_u32 v8, v6, 23, 1
; %bb.1463:                             ;   in Loop: Header=BB6_130 Depth=2
	s_or_b32 exec_lo, exec_lo, s10
	s_delay_alu instid0(VALU_DEP_2) | instskip(NEXT) | instid1(VALU_DEP_2)
	v_lshrrev_b64 v[6:7], 21, v[6:7]
	v_cmp_gt_i32_e32 vcc_lo, 32, v8
	v_min_i32_e32 v9, 31, v8
	v_cmp_eq_u32_e64 s10, 0, v8
	s_delay_alu instid0(VALU_DEP_2) | instskip(SKIP_1) | instid1(VALU_DEP_2)
	v_dual_cndmask_b32 v7, 0, v7, vcc_lo :: v_dual_lshlrev_b32 v9, 2, v9
	v_cndmask_b32_e32 v6, 3, v6, vcc_lo
	v_and_b32_e32 v9, 0xfc, v9
	s_delay_alu instid0(VALU_DEP_2) | instskip(NEXT) | instid1(VALU_DEP_2)
	v_cmp_eq_u64_e32 vcc_lo, 0, v[6:7]
	v_and_or_b32 v6, v6, 3, v9
	s_and_b32 s10, s10, vcc_lo
	s_delay_alu instid0(VALU_DEP_1) | instid1(SALU_CYCLE_1)
	v_cndmask_b32_e64 v6, v6, 0, s10
	s_delay_alu instid0(VALU_DEP_1)
	v_or_b32_e32 v69, v6, v1
.LBB6_1464:                             ;   in Loop: Header=BB6_130 Depth=2
	s_or_b32 exec_lo, exec_lo, s42
                                        ; implicit-def: $vgpr1
.LBB6_1465:                             ;   in Loop: Header=BB6_130 Depth=2
	s_and_not1_saveexec_b32 s10, s15
; %bb.1466:                             ;   in Loop: Header=BB6_130 Depth=2
	v_or_b32_e32 v69, 0x7b, v1
; %bb.1467:                             ;   in Loop: Header=BB6_130 Depth=2
	s_or_b32 exec_lo, exec_lo, s10
                                        ; implicit-def: $vgpr8
                                        ; implicit-def: $vgpr6_vgpr7
                                        ; implicit-def: $vgpr1
.LBB6_1468:                             ;   in Loop: Header=BB6_130 Depth=2
	s_and_not1_saveexec_b32 s10, s11
	s_cbranch_execz .LBB6_1474
; %bb.1469:                             ;   in Loop: Header=BB6_130 Depth=2
	s_mov_b32 s11, exec_lo
                                        ; implicit-def: $vgpr69
	v_cmpx_ne_u64_e32 0, v[6:7]
	s_xor_b32 s11, exec_lo, s11
; %bb.1470:                             ;   in Loop: Header=BB6_130 Depth=2
	v_or_b32_e32 v69, 0x7f, v1
                                        ; implicit-def: $vgpr8
; %bb.1471:                             ;   in Loop: Header=BB6_130 Depth=2
	s_and_not1_saveexec_b32 s11, s11
; %bb.1472:                             ;   in Loop: Header=BB6_130 Depth=2
	v_cmp_lt_i32_e32 vcc_lo, -1, v8
	v_cndmask_b32_e32 v69, 0xfc, v93, vcc_lo
; %bb.1473:                             ;   in Loop: Header=BB6_130 Depth=2
	s_or_b32 exec_lo, exec_lo, s11
.LBB6_1474:                             ;   in Loop: Header=BB6_130 Depth=2
	s_delay_alu instid0(SALU_CYCLE_1) | instskip(SKIP_4) | instid1(VALU_DEP_2)
	s_or_b32 exec_lo, exec_lo, s10
	v_lshrrev_b16 v8, 8, v24
	v_lshrrev_b16 v6, 8, v0
	s_and_not1_b32 vcc_lo, exec_lo, s14
	s_mov_b32 s11, -1
                                        ; implicit-def: $vgpr7
	v_and_b32_e32 v1, 0xffff, v8
	v_cmp_ne_u16_e64 s10, 0, v8
	s_cbranch_vccnz .LBB6_1496
; %bb.1475:                             ;   in Loop: Header=BB6_130 Depth=2
	v_dual_mov_b32 v7, 0 :: v_dual_mov_b32 v9, 0
	s_and_saveexec_b32 s11, s10
	s_cbranch_execz .LBB6_1485
; %bb.1476:                             ;   in Loop: Header=BB6_130 Depth=2
	v_bfrev_b32_e32 v9, 1
	s_mov_b32 s15, exec_lo
	v_cmpx_ne_u16_e32 0x80, v8
	s_cbranch_execz .LBB6_1484
; %bb.1477:                             ;   in Loop: Header=BB6_130 Depth=2
	v_and_b32_e32 v9, 0x7c, v1
	v_and_b32_e32 v70, 3, v1
	s_delay_alu instid0(VALU_DEP_2) | instskip(SKIP_1) | instid1(SALU_CYCLE_1)
	v_cmp_ne_u32_e32 vcc_lo, 0x7c, v9
                                        ; implicit-def: $vgpr9
	s_and_saveexec_b32 s42, vcc_lo
	s_xor_b32 s42, exec_lo, s42
	s_cbranch_execz .LBB6_1481
; %bb.1478:                             ;   in Loop: Header=BB6_130 Depth=2
	v_bfe_u32 v9, v1, 2, 5
	s_mov_b32 s43, exec_lo
	s_delay_alu instid0(VALU_DEP_1)
	v_cmpx_eq_u32_e32 0, v9
; %bb.1479:                             ;   in Loop: Header=BB6_130 Depth=2
	v_clz_i32_u32_e32 v9, v70
	s_delay_alu instid0(VALU_DEP_1) | instskip(SKIP_1) | instid1(VALU_DEP_2)
	v_min_u32_e32 v80, 32, v9
	v_mov_b32_e32 v9, v25
	v_subrev_nc_u32_e32 v70, 29, v80
	s_delay_alu instid0(VALU_DEP_1) | instskip(NEXT) | instid1(VALU_DEP_1)
	v_lshlrev_b64_e32 v[70:71], v70, v[8:9]
	v_dual_sub_nc_u32 v9, 30, v80 :: v_dual_bitop2_b32 v70, 3, v70 bitop3:0x40
; %bb.1480:                             ;   in Loop: Header=BB6_130 Depth=2
	s_or_b32 exec_lo, exec_lo, s43
	v_lshlrev_b32_e32 v71, 16, v24
	s_delay_alu instid0(VALU_DEP_1) | instskip(NEXT) | instid1(VALU_DEP_1)
	v_and_b32_e32 v71, 0x80000000, v71
	v_lshl_add_u32 v9, v9, 23, v71
	s_delay_alu instid0(VALU_DEP_1) | instskip(NEXT) | instid1(VALU_DEP_1)
	v_lshl_or_b32 v9, v70, 21, v9
                                        ; implicit-def: $vgpr70
	v_add_nc_u32_e32 v9, 0x38000000, v9
.LBB6_1481:                             ;   in Loop: Header=BB6_130 Depth=2
	s_and_not1_saveexec_b32 s42, s42
; %bb.1482:                             ;   in Loop: Header=BB6_130 Depth=2
	v_cmp_lt_i16_e32 vcc_lo, -1, v24
	v_cndmask_b32_e32 v9, 0xff800000, v62, vcc_lo
	v_cmp_eq_u32_e32 vcc_lo, 0, v70
	s_delay_alu instid0(VALU_DEP_2)
	v_cndmask_b32_e32 v9, 0x7f800001, v9, vcc_lo
; %bb.1483:                             ;   in Loop: Header=BB6_130 Depth=2
	s_or_b32 exec_lo, exec_lo, s42
.LBB6_1484:                             ;   in Loop: Header=BB6_130 Depth=2
	s_delay_alu instid0(SALU_CYCLE_1)
	s_or_b32 exec_lo, exec_lo, s15
.LBB6_1485:                             ;   in Loop: Header=BB6_130 Depth=2
	s_delay_alu instid0(SALU_CYCLE_1) | instskip(NEXT) | instid1(SALU_CYCLE_1)
	s_or_b32 exec_lo, exec_lo, s11
	s_mov_b32 s11, exec_lo
	v_cmpx_ne_u16_e32 0, v6
	s_cbranch_execz .LBB6_1495
; %bb.1486:                             ;   in Loop: Header=BB6_130 Depth=2
	v_bfrev_b32_e32 v7, 1
	s_mov_b32 s15, exec_lo
	v_cmpx_ne_u16_e32 0x80, v6
	s_cbranch_execz .LBB6_1494
; %bb.1487:                             ;   in Loop: Header=BB6_130 Depth=2
	v_and_b32_e32 v71, 0xffff, v6
	s_delay_alu instid0(VALU_DEP_1) | instskip(SKIP_1) | instid1(VALU_DEP_2)
	v_and_b32_e32 v7, 0x7c, v71
	v_and_b32_e32 v70, 3, v71
	v_cmp_ne_u32_e32 vcc_lo, 0x7c, v7
                                        ; implicit-def: $vgpr7
	s_and_saveexec_b32 s42, vcc_lo
	s_delay_alu instid0(SALU_CYCLE_1)
	s_xor_b32 s42, exec_lo, s42
	s_cbranch_execz .LBB6_1491
; %bb.1488:                             ;   in Loop: Header=BB6_130 Depth=2
	v_bfe_u32 v7, v71, 2, 5
	s_mov_b32 s43, exec_lo
	s_delay_alu instid0(VALU_DEP_1)
	v_cmpx_eq_u32_e32 0, v7
; %bb.1489:                             ;   in Loop: Header=BB6_130 Depth=2
	v_clz_i32_u32_e32 v7, v70
	s_delay_alu instid0(VALU_DEP_1) | instskip(SKIP_1) | instid1(VALU_DEP_2)
	v_min_u32_e32 v80, 32, v7
	v_mov_b32_e32 v7, v25
	v_subrev_nc_u32_e32 v70, 29, v80
	s_delay_alu instid0(VALU_DEP_1) | instskip(NEXT) | instid1(VALU_DEP_1)
	v_lshlrev_b64_e32 v[70:71], v70, v[6:7]
	v_dual_sub_nc_u32 v7, 30, v80 :: v_dual_bitop2_b32 v70, 3, v70 bitop3:0x40
; %bb.1490:                             ;   in Loop: Header=BB6_130 Depth=2
	s_or_b32 exec_lo, exec_lo, s43
	v_lshlrev_b32_e32 v71, 16, v0
	s_delay_alu instid0(VALU_DEP_1) | instskip(NEXT) | instid1(VALU_DEP_1)
	v_and_b32_e32 v71, 0x80000000, v71
	v_lshl_add_u32 v7, v7, 23, v71
	s_delay_alu instid0(VALU_DEP_1) | instskip(NEXT) | instid1(VALU_DEP_1)
	v_lshl_or_b32 v7, v70, 21, v7
                                        ; implicit-def: $vgpr70
	v_add_nc_u32_e32 v7, 0x38000000, v7
.LBB6_1491:                             ;   in Loop: Header=BB6_130 Depth=2
	s_and_not1_saveexec_b32 s42, s42
; %bb.1492:                             ;   in Loop: Header=BB6_130 Depth=2
	v_cmp_lt_i16_e32 vcc_lo, -1, v0
	v_cndmask_b32_e32 v7, 0xff800000, v62, vcc_lo
	v_cmp_eq_u32_e32 vcc_lo, 0, v70
	s_delay_alu instid0(VALU_DEP_2)
	v_cndmask_b32_e32 v7, 0x7f800001, v7, vcc_lo
; %bb.1493:                             ;   in Loop: Header=BB6_130 Depth=2
	s_or_b32 exec_lo, exec_lo, s42
.LBB6_1494:                             ;   in Loop: Header=BB6_130 Depth=2
	s_delay_alu instid0(SALU_CYCLE_1)
	s_or_b32 exec_lo, exec_lo, s15
.LBB6_1495:                             ;   in Loop: Header=BB6_130 Depth=2
	s_delay_alu instid0(SALU_CYCLE_1) | instskip(NEXT) | instid1(VALU_DEP_1)
	s_or_b32 exec_lo, exec_lo, s11
	v_dual_max_num_f32 v7, v7, v7 :: v_dual_max_num_f32 v9, v9, v9
	s_mov_b32 s11, 0
	s_delay_alu instid0(VALU_DEP_1)
	v_max_num_f32_e32 v7, v9, v7
.LBB6_1496:                             ;   in Loop: Header=BB6_130 Depth=2
	s_and_b32 vcc_lo, exec_lo, s11
	s_cbranch_vccz .LBB6_1518
; %bb.1497:                             ;   in Loop: Header=BB6_130 Depth=2
	v_dual_mov_b32 v7, 0 :: v_dual_mov_b32 v9, 0
	s_and_saveexec_b32 s11, s10
	s_cbranch_execz .LBB6_1507
; %bb.1498:                             ;   in Loop: Header=BB6_130 Depth=2
	v_bfrev_b32_e32 v9, 1
	s_mov_b32 s10, exec_lo
	v_cmpx_ne_u16_e32 0x80, v8
	s_cbranch_execz .LBB6_1506
; %bb.1499:                             ;   in Loop: Header=BB6_130 Depth=2
	v_and_b32_e32 v9, 0x7c, v1
	v_and_b32_e32 v70, 3, v1
	s_delay_alu instid0(VALU_DEP_2) | instskip(SKIP_1) | instid1(SALU_CYCLE_1)
	v_cmp_ne_u32_e32 vcc_lo, 0x7c, v9
                                        ; implicit-def: $vgpr9
	s_and_saveexec_b32 s15, vcc_lo
	s_xor_b32 s15, exec_lo, s15
	s_cbranch_execz .LBB6_1503
; %bb.1500:                             ;   in Loop: Header=BB6_130 Depth=2
	v_bfe_u32 v1, v1, 2, 5
	s_mov_b32 s42, exec_lo
	s_delay_alu instid0(VALU_DEP_1)
	v_cmpx_eq_u32_e32 0, v1
	s_cbranch_execz .LBB6_1502
; %bb.1501:                             ;   in Loop: Header=BB6_130 Depth=2
	v_clz_i32_u32_e32 v1, v70
	s_delay_alu instid0(VALU_DEP_1) | instskip(SKIP_1) | instid1(VALU_DEP_2)
	v_min_u32_e32 v1, 32, v1
	v_mov_b32_e32 v9, v25
	v_subrev_nc_u32_e32 v70, 29, v1
	v_sub_nc_u32_e32 v1, 30, v1
	s_delay_alu instid0(VALU_DEP_2) | instskip(NEXT) | instid1(VALU_DEP_1)
	v_lshlrev_b64_e32 v[8:9], v70, v[8:9]
	v_and_b32_e32 v70, 3, v8
.LBB6_1502:                             ;   in Loop: Header=BB6_130 Depth=2
	s_or_b32 exec_lo, exec_lo, s42
	v_lshlrev_b32_e32 v8, 16, v24
	s_delay_alu instid0(VALU_DEP_1) | instskip(NEXT) | instid1(VALU_DEP_1)
	v_and_b32_e32 v8, 0x80000000, v8
	v_lshl_add_u32 v1, v1, 23, v8
	s_delay_alu instid0(VALU_DEP_1) | instskip(NEXT) | instid1(VALU_DEP_1)
	v_lshl_or_b32 v1, v70, 21, v1
                                        ; implicit-def: $vgpr70
	v_add_nc_u32_e32 v9, 0x38000000, v1
.LBB6_1503:                             ;   in Loop: Header=BB6_130 Depth=2
	s_and_not1_saveexec_b32 s15, s15
; %bb.1504:                             ;   in Loop: Header=BB6_130 Depth=2
	v_cmp_lt_i16_e32 vcc_lo, -1, v24
	v_cndmask_b32_e32 v1, 0xff800000, v62, vcc_lo
	v_cmp_eq_u32_e32 vcc_lo, 0, v70
	s_delay_alu instid0(VALU_DEP_2)
	v_cndmask_b32_e32 v9, 0x7f800001, v1, vcc_lo
; %bb.1505:                             ;   in Loop: Header=BB6_130 Depth=2
	s_or_b32 exec_lo, exec_lo, s15
.LBB6_1506:                             ;   in Loop: Header=BB6_130 Depth=2
	s_delay_alu instid0(SALU_CYCLE_1)
	s_or_b32 exec_lo, exec_lo, s10
.LBB6_1507:                             ;   in Loop: Header=BB6_130 Depth=2
	s_delay_alu instid0(SALU_CYCLE_1) | instskip(NEXT) | instid1(SALU_CYCLE_1)
	s_or_b32 exec_lo, exec_lo, s11
	s_mov_b32 s10, exec_lo
	v_cmpx_ne_u16_e32 0, v6
	s_cbranch_execz .LBB6_1517
; %bb.1508:                             ;   in Loop: Header=BB6_130 Depth=2
	v_bfrev_b32_e32 v7, 1
	s_mov_b32 s11, exec_lo
	v_cmpx_ne_u16_e32 0x80, v6
	s_cbranch_execz .LBB6_1516
; %bb.1509:                             ;   in Loop: Header=BB6_130 Depth=2
	v_and_b32_e32 v1, 0xffff, v6
	s_delay_alu instid0(VALU_DEP_1) | instskip(SKIP_1) | instid1(VALU_DEP_2)
	v_and_b32_e32 v7, 0x7c, v1
	v_and_b32_e32 v8, 3, v1
	v_cmp_ne_u32_e32 vcc_lo, 0x7c, v7
                                        ; implicit-def: $vgpr7
	s_and_saveexec_b32 s15, vcc_lo
	s_delay_alu instid0(SALU_CYCLE_1)
	s_xor_b32 s15, exec_lo, s15
	s_cbranch_execz .LBB6_1513
; %bb.1510:                             ;   in Loop: Header=BB6_130 Depth=2
	v_bfe_u32 v1, v1, 2, 5
	s_mov_b32 s42, exec_lo
	s_delay_alu instid0(VALU_DEP_1)
	v_cmpx_eq_u32_e32 0, v1
	s_cbranch_execz .LBB6_1512
; %bb.1511:                             ;   in Loop: Header=BB6_130 Depth=2
	v_clz_i32_u32_e32 v1, v8
	s_delay_alu instid0(VALU_DEP_1) | instskip(SKIP_1) | instid1(VALU_DEP_2)
	v_min_u32_e32 v1, 32, v1
	v_mov_b32_e32 v7, v25
	v_subrev_nc_u32_e32 v8, 29, v1
	v_sub_nc_u32_e32 v1, 30, v1
	s_delay_alu instid0(VALU_DEP_2) | instskip(NEXT) | instid1(VALU_DEP_1)
	v_lshlrev_b64_e32 v[6:7], v8, v[6:7]
	v_and_b32_e32 v8, 3, v6
.LBB6_1512:                             ;   in Loop: Header=BB6_130 Depth=2
	s_or_b32 exec_lo, exec_lo, s42
	v_lshlrev_b32_e32 v0, 16, v0
	s_delay_alu instid0(VALU_DEP_1) | instskip(NEXT) | instid1(VALU_DEP_1)
	v_and_b32_e32 v0, 0x80000000, v0
	v_lshl_add_u32 v0, v1, 23, v0
	s_delay_alu instid0(VALU_DEP_1) | instskip(NEXT) | instid1(VALU_DEP_1)
	v_lshl_or_b32 v0, v8, 21, v0
                                        ; implicit-def: $vgpr8
	v_add_nc_u32_e32 v7, 0x38000000, v0
                                        ; implicit-def: $vgpr0_vgpr1
.LBB6_1513:                             ;   in Loop: Header=BB6_130 Depth=2
	s_and_not1_saveexec_b32 s15, s15
; %bb.1514:                             ;   in Loop: Header=BB6_130 Depth=2
	v_cmp_lt_i16_e32 vcc_lo, -1, v0
	v_cndmask_b32_e32 v0, 0xff800000, v62, vcc_lo
	v_cmp_eq_u32_e32 vcc_lo, 0, v8
	s_delay_alu instid0(VALU_DEP_2)
	v_cndmask_b32_e32 v7, 0x7f800001, v0, vcc_lo
; %bb.1515:                             ;   in Loop: Header=BB6_130 Depth=2
	s_or_b32 exec_lo, exec_lo, s15
.LBB6_1516:                             ;   in Loop: Header=BB6_130 Depth=2
	s_delay_alu instid0(SALU_CYCLE_1)
	s_or_b32 exec_lo, exec_lo, s11
.LBB6_1517:                             ;   in Loop: Header=BB6_130 Depth=2
	s_delay_alu instid0(SALU_CYCLE_1) | instskip(NEXT) | instid1(VALU_DEP_1)
	s_or_b32 exec_lo, exec_lo, s10
	v_dual_max_num_f32 v0, v7, v7 :: v_dual_max_num_f32 v1, v9, v9
	s_delay_alu instid0(VALU_DEP_1)
	v_min_num_f32_e32 v7, v1, v0
.LBB6_1518:                             ;   in Loop: Header=BB6_130 Depth=2
	s_delay_alu instid0(VALU_DEP_1) | instskip(SKIP_2) | instid1(VALU_DEP_2)
	v_and_b32_e32 v0, 0x7f800000, v7
	v_mov_b32_e32 v1, v25
	v_and_b32_e32 v24, 0x7fffff, v7
                                        ; implicit-def: $vgpr70
	v_cmp_ne_u64_e32 vcc_lo, 0x7f800000, v[0:1]
	v_lshrrev_b32_e32 v0, 24, v7
	s_and_saveexec_b32 s10, vcc_lo
	s_delay_alu instid0(SALU_CYCLE_1)
	s_xor_b32 s11, exec_lo, s10
	s_cbranch_execz .LBB6_1532
; %bb.1519:                             ;   in Loop: Header=BB6_130 Depth=2
	v_and_b32_e32 v8, 0x7fffffff, v7
	v_mov_b32_e32 v9, v25
                                        ; implicit-def: $vgpr70
	s_delay_alu instid0(VALU_DEP_1) | instskip(SKIP_2) | instid1(SALU_CYCLE_1)
	v_cmp_gt_u64_e32 vcc_lo, 0x47600001, v[8:9]
	v_and_b32_e32 v8, 0x80, v0
	s_and_saveexec_b32 s10, vcc_lo
	s_xor_b32 s15, exec_lo, s10
	s_cbranch_execz .LBB6_1529
; %bb.1520:                             ;   in Loop: Header=BB6_130 Depth=2
	v_mov_b32_e32 v70, 0
	s_mov_b32 s42, exec_lo
	v_cmpx_ne_u32_e32 0, v7
	s_cbranch_execz .LBB6_1528
; %bb.1521:                             ;   in Loop: Header=BB6_130 Depth=2
	v_bfe_u32 v9, v7, 23, 8
	v_or_b32_e32 v6, 0x800000, v24
	s_delay_alu instid0(VALU_DEP_2) | instskip(SKIP_1) | instid1(VALU_DEP_2)
	v_sub_nc_u32_e32 v0, 0x71, v9
	v_cmp_gt_u32_e32 vcc_lo, 0x72, v9
	v_cndmask_b32_e32 v0, 0, v0, vcc_lo
	v_cmp_eq_u32_e32 vcc_lo, 0, v9
	s_delay_alu instid0(VALU_DEP_2) | instskip(NEXT) | instid1(VALU_DEP_1)
	v_cndmask_b32_e64 v70, v0, 0x70, vcc_lo
	v_dual_cndmask_b32 v24, v6, v24, vcc_lo :: v_dual_add_nc_u32 v0, 21, v70
	v_add_nc_u32_e32 v7, 20, v70
	s_delay_alu instid0(VALU_DEP_2) | instskip(NEXT) | instid1(VALU_DEP_2)
	v_lshlrev_b64_e64 v[0:1], v0, -1
	v_lshlrev_b64_e64 v[6:7], v7, 1
	s_delay_alu instid0(VALU_DEP_2) | instskip(NEXT) | instid1(VALU_DEP_3)
	v_bfi_b32 v81, v1, 0, 0
	v_bfi_b32 v80, v0, 0, v24
	v_lshrrev_b64 v[0:1], v70, v[24:25]
	s_delay_alu instid0(VALU_DEP_2) | instskip(NEXT) | instid1(VALU_DEP_2)
	v_cmp_eq_u64_e64 s10, v[80:81], v[6:7]
	v_mov_b64_e32 v[6:7], v[0:1]
	s_and_saveexec_b32 s43, s10
; %bb.1522:                             ;   in Loop: Header=BB6_130 Depth=2
	v_bfe_u32 v24, v0, 21, 1
	s_delay_alu instid0(VALU_DEP_1) | instskip(NEXT) | instid1(VALU_DEP_1)
	v_add_nc_u64_e32 v[6:7], v[0:1], v[24:25]
	v_add_nc_u64_e32 v[6:7], -1, v[6:7]
; %bb.1523:                             ;   in Loop: Header=BB6_130 Depth=2
	s_or_b32 exec_lo, exec_lo, s43
	v_add_nc_u32_e32 v1, 0xffffff81, v9
	v_lshrrev_b32_e32 v7, 23, v0
	s_mov_b32 s10, exec_lo
	s_delay_alu instid0(VALU_DEP_2) | instskip(NEXT) | instid1(VALU_DEP_1)
	v_cndmask_b32_e64 v1, v1, 0xffffff82, vcc_lo
	v_add3_u32 v7, v70, v1, v7
	v_and_b32_e32 v1, 0x1fffff, v6
                                        ; implicit-def: $vgpr6
	s_delay_alu instid0(VALU_DEP_1) | instskip(NEXT) | instid1(VALU_DEP_1)
	v_dual_add_nc_u32 v9, 14, v7 :: v_dual_add_nc_u32 v24, v1, v0
                                        ; implicit-def: $vgpr0_vgpr1
	v_cmpx_ne_u32_e32 0, v9
	s_xor_b32 s10, exec_lo, s10
; %bb.1524:                             ;   in Loop: Header=BB6_130 Depth=2
	s_delay_alu instid0(VALU_DEP_2) | instskip(SKIP_1) | instid1(VALU_DEP_1)
	v_cmp_lt_u64_e32 vcc_lo, 0xffffff, v[24:25]
	v_add_nc_u32_e32 v0, 15, v7
	v_cndmask_b32_e32 v6, v9, v0, vcc_lo
	v_cndmask_b32_e64 v0, 0, 1, vcc_lo
	s_delay_alu instid0(VALU_DEP_1)
	v_lshrrev_b64 v[0:1], v0, v[24:25]
; %bb.1525:                             ;   in Loop: Header=BB6_130 Depth=2
	s_and_not1_saveexec_b32 s10, s10
; %bb.1526:                             ;   in Loop: Header=BB6_130 Depth=2
	v_mov_b64_e32 v[0:1], v[24:25]
	v_bfe_u32 v6, v24, 23, 1
; %bb.1527:                             ;   in Loop: Header=BB6_130 Depth=2
	s_or_b32 exec_lo, exec_lo, s10
	s_delay_alu instid0(VALU_DEP_2) | instskip(NEXT) | instid1(VALU_DEP_2)
	v_lshrrev_b64 v[0:1], 21, v[0:1]
	v_cmp_gt_i32_e32 vcc_lo, 32, v6
	v_min_i32_e32 v7, 31, v6
	v_cmp_eq_u32_e64 s10, 0, v6
	s_delay_alu instid0(VALU_DEP_2) | instskip(SKIP_1) | instid1(VALU_DEP_2)
	v_dual_cndmask_b32 v1, 0, v1, vcc_lo :: v_dual_lshlrev_b32 v7, 2, v7
	v_cndmask_b32_e32 v0, 3, v0, vcc_lo
	v_and_b32_e32 v7, 0xfc, v7
	s_delay_alu instid0(VALU_DEP_2) | instskip(NEXT) | instid1(VALU_DEP_2)
	v_cmp_eq_u64_e32 vcc_lo, 0, v[0:1]
	v_and_or_b32 v0, v0, 3, v7
	s_and_b32 s10, s10, vcc_lo
	s_delay_alu instid0(VALU_DEP_1) | instid1(SALU_CYCLE_1)
	v_cndmask_b32_e64 v0, v0, 0, s10
	s_delay_alu instid0(VALU_DEP_1)
	v_or_b32_e32 v70, v0, v8
.LBB6_1528:                             ;   in Loop: Header=BB6_130 Depth=2
	s_or_b32 exec_lo, exec_lo, s42
                                        ; implicit-def: $vgpr8
.LBB6_1529:                             ;   in Loop: Header=BB6_130 Depth=2
	s_and_not1_saveexec_b32 s10, s15
; %bb.1530:                             ;   in Loop: Header=BB6_130 Depth=2
	v_or_b32_e32 v70, 0x7b, v8
; %bb.1531:                             ;   in Loop: Header=BB6_130 Depth=2
	s_or_b32 exec_lo, exec_lo, s10
                                        ; implicit-def: $vgpr7
                                        ; implicit-def: $vgpr0
.LBB6_1532:                             ;   in Loop: Header=BB6_130 Depth=2
	s_and_not1_saveexec_b32 s10, s11
	s_cbranch_execz .LBB6_1538
; %bb.1533:                             ;   in Loop: Header=BB6_130 Depth=2
	s_mov_b32 s11, exec_lo
                                        ; implicit-def: $vgpr70
	v_cmpx_ne_u64_e32 0, v[24:25]
	s_xor_b32 s11, exec_lo, s11
; %bb.1534:                             ;   in Loop: Header=BB6_130 Depth=2
	v_or_b32_e32 v70, 0x7f, v0
                                        ; implicit-def: $vgpr7
; %bb.1535:                             ;   in Loop: Header=BB6_130 Depth=2
	s_and_not1_saveexec_b32 s11, s11
; %bb.1536:                             ;   in Loop: Header=BB6_130 Depth=2
	v_cmp_lt_i32_e32 vcc_lo, -1, v7
	v_cndmask_b32_e32 v70, 0xfc, v93, vcc_lo
; %bb.1537:                             ;   in Loop: Header=BB6_130 Depth=2
	s_or_b32 exec_lo, exec_lo, s11
.LBB6_1538:                             ;   in Loop: Header=BB6_130 Depth=2
	s_delay_alu instid0(SALU_CYCLE_1) | instskip(SKIP_3) | instid1(VALU_DEP_1)
	s_or_b32 exec_lo, exec_lo, s10
	v_dual_lshrrev_b32 v6, 16, v33 :: v_dual_lshrrev_b32 v0, 16, v27
	s_and_not1_b32 vcc_lo, exec_lo, s14
	s_mov_b32 s11, -1
                                        ; implicit-def: $vgpr7
	v_and_b32_e32 v1, 0xff, v6
	s_delay_alu instid0(VALU_DEP_1)
	v_cmp_ne_u16_e64 s10, 0, v1
	s_cbranch_vccnz .LBB6_1560
; %bb.1539:                             ;   in Loop: Header=BB6_130 Depth=2
	v_dual_mov_b32 v8, 0 :: v_dual_mov_b32 v7, 0
	s_and_saveexec_b32 s11, s10
	s_cbranch_execz .LBB6_1549
; %bb.1540:                             ;   in Loop: Header=BB6_130 Depth=2
	v_bfrev_b32_e32 v7, 1
	s_mov_b32 s15, exec_lo
	v_cmpx_ne_u16_e32 0x80, v1
	s_cbranch_execz .LBB6_1548
; %bb.1541:                             ;   in Loop: Header=BB6_130 Depth=2
	v_and_b32_e32 v7, 0x7c0000, v33
	v_bfe_u32 v9, v33, 16, 2
	s_delay_alu instid0(VALU_DEP_2) | instskip(SKIP_1) | instid1(SALU_CYCLE_1)
	v_cmp_ne_u32_e32 vcc_lo, 0x7c0000, v7
                                        ; implicit-def: $vgpr7
	s_and_saveexec_b32 s42, vcc_lo
	s_xor_b32 s42, exec_lo, s42
	s_cbranch_execz .LBB6_1545
; %bb.1542:                             ;   in Loop: Header=BB6_130 Depth=2
	v_bfe_u32 v7, v33, 18, 5
	s_mov_b32 s43, exec_lo
	s_delay_alu instid0(VALU_DEP_1)
	v_cmpx_eq_u32_e32 0, v7
; %bb.1543:                             ;   in Loop: Header=BB6_130 Depth=2
	v_clz_i32_u32_e32 v7, v9
	s_delay_alu instid0(VALU_DEP_1) | instskip(NEXT) | instid1(VALU_DEP_1)
	v_min_u32_e32 v7, 32, v7
	v_subrev_nc_u32_e32 v9, 29, v7
	s_delay_alu instid0(VALU_DEP_1) | instskip(NEXT) | instid1(VALU_DEP_1)
	v_lshlrev_b64_e32 v[80:81], v9, v[6:7]
	v_dual_sub_nc_u32 v7, 30, v7 :: v_dual_bitop2_b32 v9, 3, v80 bitop3:0x40
; %bb.1544:                             ;   in Loop: Header=BB6_130 Depth=2
	s_or_b32 exec_lo, exec_lo, s43
	v_lshlrev_b32_e32 v24, 24, v6
	s_delay_alu instid0(VALU_DEP_1) | instskip(NEXT) | instid1(VALU_DEP_1)
	v_and_b32_e32 v24, 0x80000000, v24
	v_lshl_add_u32 v7, v7, 23, v24
	s_delay_alu instid0(VALU_DEP_1) | instskip(NEXT) | instid1(VALU_DEP_1)
	v_lshl_or_b32 v7, v9, 21, v7
                                        ; implicit-def: $vgpr9
	v_add_nc_u32_e32 v7, 0x38000000, v7
.LBB6_1545:                             ;   in Loop: Header=BB6_130 Depth=2
	s_and_not1_saveexec_b32 s42, s42
; %bb.1546:                             ;   in Loop: Header=BB6_130 Depth=2
	v_bfe_i32 v7, v6, 0, 8
	s_delay_alu instid0(VALU_DEP_1) | instskip(SKIP_2) | instid1(VALU_DEP_2)
	v_cmp_lt_i16_e32 vcc_lo, -1, v7
	v_cndmask_b32_e32 v7, 0xff800000, v62, vcc_lo
	v_cmp_eq_u32_e32 vcc_lo, 0, v9
	v_cndmask_b32_e32 v7, 0x7f800001, v7, vcc_lo
; %bb.1547:                             ;   in Loop: Header=BB6_130 Depth=2
	s_or_b32 exec_lo, exec_lo, s42
.LBB6_1548:                             ;   in Loop: Header=BB6_130 Depth=2
	s_delay_alu instid0(SALU_CYCLE_1)
	s_or_b32 exec_lo, exec_lo, s15
.LBB6_1549:                             ;   in Loop: Header=BB6_130 Depth=2
	s_delay_alu instid0(SALU_CYCLE_1) | instskip(SKIP_2) | instid1(VALU_DEP_1)
	s_or_b32 exec_lo, exec_lo, s11
	v_and_b32_e32 v9, 0xff, v0
	s_mov_b32 s11, exec_lo
	v_cmpx_ne_u16_e32 0, v9
	s_cbranch_execz .LBB6_1559
; %bb.1550:                             ;   in Loop: Header=BB6_130 Depth=2
	v_bfrev_b32_e32 v8, 1
	s_mov_b32 s15, exec_lo
	v_cmpx_ne_u16_e32 0x80, v9
	s_cbranch_execz .LBB6_1558
; %bb.1551:                             ;   in Loop: Header=BB6_130 Depth=2
	v_and_b32_e32 v8, 0x7c0000, v27
	v_bfe_u32 v9, v27, 16, 2
	s_delay_alu instid0(VALU_DEP_2) | instskip(SKIP_1) | instid1(SALU_CYCLE_1)
	v_cmp_ne_u32_e32 vcc_lo, 0x7c0000, v8
                                        ; implicit-def: $vgpr8
	s_and_saveexec_b32 s42, vcc_lo
	s_xor_b32 s42, exec_lo, s42
	s_cbranch_execz .LBB6_1555
; %bb.1552:                             ;   in Loop: Header=BB6_130 Depth=2
	v_bfe_u32 v8, v27, 18, 5
	s_mov_b32 s43, exec_lo
	s_delay_alu instid0(VALU_DEP_1)
	v_cmpx_eq_u32_e32 0, v8
; %bb.1553:                             ;   in Loop: Header=BB6_130 Depth=2
	v_clz_i32_u32_e32 v8, v9
	s_delay_alu instid0(VALU_DEP_1) | instskip(NEXT) | instid1(VALU_DEP_1)
	v_min_u32_e32 v8, 32, v8
	v_subrev_nc_u32_e32 v9, 29, v8
	v_sub_nc_u32_e32 v8, 30, v8
	s_delay_alu instid0(VALU_DEP_2) | instskip(NEXT) | instid1(VALU_DEP_1)
	v_lshlrev_b64_e32 v[80:81], v9, v[0:1]
	v_and_b32_e32 v9, 3, v80
; %bb.1554:                             ;   in Loop: Header=BB6_130 Depth=2
	s_or_b32 exec_lo, exec_lo, s43
	v_lshlrev_b32_e32 v24, 24, v0
	s_delay_alu instid0(VALU_DEP_1) | instskip(NEXT) | instid1(VALU_DEP_1)
	v_and_b32_e32 v24, 0x80000000, v24
	v_lshl_add_u32 v8, v8, 23, v24
	s_delay_alu instid0(VALU_DEP_1) | instskip(NEXT) | instid1(VALU_DEP_1)
	v_lshl_or_b32 v8, v9, 21, v8
                                        ; implicit-def: $vgpr9
	v_add_nc_u32_e32 v8, 0x38000000, v8
.LBB6_1555:                             ;   in Loop: Header=BB6_130 Depth=2
	s_and_not1_saveexec_b32 s42, s42
; %bb.1556:                             ;   in Loop: Header=BB6_130 Depth=2
	v_bfe_i32 v8, v0, 0, 8
	s_delay_alu instid0(VALU_DEP_1) | instskip(SKIP_2) | instid1(VALU_DEP_2)
	v_cmp_lt_i16_e32 vcc_lo, -1, v8
	v_cndmask_b32_e32 v8, 0xff800000, v62, vcc_lo
	v_cmp_eq_u32_e32 vcc_lo, 0, v9
	v_cndmask_b32_e32 v8, 0x7f800001, v8, vcc_lo
; %bb.1557:                             ;   in Loop: Header=BB6_130 Depth=2
	s_or_b32 exec_lo, exec_lo, s42
.LBB6_1558:                             ;   in Loop: Header=BB6_130 Depth=2
	s_delay_alu instid0(SALU_CYCLE_1)
	s_or_b32 exec_lo, exec_lo, s15
.LBB6_1559:                             ;   in Loop: Header=BB6_130 Depth=2
	s_delay_alu instid0(SALU_CYCLE_1) | instskip(NEXT) | instid1(VALU_DEP_1)
	s_or_b32 exec_lo, exec_lo, s11
	v_dual_max_num_f32 v8, v8, v8 :: v_dual_max_num_f32 v7, v7, v7
	s_mov_b32 s11, 0
	s_delay_alu instid0(VALU_DEP_1)
	v_max_num_f32_e32 v7, v7, v8
.LBB6_1560:                             ;   in Loop: Header=BB6_130 Depth=2
	s_and_b32 vcc_lo, exec_lo, s11
	s_cbranch_vccz .LBB6_1582
; %bb.1561:                             ;   in Loop: Header=BB6_130 Depth=2
	v_dual_mov_b32 v8, 0 :: v_dual_mov_b32 v7, 0
	s_and_saveexec_b32 s11, s10
	s_cbranch_execz .LBB6_1571
; %bb.1562:                             ;   in Loop: Header=BB6_130 Depth=2
	v_bfrev_b32_e32 v7, 1
	s_mov_b32 s10, exec_lo
	v_cmpx_ne_u16_e32 0x80, v1
	s_cbranch_execz .LBB6_1570
; %bb.1563:                             ;   in Loop: Header=BB6_130 Depth=2
	v_and_b32_e32 v7, 0x7c0000, v33
	v_bfe_u32 v1, v33, 16, 2
	s_delay_alu instid0(VALU_DEP_2) | instskip(SKIP_1) | instid1(SALU_CYCLE_1)
	v_cmp_ne_u32_e32 vcc_lo, 0x7c0000, v7
                                        ; implicit-def: $vgpr7
	s_and_saveexec_b32 s15, vcc_lo
	s_xor_b32 s15, exec_lo, s15
	s_cbranch_execz .LBB6_1567
; %bb.1564:                             ;   in Loop: Header=BB6_130 Depth=2
	v_bfe_u32 v7, v33, 18, 5
	s_mov_b32 s42, exec_lo
	s_delay_alu instid0(VALU_DEP_1)
	v_cmpx_eq_u32_e32 0, v7
; %bb.1565:                             ;   in Loop: Header=BB6_130 Depth=2
	v_clz_i32_u32_e32 v1, v1
	s_delay_alu instid0(VALU_DEP_1) | instskip(NEXT) | instid1(VALU_DEP_1)
	v_min_u32_e32 v1, 32, v1
	v_subrev_nc_u32_e32 v7, 29, v1
	s_delay_alu instid0(VALU_DEP_1) | instskip(NEXT) | instid1(VALU_DEP_1)
	v_lshlrev_b64_e32 v[80:81], v7, v[6:7]
	v_dual_sub_nc_u32 v7, 30, v1 :: v_dual_bitop2_b32 v1, 3, v80 bitop3:0x40
; %bb.1566:                             ;   in Loop: Header=BB6_130 Depth=2
	s_or_b32 exec_lo, exec_lo, s42
	v_lshlrev_b32_e32 v6, 24, v6
	s_delay_alu instid0(VALU_DEP_1) | instskip(NEXT) | instid1(VALU_DEP_1)
	v_and_b32_e32 v6, 0x80000000, v6
	v_lshl_add_u32 v6, v7, 23, v6
	s_delay_alu instid0(VALU_DEP_1) | instskip(NEXT) | instid1(VALU_DEP_1)
	v_lshl_or_b32 v1, v1, 21, v6
                                        ; implicit-def: $vgpr6
	v_add_nc_u32_e32 v7, 0x38000000, v1
                                        ; implicit-def: $vgpr1
.LBB6_1567:                             ;   in Loop: Header=BB6_130 Depth=2
	s_and_not1_saveexec_b32 s15, s15
; %bb.1568:                             ;   in Loop: Header=BB6_130 Depth=2
	v_bfe_i32 v6, v6, 0, 8
	s_delay_alu instid0(VALU_DEP_1) | instskip(SKIP_2) | instid1(VALU_DEP_2)
	v_cmp_lt_i16_e32 vcc_lo, -1, v6
	v_cndmask_b32_e32 v6, 0xff800000, v62, vcc_lo
	v_cmp_eq_u32_e32 vcc_lo, 0, v1
	v_cndmask_b32_e32 v7, 0x7f800001, v6, vcc_lo
; %bb.1569:                             ;   in Loop: Header=BB6_130 Depth=2
	s_or_b32 exec_lo, exec_lo, s15
.LBB6_1570:                             ;   in Loop: Header=BB6_130 Depth=2
	s_delay_alu instid0(SALU_CYCLE_1)
	s_or_b32 exec_lo, exec_lo, s10
.LBB6_1571:                             ;   in Loop: Header=BB6_130 Depth=2
	s_delay_alu instid0(SALU_CYCLE_1) | instskip(SKIP_2) | instid1(VALU_DEP_1)
	s_or_b32 exec_lo, exec_lo, s11
	v_and_b32_e32 v1, 0xff, v0
	s_mov_b32 s10, exec_lo
	v_cmpx_ne_u16_e32 0, v1
	s_cbranch_execz .LBB6_1581
; %bb.1572:                             ;   in Loop: Header=BB6_130 Depth=2
	v_bfrev_b32_e32 v8, 1
	s_mov_b32 s11, exec_lo
	v_cmpx_ne_u16_e32 0x80, v1
	s_cbranch_execz .LBB6_1580
; %bb.1573:                             ;   in Loop: Header=BB6_130 Depth=2
	v_and_b32_e32 v6, 0x7c0000, v27
	v_bfe_u32 v1, v27, 16, 2
	s_mov_b32 s15, exec_lo
                                        ; implicit-def: $vgpr8
	s_delay_alu instid0(VALU_DEP_2)
	v_cmpx_ne_u32_e32 0x7c0000, v6
	s_xor_b32 s15, exec_lo, s15
	s_cbranch_execz .LBB6_1577
; %bb.1574:                             ;   in Loop: Header=BB6_130 Depth=2
	v_bfe_u32 v6, v27, 18, 5
	s_mov_b32 s42, exec_lo
	s_delay_alu instid0(VALU_DEP_1)
	v_cmpx_eq_u32_e32 0, v6
; %bb.1575:                             ;   in Loop: Header=BB6_130 Depth=2
	v_clz_i32_u32_e32 v1, v1
	s_delay_alu instid0(VALU_DEP_1) | instskip(NEXT) | instid1(VALU_DEP_1)
	v_min_u32_e32 v1, 32, v1
	v_subrev_nc_u32_e32 v6, 29, v1
	s_delay_alu instid0(VALU_DEP_1) | instskip(NEXT) | instid1(VALU_DEP_1)
	v_lshlrev_b64_e32 v[8:9], v6, v[0:1]
	v_dual_sub_nc_u32 v6, 30, v1 :: v_dual_bitop2_b32 v1, 3, v8 bitop3:0x40
; %bb.1576:                             ;   in Loop: Header=BB6_130 Depth=2
	s_or_b32 exec_lo, exec_lo, s42
	v_lshlrev_b32_e32 v0, 24, v0
	s_delay_alu instid0(VALU_DEP_1) | instskip(NEXT) | instid1(VALU_DEP_1)
	v_and_b32_e32 v0, 0x80000000, v0
	v_lshl_add_u32 v0, v6, 23, v0
	s_delay_alu instid0(VALU_DEP_1) | instskip(NEXT) | instid1(VALU_DEP_1)
	v_lshl_or_b32 v0, v1, 21, v0
                                        ; implicit-def: $vgpr1
	v_add_nc_u32_e32 v8, 0x38000000, v0
                                        ; implicit-def: $vgpr0
.LBB6_1577:                             ;   in Loop: Header=BB6_130 Depth=2
	s_and_not1_saveexec_b32 s15, s15
; %bb.1578:                             ;   in Loop: Header=BB6_130 Depth=2
	v_bfe_i32 v0, v0, 0, 8
	s_delay_alu instid0(VALU_DEP_1) | instskip(SKIP_2) | instid1(VALU_DEP_2)
	v_cmp_lt_i16_e32 vcc_lo, -1, v0
	v_cndmask_b32_e32 v0, 0xff800000, v62, vcc_lo
	v_cmp_eq_u32_e32 vcc_lo, 0, v1
	v_cndmask_b32_e32 v8, 0x7f800001, v0, vcc_lo
; %bb.1579:                             ;   in Loop: Header=BB6_130 Depth=2
	s_or_b32 exec_lo, exec_lo, s15
.LBB6_1580:                             ;   in Loop: Header=BB6_130 Depth=2
	s_delay_alu instid0(SALU_CYCLE_1)
	s_or_b32 exec_lo, exec_lo, s11
.LBB6_1581:                             ;   in Loop: Header=BB6_130 Depth=2
	s_delay_alu instid0(SALU_CYCLE_1) | instskip(NEXT) | instid1(VALU_DEP_1)
	s_or_b32 exec_lo, exec_lo, s10
	v_dual_max_num_f32 v0, v8, v8 :: v_dual_max_num_f32 v1, v7, v7
	s_delay_alu instid0(VALU_DEP_1)
	v_min_num_f32_e32 v7, v1, v0
.LBB6_1582:                             ;   in Loop: Header=BB6_130 Depth=2
	s_delay_alu instid0(VALU_DEP_1) | instskip(SKIP_2) | instid1(VALU_DEP_2)
	v_and_b32_e32 v0, 0x7f800000, v7
	v_mov_b32_e32 v1, v25
	v_and_b32_e32 v24, 0x7fffff, v7
                                        ; implicit-def: $vgpr71
	v_cmp_ne_u64_e32 vcc_lo, 0x7f800000, v[0:1]
	v_lshrrev_b32_e32 v0, 24, v7
	s_and_saveexec_b32 s10, vcc_lo
	s_delay_alu instid0(SALU_CYCLE_1)
	s_xor_b32 s11, exec_lo, s10
	s_cbranch_execz .LBB6_1596
; %bb.1583:                             ;   in Loop: Header=BB6_130 Depth=2
	v_and_b32_e32 v8, 0x7fffffff, v7
	v_mov_b32_e32 v9, v25
                                        ; implicit-def: $vgpr71
	s_delay_alu instid0(VALU_DEP_1) | instskip(SKIP_2) | instid1(SALU_CYCLE_1)
	v_cmp_gt_u64_e32 vcc_lo, 0x47600001, v[8:9]
	v_and_b32_e32 v8, 0x80, v0
	s_and_saveexec_b32 s10, vcc_lo
	s_xor_b32 s15, exec_lo, s10
	s_cbranch_execz .LBB6_1593
; %bb.1584:                             ;   in Loop: Header=BB6_130 Depth=2
	v_mov_b32_e32 v71, 0
	s_mov_b32 s42, exec_lo
	v_cmpx_ne_u32_e32 0, v7
	s_cbranch_execz .LBB6_1592
; %bb.1585:                             ;   in Loop: Header=BB6_130 Depth=2
	v_bfe_u32 v9, v7, 23, 8
	v_or_b32_e32 v6, 0x800000, v24
	s_delay_alu instid0(VALU_DEP_2) | instskip(SKIP_1) | instid1(VALU_DEP_2)
	v_sub_nc_u32_e32 v0, 0x71, v9
	v_cmp_gt_u32_e32 vcc_lo, 0x72, v9
	v_cndmask_b32_e32 v0, 0, v0, vcc_lo
	v_cmp_eq_u32_e32 vcc_lo, 0, v9
	s_delay_alu instid0(VALU_DEP_2) | instskip(NEXT) | instid1(VALU_DEP_1)
	v_cndmask_b32_e64 v71, v0, 0x70, vcc_lo
	v_dual_cndmask_b32 v24, v6, v24, vcc_lo :: v_dual_add_nc_u32 v0, 21, v71
	v_add_nc_u32_e32 v7, 20, v71
	s_delay_alu instid0(VALU_DEP_2) | instskip(NEXT) | instid1(VALU_DEP_2)
	v_lshlrev_b64_e64 v[0:1], v0, -1
	v_lshlrev_b64_e64 v[6:7], v7, 1
	s_delay_alu instid0(VALU_DEP_2) | instskip(NEXT) | instid1(VALU_DEP_3)
	v_bfi_b32 v81, v1, 0, 0
	v_bfi_b32 v80, v0, 0, v24
	v_lshrrev_b64 v[0:1], v71, v[24:25]
	s_delay_alu instid0(VALU_DEP_2) | instskip(NEXT) | instid1(VALU_DEP_2)
	v_cmp_eq_u64_e64 s10, v[80:81], v[6:7]
	v_mov_b64_e32 v[6:7], v[0:1]
	s_and_saveexec_b32 s43, s10
; %bb.1586:                             ;   in Loop: Header=BB6_130 Depth=2
	v_bfe_u32 v24, v0, 21, 1
	s_delay_alu instid0(VALU_DEP_1) | instskip(NEXT) | instid1(VALU_DEP_1)
	v_add_nc_u64_e32 v[6:7], v[0:1], v[24:25]
	v_add_nc_u64_e32 v[6:7], -1, v[6:7]
; %bb.1587:                             ;   in Loop: Header=BB6_130 Depth=2
	s_or_b32 exec_lo, exec_lo, s43
	v_add_nc_u32_e32 v1, 0xffffff81, v9
	v_lshrrev_b32_e32 v7, 23, v0
	s_mov_b32 s10, exec_lo
	s_delay_alu instid0(VALU_DEP_2) | instskip(NEXT) | instid1(VALU_DEP_1)
	v_cndmask_b32_e64 v1, v1, 0xffffff82, vcc_lo
	v_add3_u32 v7, v71, v1, v7
	v_and_b32_e32 v1, 0x1fffff, v6
                                        ; implicit-def: $vgpr6
	s_delay_alu instid0(VALU_DEP_1) | instskip(NEXT) | instid1(VALU_DEP_1)
	v_dual_add_nc_u32 v9, 14, v7 :: v_dual_add_nc_u32 v24, v1, v0
                                        ; implicit-def: $vgpr0_vgpr1
	v_cmpx_ne_u32_e32 0, v9
	s_xor_b32 s10, exec_lo, s10
; %bb.1588:                             ;   in Loop: Header=BB6_130 Depth=2
	s_delay_alu instid0(VALU_DEP_2) | instskip(SKIP_1) | instid1(VALU_DEP_1)
	v_cmp_lt_u64_e32 vcc_lo, 0xffffff, v[24:25]
	v_add_nc_u32_e32 v0, 15, v7
	v_cndmask_b32_e32 v6, v9, v0, vcc_lo
	v_cndmask_b32_e64 v0, 0, 1, vcc_lo
	s_delay_alu instid0(VALU_DEP_1)
	v_lshrrev_b64 v[0:1], v0, v[24:25]
; %bb.1589:                             ;   in Loop: Header=BB6_130 Depth=2
	s_and_not1_saveexec_b32 s10, s10
; %bb.1590:                             ;   in Loop: Header=BB6_130 Depth=2
	v_mov_b64_e32 v[0:1], v[24:25]
	v_bfe_u32 v6, v24, 23, 1
; %bb.1591:                             ;   in Loop: Header=BB6_130 Depth=2
	s_or_b32 exec_lo, exec_lo, s10
	s_delay_alu instid0(VALU_DEP_2) | instskip(NEXT) | instid1(VALU_DEP_2)
	v_lshrrev_b64 v[0:1], 21, v[0:1]
	v_cmp_gt_i32_e32 vcc_lo, 32, v6
	v_min_i32_e32 v7, 31, v6
	v_cmp_eq_u32_e64 s10, 0, v6
	s_delay_alu instid0(VALU_DEP_2) | instskip(SKIP_1) | instid1(VALU_DEP_2)
	v_dual_cndmask_b32 v1, 0, v1, vcc_lo :: v_dual_lshlrev_b32 v7, 2, v7
	v_cndmask_b32_e32 v0, 3, v0, vcc_lo
	v_and_b32_e32 v7, 0xfc, v7
	s_delay_alu instid0(VALU_DEP_2) | instskip(NEXT) | instid1(VALU_DEP_2)
	v_cmp_eq_u64_e32 vcc_lo, 0, v[0:1]
	v_and_or_b32 v0, v0, 3, v7
	s_and_b32 s10, s10, vcc_lo
	s_delay_alu instid0(VALU_DEP_1) | instid1(SALU_CYCLE_1)
	v_cndmask_b32_e64 v0, v0, 0, s10
	s_delay_alu instid0(VALU_DEP_1)
	v_or_b32_e32 v71, v0, v8
.LBB6_1592:                             ;   in Loop: Header=BB6_130 Depth=2
	s_or_b32 exec_lo, exec_lo, s42
                                        ; implicit-def: $vgpr8
.LBB6_1593:                             ;   in Loop: Header=BB6_130 Depth=2
	s_and_not1_saveexec_b32 s10, s15
; %bb.1594:                             ;   in Loop: Header=BB6_130 Depth=2
	v_or_b32_e32 v71, 0x7b, v8
; %bb.1595:                             ;   in Loop: Header=BB6_130 Depth=2
	s_or_b32 exec_lo, exec_lo, s10
                                        ; implicit-def: $vgpr7
                                        ; implicit-def: $vgpr0
.LBB6_1596:                             ;   in Loop: Header=BB6_130 Depth=2
	s_and_not1_saveexec_b32 s10, s11
	s_cbranch_execz .LBB6_1602
; %bb.1597:                             ;   in Loop: Header=BB6_130 Depth=2
	s_mov_b32 s11, exec_lo
                                        ; implicit-def: $vgpr71
	v_cmpx_ne_u64_e32 0, v[24:25]
	s_xor_b32 s11, exec_lo, s11
; %bb.1598:                             ;   in Loop: Header=BB6_130 Depth=2
	v_or_b32_e32 v71, 0x7f, v0
                                        ; implicit-def: $vgpr7
; %bb.1599:                             ;   in Loop: Header=BB6_130 Depth=2
	s_and_not1_saveexec_b32 s11, s11
; %bb.1600:                             ;   in Loop: Header=BB6_130 Depth=2
	v_cmp_lt_i32_e32 vcc_lo, -1, v7
	v_cndmask_b32_e32 v71, 0xfc, v93, vcc_lo
; %bb.1601:                             ;   in Loop: Header=BB6_130 Depth=2
	s_or_b32 exec_lo, exec_lo, s11
.LBB6_1602:                             ;   in Loop: Header=BB6_130 Depth=2
	s_delay_alu instid0(SALU_CYCLE_1)
	s_or_b32 exec_lo, exec_lo, s10
	v_cmp_lt_u64_e64 s10, s[16:17], v[32:33]
	v_dual_lshrrev_b32 v6, 24, v33 :: v_dual_lshrrev_b32 v0, 24, v27
	s_and_not1_b32 vcc_lo, exec_lo, s14
	s_mov_b32 s11, -1
                                        ; implicit-def: $vgpr1
	s_cbranch_vccnz .LBB6_1624
; %bb.1603:                             ;   in Loop: Header=BB6_130 Depth=2
	v_dual_mov_b32 v7, 0 :: v_dual_mov_b32 v1, 0
	s_and_saveexec_b32 s11, s10
	s_cbranch_execz .LBB6_1613
; %bb.1604:                             ;   in Loop: Header=BB6_130 Depth=2
	v_bfrev_b32_e32 v1, 1
	s_mov_b32 s15, exec_lo
	v_cmpx_ne_u32_e32 0x80, v6
	s_cbranch_execz .LBB6_1612
; %bb.1605:                             ;   in Loop: Header=BB6_130 Depth=2
	v_and_b32_e32 v1, 0x7c000000, v33
	v_bfe_u32 v8, v33, 24, 2
	s_delay_alu instid0(VALU_DEP_2) | instskip(SKIP_1) | instid1(SALU_CYCLE_1)
	v_cmp_ne_u32_e32 vcc_lo, 0x7c000000, v1
                                        ; implicit-def: $vgpr1
	s_and_saveexec_b32 s42, vcc_lo
	s_xor_b32 s42, exec_lo, s42
	s_cbranch_execz .LBB6_1609
; %bb.1606:                             ;   in Loop: Header=BB6_130 Depth=2
	v_bfe_u32 v1, v33, 26, 5
	s_mov_b32 s43, exec_lo
	s_delay_alu instid0(VALU_DEP_1)
	v_cmpx_eq_u32_e32 0, v1
; %bb.1607:                             ;   in Loop: Header=BB6_130 Depth=2
	v_clz_i32_u32_e32 v1, v8
	s_delay_alu instid0(VALU_DEP_1) | instskip(NEXT) | instid1(VALU_DEP_1)
	v_min_u32_e32 v1, 32, v1
	v_subrev_nc_u32_e32 v8, 29, v1
	s_delay_alu instid0(VALU_DEP_1) | instskip(NEXT) | instid1(VALU_DEP_1)
	v_lshlrev_b64_e32 v[8:9], v8, v[6:7]
	v_dual_sub_nc_u32 v1, 30, v1 :: v_dual_bitop2_b32 v8, 3, v8 bitop3:0x40
; %bb.1608:                             ;   in Loop: Header=BB6_130 Depth=2
	s_or_b32 exec_lo, exec_lo, s43
	v_and_b32_e32 v9, 0x80000000, v33
	s_delay_alu instid0(VALU_DEP_1) | instskip(NEXT) | instid1(VALU_DEP_1)
	v_lshl_add_u32 v1, v1, 23, v9
	v_lshl_or_b32 v1, v8, 21, v1
                                        ; implicit-def: $vgpr8
	s_delay_alu instid0(VALU_DEP_1)
	v_add_nc_u32_e32 v1, 0x38000000, v1
.LBB6_1609:                             ;   in Loop: Header=BB6_130 Depth=2
	s_and_not1_saveexec_b32 s42, s42
; %bb.1610:                             ;   in Loop: Header=BB6_130 Depth=2
	v_cmp_lt_i64_e32 vcc_lo, -1, v[32:33]
	v_cndmask_b32_e32 v1, 0xff800000, v62, vcc_lo
	v_cmp_eq_u32_e32 vcc_lo, 0, v8
	s_delay_alu instid0(VALU_DEP_2)
	v_cndmask_b32_e32 v1, 0x7f800001, v1, vcc_lo
; %bb.1611:                             ;   in Loop: Header=BB6_130 Depth=2
	s_or_b32 exec_lo, exec_lo, s42
.LBB6_1612:                             ;   in Loop: Header=BB6_130 Depth=2
	s_delay_alu instid0(SALU_CYCLE_1)
	s_or_b32 exec_lo, exec_lo, s15
.LBB6_1613:                             ;   in Loop: Header=BB6_130 Depth=2
	s_delay_alu instid0(SALU_CYCLE_1) | instskip(NEXT) | instid1(SALU_CYCLE_1)
	s_or_b32 exec_lo, exec_lo, s11
	s_mov_b32 s11, exec_lo
	v_cmpx_lt_u64_e64 s[16:17], v[26:27]
	s_cbranch_execz .LBB6_1623
; %bb.1614:                             ;   in Loop: Header=BB6_130 Depth=2
	v_bfrev_b32_e32 v7, 1
	s_mov_b32 s15, exec_lo
	v_cmpx_ne_u32_e32 0x80, v0
	s_cbranch_execz .LBB6_1622
; %bb.1615:                             ;   in Loop: Header=BB6_130 Depth=2
	v_and_b32_e32 v7, 0x7c000000, v27
	v_bfe_u32 v8, v27, 24, 2
	s_delay_alu instid0(VALU_DEP_2) | instskip(SKIP_1) | instid1(SALU_CYCLE_1)
	v_cmp_ne_u32_e32 vcc_lo, 0x7c000000, v7
                                        ; implicit-def: $vgpr7
	s_and_saveexec_b32 s42, vcc_lo
	s_xor_b32 s42, exec_lo, s42
	s_cbranch_execz .LBB6_1619
; %bb.1616:                             ;   in Loop: Header=BB6_130 Depth=2
	v_bfe_u32 v7, v27, 26, 5
	s_mov_b32 s43, exec_lo
	s_delay_alu instid0(VALU_DEP_1)
	v_cmpx_eq_u32_e32 0, v7
; %bb.1617:                             ;   in Loop: Header=BB6_130 Depth=2
	v_clz_i32_u32_e32 v7, v8
	s_delay_alu instid0(VALU_DEP_1) | instskip(NEXT) | instid1(VALU_DEP_1)
	v_min_u32_e32 v7, 32, v7
	v_subrev_nc_u32_e32 v8, 29, v7
	s_delay_alu instid0(VALU_DEP_1) | instskip(NEXT) | instid1(VALU_DEP_1)
	v_lshlrev_b64_e32 v[8:9], v8, v[0:1]
	v_dual_sub_nc_u32 v7, 30, v7 :: v_dual_bitop2_b32 v8, 3, v8 bitop3:0x40
; %bb.1618:                             ;   in Loop: Header=BB6_130 Depth=2
	s_or_b32 exec_lo, exec_lo, s43
	v_and_b32_e32 v9, 0x80000000, v27
	s_delay_alu instid0(VALU_DEP_1) | instskip(NEXT) | instid1(VALU_DEP_1)
	v_lshl_add_u32 v7, v7, 23, v9
	v_lshl_or_b32 v7, v8, 21, v7
                                        ; implicit-def: $vgpr8
	s_delay_alu instid0(VALU_DEP_1)
	v_add_nc_u32_e32 v7, 0x38000000, v7
.LBB6_1619:                             ;   in Loop: Header=BB6_130 Depth=2
	s_and_not1_saveexec_b32 s42, s42
; %bb.1620:                             ;   in Loop: Header=BB6_130 Depth=2
	v_cmp_lt_i64_e32 vcc_lo, -1, v[26:27]
	v_cndmask_b32_e32 v7, 0xff800000, v62, vcc_lo
	v_cmp_eq_u32_e32 vcc_lo, 0, v8
	s_delay_alu instid0(VALU_DEP_2)
	v_cndmask_b32_e32 v7, 0x7f800001, v7, vcc_lo
; %bb.1621:                             ;   in Loop: Header=BB6_130 Depth=2
	s_or_b32 exec_lo, exec_lo, s42
.LBB6_1622:                             ;   in Loop: Header=BB6_130 Depth=2
	s_delay_alu instid0(SALU_CYCLE_1)
	s_or_b32 exec_lo, exec_lo, s15
.LBB6_1623:                             ;   in Loop: Header=BB6_130 Depth=2
	s_delay_alu instid0(SALU_CYCLE_1) | instskip(NEXT) | instid1(VALU_DEP_1)
	s_or_b32 exec_lo, exec_lo, s11
	v_dual_max_num_f32 v7, v7, v7 :: v_dual_max_num_f32 v1, v1, v1
	s_mov_b32 s11, 0
	s_delay_alu instid0(VALU_DEP_1)
	v_max_num_f32_e32 v1, v1, v7
.LBB6_1624:                             ;   in Loop: Header=BB6_130 Depth=2
	s_and_b32 vcc_lo, exec_lo, s11
	s_cbranch_vccz .LBB6_1646
; %bb.1625:                             ;   in Loop: Header=BB6_130 Depth=2
	v_dual_mov_b32 v7, 0 :: v_dual_mov_b32 v1, 0
	s_and_saveexec_b32 s11, s10
	s_cbranch_execz .LBB6_1635
; %bb.1626:                             ;   in Loop: Header=BB6_130 Depth=2
	v_bfrev_b32_e32 v1, 1
	s_mov_b32 s10, exec_lo
	v_cmpx_ne_u32_e32 0x80, v6
	s_cbranch_execz .LBB6_1634
; %bb.1627:                             ;   in Loop: Header=BB6_130 Depth=2
	v_and_b32_e32 v1, 0x7c000000, v33
	v_bfe_u32 v8, v33, 24, 2
	s_delay_alu instid0(VALU_DEP_2) | instskip(SKIP_1) | instid1(SALU_CYCLE_1)
	v_cmp_ne_u32_e32 vcc_lo, 0x7c000000, v1
                                        ; implicit-def: $vgpr1
	s_and_saveexec_b32 s15, vcc_lo
	s_xor_b32 s15, exec_lo, s15
	s_cbranch_execz .LBB6_1631
; %bb.1628:                             ;   in Loop: Header=BB6_130 Depth=2
	v_bfe_u32 v1, v33, 26, 5
	s_mov_b32 s42, exec_lo
	s_delay_alu instid0(VALU_DEP_1)
	v_cmpx_eq_u32_e32 0, v1
; %bb.1629:                             ;   in Loop: Header=BB6_130 Depth=2
	v_clz_i32_u32_e32 v1, v8
	s_delay_alu instid0(VALU_DEP_1) | instskip(NEXT) | instid1(VALU_DEP_1)
	v_min_u32_e32 v1, 32, v1
	v_subrev_nc_u32_e32 v8, 29, v1
	s_delay_alu instid0(VALU_DEP_1) | instskip(NEXT) | instid1(VALU_DEP_1)
	v_lshlrev_b64_e32 v[8:9], v8, v[6:7]
	v_dual_sub_nc_u32 v1, 30, v1 :: v_dual_bitop2_b32 v8, 3, v8 bitop3:0x40
; %bb.1630:                             ;   in Loop: Header=BB6_130 Depth=2
	s_or_b32 exec_lo, exec_lo, s42
	v_and_b32_e32 v6, 0x80000000, v33
	s_delay_alu instid0(VALU_DEP_1) | instskip(NEXT) | instid1(VALU_DEP_1)
	v_lshl_add_u32 v1, v1, 23, v6
	v_lshl_or_b32 v1, v8, 21, v1
                                        ; implicit-def: $vgpr8
	s_delay_alu instid0(VALU_DEP_1)
	v_add_nc_u32_e32 v1, 0x38000000, v1
.LBB6_1631:                             ;   in Loop: Header=BB6_130 Depth=2
	s_and_not1_saveexec_b32 s15, s15
; %bb.1632:                             ;   in Loop: Header=BB6_130 Depth=2
	v_cmp_lt_i64_e32 vcc_lo, -1, v[32:33]
	v_cndmask_b32_e32 v1, 0xff800000, v62, vcc_lo
	v_cmp_eq_u32_e32 vcc_lo, 0, v8
	s_delay_alu instid0(VALU_DEP_2)
	v_cndmask_b32_e32 v1, 0x7f800001, v1, vcc_lo
; %bb.1633:                             ;   in Loop: Header=BB6_130 Depth=2
	s_or_b32 exec_lo, exec_lo, s15
.LBB6_1634:                             ;   in Loop: Header=BB6_130 Depth=2
	s_delay_alu instid0(SALU_CYCLE_1)
	s_or_b32 exec_lo, exec_lo, s10
.LBB6_1635:                             ;   in Loop: Header=BB6_130 Depth=2
	s_delay_alu instid0(SALU_CYCLE_1) | instskip(NEXT) | instid1(SALU_CYCLE_1)
	s_or_b32 exec_lo, exec_lo, s11
	s_mov_b32 s10, exec_lo
	v_cmpx_lt_u64_e64 s[16:17], v[26:27]
	s_cbranch_execz .LBB6_1645
; %bb.1636:                             ;   in Loop: Header=BB6_130 Depth=2
	v_bfrev_b32_e32 v7, 1
	s_mov_b32 s11, exec_lo
	v_cmpx_ne_u32_e32 0x80, v0
	s_cbranch_execz .LBB6_1644
; %bb.1637:                             ;   in Loop: Header=BB6_130 Depth=2
	v_and_b32_e32 v7, 0x7c000000, v27
	v_bfe_u32 v6, v27, 24, 2
	s_delay_alu instid0(VALU_DEP_2) | instskip(SKIP_1) | instid1(SALU_CYCLE_1)
	v_cmp_ne_u32_e32 vcc_lo, 0x7c000000, v7
                                        ; implicit-def: $vgpr7
	s_and_saveexec_b32 s15, vcc_lo
	s_xor_b32 s15, exec_lo, s15
	s_cbranch_execz .LBB6_1641
; %bb.1638:                             ;   in Loop: Header=BB6_130 Depth=2
	v_bfe_u32 v7, v27, 26, 5
	s_mov_b32 s42, exec_lo
	s_delay_alu instid0(VALU_DEP_1)
	v_cmpx_eq_u32_e32 0, v7
; %bb.1639:                             ;   in Loop: Header=BB6_130 Depth=2
	v_clz_i32_u32_e32 v6, v6
	s_delay_alu instid0(VALU_DEP_1) | instskip(NEXT) | instid1(VALU_DEP_1)
	v_min_u32_e32 v8, 32, v6
	v_subrev_nc_u32_e32 v6, 29, v8
	s_delay_alu instid0(VALU_DEP_1) | instskip(NEXT) | instid1(VALU_DEP_1)
	v_lshlrev_b64_e32 v[6:7], v6, v[0:1]
	v_dual_sub_nc_u32 v7, 30, v8 :: v_dual_bitop2_b32 v6, 3, v6 bitop3:0x40
; %bb.1640:                             ;   in Loop: Header=BB6_130 Depth=2
	s_or_b32 exec_lo, exec_lo, s42
	v_and_b32_e32 v0, 0x80000000, v27
	s_delay_alu instid0(VALU_DEP_1) | instskip(NEXT) | instid1(VALU_DEP_1)
	v_lshl_add_u32 v0, v7, 23, v0
	v_lshl_or_b32 v0, v6, 21, v0
                                        ; implicit-def: $vgpr6
	s_delay_alu instid0(VALU_DEP_1)
	v_add_nc_u32_e32 v7, 0x38000000, v0
.LBB6_1641:                             ;   in Loop: Header=BB6_130 Depth=2
	s_and_not1_saveexec_b32 s15, s15
; %bb.1642:                             ;   in Loop: Header=BB6_130 Depth=2
	v_cmp_lt_i64_e32 vcc_lo, -1, v[26:27]
	v_cndmask_b32_e32 v0, 0xff800000, v62, vcc_lo
	v_cmp_eq_u32_e32 vcc_lo, 0, v6
	s_delay_alu instid0(VALU_DEP_2)
	v_cndmask_b32_e32 v7, 0x7f800001, v0, vcc_lo
; %bb.1643:                             ;   in Loop: Header=BB6_130 Depth=2
	s_or_b32 exec_lo, exec_lo, s15
.LBB6_1644:                             ;   in Loop: Header=BB6_130 Depth=2
	s_delay_alu instid0(SALU_CYCLE_1)
	s_or_b32 exec_lo, exec_lo, s11
.LBB6_1645:                             ;   in Loop: Header=BB6_130 Depth=2
	s_delay_alu instid0(SALU_CYCLE_1) | instskip(NEXT) | instid1(VALU_DEP_1)
	s_or_b32 exec_lo, exec_lo, s10
	v_dual_max_num_f32 v0, v7, v7 :: v_dual_max_num_f32 v1, v1, v1
	s_delay_alu instid0(VALU_DEP_1)
	v_min_num_f32_e32 v1, v1, v0
.LBB6_1646:                             ;   in Loop: Header=BB6_130 Depth=2
	s_delay_alu instid0(VALU_DEP_1) | instskip(SKIP_3) | instid1(VALU_DEP_2)
	v_and_b32_e32 v6, 0x7f800000, v1
	v_dual_mov_b32 v7, v25 :: v_dual_lshrrev_b32 v0, 24, v1
	v_and_b32_e32 v24, 0x7fffff, v1
                                        ; implicit-def: $vgpr26
	s_mov_b32 s10, exec_lo
	v_cmpx_ne_u64_e32 0x7f800000, v[6:7]
	s_xor_b32 s11, exec_lo, s10
	s_cbranch_execz .LBB6_1660
; %bb.1647:                             ;   in Loop: Header=BB6_130 Depth=2
	v_and_b32_e32 v6, 0x7fffffff, v1
	v_mov_b32_e32 v7, v25
	v_and_b32_e32 v8, 0x80, v0
                                        ; implicit-def: $vgpr26
	s_mov_b32 s10, exec_lo
	s_delay_alu instid0(VALU_DEP_2)
	v_cmpx_gt_u64_e32 0x47600001, v[6:7]
	s_xor_b32 s15, exec_lo, s10
	s_cbranch_execz .LBB6_1657
; %bb.1648:                             ;   in Loop: Header=BB6_130 Depth=2
	v_mov_b32_e32 v26, 0
	s_mov_b32 s42, exec_lo
	v_cmpx_ne_u32_e32 0, v1
	s_cbranch_execz .LBB6_1656
; %bb.1649:                             ;   in Loop: Header=BB6_130 Depth=2
	v_bfe_u32 v9, v1, 23, 8
	v_or_b32_e32 v6, 0x800000, v24
	s_delay_alu instid0(VALU_DEP_2) | instskip(SKIP_1) | instid1(VALU_DEP_2)
	v_sub_nc_u32_e32 v0, 0x71, v9
	v_cmp_gt_u32_e32 vcc_lo, 0x72, v9
	v_cndmask_b32_e32 v0, 0, v0, vcc_lo
	v_cmp_eq_u32_e32 vcc_lo, 0, v9
	s_delay_alu instid0(VALU_DEP_2) | instskip(NEXT) | instid1(VALU_DEP_1)
	v_cndmask_b32_e64 v26, v0, 0x70, vcc_lo
	v_dual_cndmask_b32 v24, v6, v24, vcc_lo :: v_dual_add_nc_u32 v0, 21, v26
	v_add_nc_u32_e32 v7, 20, v26
	s_delay_alu instid0(VALU_DEP_2) | instskip(NEXT) | instid1(VALU_DEP_2)
	v_lshlrev_b64_e64 v[0:1], v0, -1
	v_lshlrev_b64_e64 v[6:7], v7, 1
	s_delay_alu instid0(VALU_DEP_2) | instskip(NEXT) | instid1(VALU_DEP_3)
	v_bfi_b32 v33, v1, 0, 0
	v_bfi_b32 v32, v0, 0, v24
	v_lshrrev_b64 v[0:1], v26, v[24:25]
	s_delay_alu instid0(VALU_DEP_2) | instskip(NEXT) | instid1(VALU_DEP_2)
	v_cmp_eq_u64_e64 s10, v[32:33], v[6:7]
	v_mov_b64_e32 v[6:7], v[0:1]
	s_and_saveexec_b32 s43, s10
; %bb.1650:                             ;   in Loop: Header=BB6_130 Depth=2
	v_bfe_u32 v24, v0, 21, 1
	s_delay_alu instid0(VALU_DEP_1) | instskip(NEXT) | instid1(VALU_DEP_1)
	v_add_nc_u64_e32 v[6:7], v[0:1], v[24:25]
	v_add_nc_u64_e32 v[6:7], -1, v[6:7]
; %bb.1651:                             ;   in Loop: Header=BB6_130 Depth=2
	s_or_b32 exec_lo, exec_lo, s43
	v_add_nc_u32_e32 v1, 0xffffff81, v9
	v_lshrrev_b32_e32 v7, 23, v0
	s_mov_b32 s10, exec_lo
	s_delay_alu instid0(VALU_DEP_2) | instskip(NEXT) | instid1(VALU_DEP_1)
	v_cndmask_b32_e64 v1, v1, 0xffffff82, vcc_lo
	v_add3_u32 v7, v26, v1, v7
	v_and_b32_e32 v1, 0x1fffff, v6
                                        ; implicit-def: $vgpr6
	s_delay_alu instid0(VALU_DEP_1) | instskip(NEXT) | instid1(VALU_DEP_1)
	v_dual_add_nc_u32 v9, 14, v7 :: v_dual_add_nc_u32 v24, v1, v0
                                        ; implicit-def: $vgpr0_vgpr1
	v_cmpx_ne_u32_e32 0, v9
	s_xor_b32 s10, exec_lo, s10
; %bb.1652:                             ;   in Loop: Header=BB6_130 Depth=2
	s_delay_alu instid0(VALU_DEP_2) | instskip(SKIP_1) | instid1(VALU_DEP_1)
	v_cmp_lt_u64_e32 vcc_lo, 0xffffff, v[24:25]
	v_add_nc_u32_e32 v0, 15, v7
	v_cndmask_b32_e32 v6, v9, v0, vcc_lo
	v_cndmask_b32_e64 v0, 0, 1, vcc_lo
	s_delay_alu instid0(VALU_DEP_1)
	v_lshrrev_b64 v[0:1], v0, v[24:25]
; %bb.1653:                             ;   in Loop: Header=BB6_130 Depth=2
	s_and_not1_saveexec_b32 s10, s10
; %bb.1654:                             ;   in Loop: Header=BB6_130 Depth=2
	v_mov_b64_e32 v[0:1], v[24:25]
	v_bfe_u32 v6, v24, 23, 1
; %bb.1655:                             ;   in Loop: Header=BB6_130 Depth=2
	s_or_b32 exec_lo, exec_lo, s10
	s_delay_alu instid0(VALU_DEP_2) | instskip(NEXT) | instid1(VALU_DEP_2)
	v_lshrrev_b64 v[0:1], 21, v[0:1]
	v_cmp_gt_i32_e32 vcc_lo, 32, v6
	v_min_i32_e32 v7, 31, v6
	v_cmp_eq_u32_e64 s10, 0, v6
	s_delay_alu instid0(VALU_DEP_2) | instskip(SKIP_1) | instid1(VALU_DEP_2)
	v_dual_cndmask_b32 v1, 0, v1, vcc_lo :: v_dual_lshlrev_b32 v7, 2, v7
	v_cndmask_b32_e32 v0, 3, v0, vcc_lo
	v_and_b32_e32 v7, 0xfc, v7
	s_delay_alu instid0(VALU_DEP_2) | instskip(NEXT) | instid1(VALU_DEP_2)
	v_cmp_eq_u64_e32 vcc_lo, 0, v[0:1]
	v_and_or_b32 v0, v0, 3, v7
	s_and_b32 s10, s10, vcc_lo
	s_delay_alu instid0(VALU_DEP_1) | instid1(SALU_CYCLE_1)
	v_cndmask_b32_e64 v0, v0, 0, s10
	s_delay_alu instid0(VALU_DEP_1)
	v_or_b32_e32 v26, v0, v8
.LBB6_1656:                             ;   in Loop: Header=BB6_130 Depth=2
	s_or_b32 exec_lo, exec_lo, s42
                                        ; implicit-def: $vgpr8
.LBB6_1657:                             ;   in Loop: Header=BB6_130 Depth=2
	s_and_not1_saveexec_b32 s10, s15
; %bb.1658:                             ;   in Loop: Header=BB6_130 Depth=2
	v_or_b32_e32 v26, 0x7b, v8
; %bb.1659:                             ;   in Loop: Header=BB6_130 Depth=2
	s_or_b32 exec_lo, exec_lo, s10
                                        ; implicit-def: $vgpr1
                                        ; implicit-def: $vgpr0
.LBB6_1660:                             ;   in Loop: Header=BB6_130 Depth=2
	s_and_not1_saveexec_b32 s10, s11
	s_cbranch_execz .LBB6_1666
; %bb.1661:                             ;   in Loop: Header=BB6_130 Depth=2
	s_mov_b32 s11, exec_lo
                                        ; implicit-def: $vgpr26
	v_cmpx_ne_u64_e32 0, v[24:25]
	s_xor_b32 s11, exec_lo, s11
; %bb.1662:                             ;   in Loop: Header=BB6_130 Depth=2
	v_or_b32_e32 v26, 0x7f, v0
                                        ; implicit-def: $vgpr1
; %bb.1663:                             ;   in Loop: Header=BB6_130 Depth=2
	s_and_not1_saveexec_b32 s11, s11
; %bb.1664:                             ;   in Loop: Header=BB6_130 Depth=2
	v_cmp_lt_i32_e32 vcc_lo, -1, v1
	v_cndmask_b32_e32 v26, 0xfc, v93, vcc_lo
; %bb.1665:                             ;   in Loop: Header=BB6_130 Depth=2
	s_or_b32 exec_lo, exec_lo, s11
.LBB6_1666:                             ;   in Loop: Header=BB6_130 Depth=2
	s_delay_alu instid0(SALU_CYCLE_1)
	s_or_b32 exec_lo, exec_lo, s10
	v_and_b32_e32 v6, 0xff, v34
	v_bfe_i32 v1, v34, 0, 8
	v_bfe_i32 v0, v28, 0, 8
	s_and_not1_b32 vcc_lo, exec_lo, s14
	s_mov_b32 s11, -1
	v_cmp_ne_u16_e64 s10, 0, v6
                                        ; implicit-def: $vgpr6
	s_cbranch_vccnz .LBB6_1688
; %bb.1667:                             ;   in Loop: Header=BB6_130 Depth=2
	v_dual_mov_b32 v7, 0 :: v_dual_mov_b32 v6, 0
	s_and_saveexec_b32 s11, s10
	s_cbranch_execz .LBB6_1677
; %bb.1668:                             ;   in Loop: Header=BB6_130 Depth=2
	v_bfrev_b32_e32 v6, 1
	s_mov_b32 s15, exec_lo
	v_cmpx_ne_u16_e32 0xff80, v1
	s_cbranch_execz .LBB6_1676
; %bb.1669:                             ;   in Loop: Header=BB6_130 Depth=2
	v_and_b32_e32 v6, 0x7c, v34
	v_and_b32_e32 v8, 3, v34
	s_delay_alu instid0(VALU_DEP_2) | instskip(SKIP_1) | instid1(SALU_CYCLE_1)
	v_cmp_ne_u32_e32 vcc_lo, 0x7c, v6
                                        ; implicit-def: $vgpr6
	s_and_saveexec_b32 s42, vcc_lo
	s_xor_b32 s42, exec_lo, s42
	s_cbranch_execz .LBB6_1673
; %bb.1670:                             ;   in Loop: Header=BB6_130 Depth=2
	v_bfe_u32 v6, v34, 2, 5
	s_mov_b32 s43, exec_lo
	s_delay_alu instid0(VALU_DEP_1)
	v_cmpx_eq_u32_e32 0, v6
; %bb.1671:                             ;   in Loop: Header=BB6_130 Depth=2
	v_clz_i32_u32_e32 v6, v8
	s_delay_alu instid0(VALU_DEP_1) | instskip(NEXT) | instid1(VALU_DEP_1)
	v_min_u32_e32 v6, 32, v6
	v_subrev_nc_u32_e32 v8, 29, v6
	s_delay_alu instid0(VALU_DEP_1) | instskip(NEXT) | instid1(VALU_DEP_1)
	v_lshlrev_b64_e32 v[8:9], v8, v[34:35]
	v_dual_sub_nc_u32 v6, 30, v6 :: v_dual_bitop2_b32 v8, 3, v8 bitop3:0x40
; %bb.1672:                             ;   in Loop: Header=BB6_130 Depth=2
	s_or_b32 exec_lo, exec_lo, s43
	v_lshlrev_b32_e32 v9, 24, v34
	s_delay_alu instid0(VALU_DEP_1) | instskip(NEXT) | instid1(VALU_DEP_1)
	v_and_b32_e32 v9, 0x80000000, v9
	v_lshl_add_u32 v6, v6, 23, v9
	s_delay_alu instid0(VALU_DEP_1) | instskip(NEXT) | instid1(VALU_DEP_1)
	v_lshl_or_b32 v6, v8, 21, v6
                                        ; implicit-def: $vgpr8
	v_add_nc_u32_e32 v6, 0x38000000, v6
.LBB6_1673:                             ;   in Loop: Header=BB6_130 Depth=2
	s_and_not1_saveexec_b32 s42, s42
; %bb.1674:                             ;   in Loop: Header=BB6_130 Depth=2
	v_cmp_lt_i16_e32 vcc_lo, -1, v1
	v_cndmask_b32_e32 v6, 0xff800000, v62, vcc_lo
	v_cmp_eq_u32_e32 vcc_lo, 0, v8
	s_delay_alu instid0(VALU_DEP_2)
	v_cndmask_b32_e32 v6, 0x7f800001, v6, vcc_lo
; %bb.1675:                             ;   in Loop: Header=BB6_130 Depth=2
	s_or_b32 exec_lo, exec_lo, s42
.LBB6_1676:                             ;   in Loop: Header=BB6_130 Depth=2
	s_delay_alu instid0(SALU_CYCLE_1)
	s_or_b32 exec_lo, exec_lo, s15
.LBB6_1677:                             ;   in Loop: Header=BB6_130 Depth=2
	s_delay_alu instid0(SALU_CYCLE_1) | instskip(NEXT) | instid1(SALU_CYCLE_1)
	s_or_b32 exec_lo, exec_lo, s11
	s_mov_b32 s11, exec_lo
	v_cmpx_ne_u16_e32 0, v0
	s_cbranch_execz .LBB6_1687
; %bb.1678:                             ;   in Loop: Header=BB6_130 Depth=2
	v_bfrev_b32_e32 v7, 1
	s_mov_b32 s15, exec_lo
	v_cmpx_ne_u16_e32 0xff80, v0
	s_cbranch_execz .LBB6_1686
; %bb.1679:                             ;   in Loop: Header=BB6_130 Depth=2
	v_and_b32_e32 v7, 0x7c, v28
	v_and_b32_e32 v8, 3, v28
	s_delay_alu instid0(VALU_DEP_2) | instskip(SKIP_1) | instid1(SALU_CYCLE_1)
	v_cmp_ne_u32_e32 vcc_lo, 0x7c, v7
                                        ; implicit-def: $vgpr7
	s_and_saveexec_b32 s42, vcc_lo
	s_xor_b32 s42, exec_lo, s42
	s_cbranch_execz .LBB6_1683
; %bb.1680:                             ;   in Loop: Header=BB6_130 Depth=2
	v_bfe_u32 v7, v28, 2, 5
	s_mov_b32 s43, exec_lo
	s_delay_alu instid0(VALU_DEP_1)
	v_cmpx_eq_u32_e32 0, v7
; %bb.1681:                             ;   in Loop: Header=BB6_130 Depth=2
	v_clz_i32_u32_e32 v7, v8
	s_delay_alu instid0(VALU_DEP_1) | instskip(NEXT) | instid1(VALU_DEP_1)
	v_min_u32_e32 v7, 32, v7
	v_subrev_nc_u32_e32 v8, 29, v7
	s_delay_alu instid0(VALU_DEP_1) | instskip(NEXT) | instid1(VALU_DEP_1)
	v_lshlrev_b64_e32 v[8:9], v8, v[28:29]
	v_dual_sub_nc_u32 v7, 30, v7 :: v_dual_bitop2_b32 v8, 3, v8 bitop3:0x40
; %bb.1682:                             ;   in Loop: Header=BB6_130 Depth=2
	s_or_b32 exec_lo, exec_lo, s43
	v_lshlrev_b32_e32 v9, 24, v28
	s_delay_alu instid0(VALU_DEP_1) | instskip(NEXT) | instid1(VALU_DEP_1)
	v_and_b32_e32 v9, 0x80000000, v9
	v_lshl_add_u32 v7, v7, 23, v9
	s_delay_alu instid0(VALU_DEP_1) | instskip(NEXT) | instid1(VALU_DEP_1)
	v_lshl_or_b32 v7, v8, 21, v7
                                        ; implicit-def: $vgpr8
	v_add_nc_u32_e32 v7, 0x38000000, v7
.LBB6_1683:                             ;   in Loop: Header=BB6_130 Depth=2
	s_and_not1_saveexec_b32 s42, s42
; %bb.1684:                             ;   in Loop: Header=BB6_130 Depth=2
	v_cmp_lt_i16_e32 vcc_lo, -1, v0
	v_cndmask_b32_e32 v7, 0xff800000, v62, vcc_lo
	v_cmp_eq_u32_e32 vcc_lo, 0, v8
	s_delay_alu instid0(VALU_DEP_2)
	v_cndmask_b32_e32 v7, 0x7f800001, v7, vcc_lo
; %bb.1685:                             ;   in Loop: Header=BB6_130 Depth=2
	s_or_b32 exec_lo, exec_lo, s42
.LBB6_1686:                             ;   in Loop: Header=BB6_130 Depth=2
	s_delay_alu instid0(SALU_CYCLE_1)
	s_or_b32 exec_lo, exec_lo, s15
.LBB6_1687:                             ;   in Loop: Header=BB6_130 Depth=2
	s_delay_alu instid0(SALU_CYCLE_1) | instskip(NEXT) | instid1(VALU_DEP_1)
	s_or_b32 exec_lo, exec_lo, s11
	v_dual_max_num_f32 v7, v7, v7 :: v_dual_max_num_f32 v6, v6, v6
	s_mov_b32 s11, 0
	s_delay_alu instid0(VALU_DEP_1)
	v_max_num_f32_e32 v6, v6, v7
.LBB6_1688:                             ;   in Loop: Header=BB6_130 Depth=2
	s_and_b32 vcc_lo, exec_lo, s11
	s_cbranch_vccz .LBB6_1710
; %bb.1689:                             ;   in Loop: Header=BB6_130 Depth=2
	v_dual_mov_b32 v7, 0 :: v_dual_mov_b32 v6, 0
	s_and_saveexec_b32 s11, s10
	s_cbranch_execz .LBB6_1699
; %bb.1690:                             ;   in Loop: Header=BB6_130 Depth=2
	v_bfrev_b32_e32 v6, 1
	s_mov_b32 s10, exec_lo
	v_cmpx_ne_u16_e32 0xff80, v1
	s_cbranch_execz .LBB6_1698
; %bb.1691:                             ;   in Loop: Header=BB6_130 Depth=2
	v_and_b32_e32 v6, 0x7c, v34
	v_and_b32_e32 v8, 3, v34
	s_delay_alu instid0(VALU_DEP_2) | instskip(SKIP_1) | instid1(SALU_CYCLE_1)
	v_cmp_ne_u32_e32 vcc_lo, 0x7c, v6
                                        ; implicit-def: $vgpr6
	s_and_saveexec_b32 s15, vcc_lo
	s_xor_b32 s15, exec_lo, s15
	s_cbranch_execz .LBB6_1695
; %bb.1692:                             ;   in Loop: Header=BB6_130 Depth=2
	v_bfe_u32 v1, v34, 2, 5
	s_mov_b32 s42, exec_lo
	s_delay_alu instid0(VALU_DEP_1)
	v_cmpx_eq_u32_e32 0, v1
; %bb.1693:                             ;   in Loop: Header=BB6_130 Depth=2
	v_clz_i32_u32_e32 v1, v8
	s_delay_alu instid0(VALU_DEP_1) | instskip(NEXT) | instid1(VALU_DEP_1)
	v_min_u32_e32 v1, 32, v1
	v_subrev_nc_u32_e32 v6, 29, v1
	s_delay_alu instid0(VALU_DEP_1) | instskip(NEXT) | instid1(VALU_DEP_1)
	v_lshlrev_b64_e32 v[8:9], v6, v[34:35]
	v_dual_sub_nc_u32 v1, 30, v1 :: v_dual_bitop2_b32 v8, 3, v8 bitop3:0x40
; %bb.1694:                             ;   in Loop: Header=BB6_130 Depth=2
	s_or_b32 exec_lo, exec_lo, s42
	v_lshlrev_b32_e32 v6, 24, v34
	s_delay_alu instid0(VALU_DEP_1) | instskip(NEXT) | instid1(VALU_DEP_1)
	v_and_b32_e32 v6, 0x80000000, v6
	v_lshl_add_u32 v1, v1, 23, v6
	s_delay_alu instid0(VALU_DEP_1) | instskip(NEXT) | instid1(VALU_DEP_1)
	v_lshl_or_b32 v1, v8, 21, v1
                                        ; implicit-def: $vgpr8
	v_add_nc_u32_e32 v6, 0x38000000, v1
                                        ; implicit-def: $vgpr1
.LBB6_1695:                             ;   in Loop: Header=BB6_130 Depth=2
	s_and_not1_saveexec_b32 s15, s15
; %bb.1696:                             ;   in Loop: Header=BB6_130 Depth=2
	v_cmp_lt_i16_e32 vcc_lo, -1, v1
	v_cndmask_b32_e32 v1, 0xff800000, v62, vcc_lo
	v_cmp_eq_u32_e32 vcc_lo, 0, v8
	s_delay_alu instid0(VALU_DEP_2)
	v_cndmask_b32_e32 v6, 0x7f800001, v1, vcc_lo
; %bb.1697:                             ;   in Loop: Header=BB6_130 Depth=2
	s_or_b32 exec_lo, exec_lo, s15
.LBB6_1698:                             ;   in Loop: Header=BB6_130 Depth=2
	s_delay_alu instid0(SALU_CYCLE_1)
	s_or_b32 exec_lo, exec_lo, s10
.LBB6_1699:                             ;   in Loop: Header=BB6_130 Depth=2
	s_delay_alu instid0(SALU_CYCLE_1) | instskip(NEXT) | instid1(SALU_CYCLE_1)
	s_or_b32 exec_lo, exec_lo, s11
	s_mov_b32 s10, exec_lo
	v_cmpx_ne_u16_e32 0, v0
	s_cbranch_execz .LBB6_1709
; %bb.1700:                             ;   in Loop: Header=BB6_130 Depth=2
	v_bfrev_b32_e32 v7, 1
	s_mov_b32 s11, exec_lo
	v_cmpx_ne_u16_e32 0xff80, v0
	s_cbranch_execz .LBB6_1708
; %bb.1701:                             ;   in Loop: Header=BB6_130 Depth=2
	v_and_b32_e32 v7, 0x7c, v28
	v_and_b32_e32 v1, 3, v28
	s_delay_alu instid0(VALU_DEP_2) | instskip(SKIP_1) | instid1(SALU_CYCLE_1)
	v_cmp_ne_u32_e32 vcc_lo, 0x7c, v7
                                        ; implicit-def: $vgpr7
	s_and_saveexec_b32 s15, vcc_lo
	s_xor_b32 s15, exec_lo, s15
	s_cbranch_execz .LBB6_1705
; %bb.1702:                             ;   in Loop: Header=BB6_130 Depth=2
	v_bfe_u32 v0, v28, 2, 5
	s_mov_b32 s42, exec_lo
	s_delay_alu instid0(VALU_DEP_1)
	v_cmpx_eq_u32_e32 0, v0
; %bb.1703:                             ;   in Loop: Header=BB6_130 Depth=2
	v_clz_i32_u32_e32 v0, v1
	s_delay_alu instid0(VALU_DEP_1) | instskip(NEXT) | instid1(VALU_DEP_1)
	v_min_u32_e32 v0, 32, v0
	v_subrev_nc_u32_e32 v1, 29, v0
	v_sub_nc_u32_e32 v0, 30, v0
	s_delay_alu instid0(VALU_DEP_2) | instskip(NEXT) | instid1(VALU_DEP_1)
	v_lshlrev_b64_e32 v[8:9], v1, v[28:29]
	v_and_b32_e32 v1, 3, v8
; %bb.1704:                             ;   in Loop: Header=BB6_130 Depth=2
	s_or_b32 exec_lo, exec_lo, s42
	v_lshlrev_b32_e32 v7, 24, v28
	s_delay_alu instid0(VALU_DEP_1) | instskip(NEXT) | instid1(VALU_DEP_1)
	v_and_b32_e32 v7, 0x80000000, v7
	v_lshl_add_u32 v0, v0, 23, v7
	s_delay_alu instid0(VALU_DEP_1) | instskip(NEXT) | instid1(VALU_DEP_1)
	v_lshl_or_b32 v0, v1, 21, v0
                                        ; implicit-def: $vgpr1
	v_add_nc_u32_e32 v7, 0x38000000, v0
                                        ; implicit-def: $vgpr0
.LBB6_1705:                             ;   in Loop: Header=BB6_130 Depth=2
	s_and_not1_saveexec_b32 s15, s15
; %bb.1706:                             ;   in Loop: Header=BB6_130 Depth=2
	v_cmp_lt_i16_e32 vcc_lo, -1, v0
	v_cndmask_b32_e32 v0, 0xff800000, v62, vcc_lo
	v_cmp_eq_u32_e32 vcc_lo, 0, v1
	s_delay_alu instid0(VALU_DEP_2)
	v_cndmask_b32_e32 v7, 0x7f800001, v0, vcc_lo
; %bb.1707:                             ;   in Loop: Header=BB6_130 Depth=2
	s_or_b32 exec_lo, exec_lo, s15
.LBB6_1708:                             ;   in Loop: Header=BB6_130 Depth=2
	s_delay_alu instid0(SALU_CYCLE_1)
	s_or_b32 exec_lo, exec_lo, s11
.LBB6_1709:                             ;   in Loop: Header=BB6_130 Depth=2
	s_delay_alu instid0(SALU_CYCLE_1) | instskip(NEXT) | instid1(VALU_DEP_1)
	s_or_b32 exec_lo, exec_lo, s10
	v_dual_max_num_f32 v0, v7, v7 :: v_dual_max_num_f32 v1, v6, v6
	s_delay_alu instid0(VALU_DEP_1)
	v_min_num_f32_e32 v6, v1, v0
.LBB6_1710:                             ;   in Loop: Header=BB6_130 Depth=2
	s_delay_alu instid0(VALU_DEP_1) | instskip(SKIP_2) | instid1(VALU_DEP_2)
	v_and_b32_e32 v0, 0x7f800000, v6
	v_mov_b32_e32 v1, v25
	v_and_b32_e32 v24, 0x7fffff, v6
                                        ; implicit-def: $vgpr27
	v_cmp_ne_u64_e32 vcc_lo, 0x7f800000, v[0:1]
	v_lshrrev_b32_e32 v0, 24, v6
	s_and_saveexec_b32 s10, vcc_lo
	s_delay_alu instid0(SALU_CYCLE_1)
	s_xor_b32 s11, exec_lo, s10
	s_cbranch_execz .LBB6_1724
; %bb.1711:                             ;   in Loop: Header=BB6_130 Depth=2
	v_and_b32_e32 v8, 0x7fffffff, v6
	v_mov_b32_e32 v9, v25
                                        ; implicit-def: $vgpr27
	s_delay_alu instid0(VALU_DEP_1) | instskip(SKIP_2) | instid1(SALU_CYCLE_1)
	v_cmp_gt_u64_e32 vcc_lo, 0x47600001, v[8:9]
	v_and_b32_e32 v8, 0x80, v0
	s_and_saveexec_b32 s10, vcc_lo
	s_xor_b32 s15, exec_lo, s10
	s_cbranch_execz .LBB6_1721
; %bb.1712:                             ;   in Loop: Header=BB6_130 Depth=2
	v_mov_b32_e32 v27, 0
	s_mov_b32 s42, exec_lo
	v_cmpx_ne_u32_e32 0, v6
	s_cbranch_execz .LBB6_1720
; %bb.1713:                             ;   in Loop: Header=BB6_130 Depth=2
	v_bfe_u32 v9, v6, 23, 8
	v_or_b32_e32 v6, 0x800000, v24
	s_delay_alu instid0(VALU_DEP_2) | instskip(SKIP_1) | instid1(VALU_DEP_2)
	v_sub_nc_u32_e32 v0, 0x71, v9
	v_cmp_gt_u32_e32 vcc_lo, 0x72, v9
	v_cndmask_b32_e32 v0, 0, v0, vcc_lo
	v_cmp_eq_u32_e32 vcc_lo, 0, v9
	s_delay_alu instid0(VALU_DEP_2) | instskip(NEXT) | instid1(VALU_DEP_1)
	v_cndmask_b32_e64 v27, v0, 0x70, vcc_lo
	v_dual_cndmask_b32 v24, v6, v24, vcc_lo :: v_dual_add_nc_u32 v0, 21, v27
	v_add_nc_u32_e32 v7, 20, v27
	s_delay_alu instid0(VALU_DEP_2) | instskip(NEXT) | instid1(VALU_DEP_2)
	v_lshlrev_b64_e64 v[0:1], v0, -1
	v_lshlrev_b64_e64 v[6:7], v7, 1
	s_delay_alu instid0(VALU_DEP_2) | instskip(NEXT) | instid1(VALU_DEP_3)
	v_bfi_b32 v33, v1, 0, 0
	v_bfi_b32 v32, v0, 0, v24
	v_lshrrev_b64 v[0:1], v27, v[24:25]
	s_delay_alu instid0(VALU_DEP_2) | instskip(NEXT) | instid1(VALU_DEP_2)
	v_cmp_eq_u64_e64 s10, v[32:33], v[6:7]
	v_mov_b64_e32 v[6:7], v[0:1]
	s_and_saveexec_b32 s43, s10
; %bb.1714:                             ;   in Loop: Header=BB6_130 Depth=2
	v_bfe_u32 v24, v0, 21, 1
	s_delay_alu instid0(VALU_DEP_1) | instskip(NEXT) | instid1(VALU_DEP_1)
	v_add_nc_u64_e32 v[6:7], v[0:1], v[24:25]
	v_add_nc_u64_e32 v[6:7], -1, v[6:7]
; %bb.1715:                             ;   in Loop: Header=BB6_130 Depth=2
	s_or_b32 exec_lo, exec_lo, s43
	v_add_nc_u32_e32 v1, 0xffffff81, v9
	v_lshrrev_b32_e32 v7, 23, v0
	s_mov_b32 s10, exec_lo
	s_delay_alu instid0(VALU_DEP_2) | instskip(NEXT) | instid1(VALU_DEP_1)
	v_cndmask_b32_e64 v1, v1, 0xffffff82, vcc_lo
	v_add3_u32 v7, v27, v1, v7
	v_and_b32_e32 v1, 0x1fffff, v6
                                        ; implicit-def: $vgpr6
	s_delay_alu instid0(VALU_DEP_1) | instskip(NEXT) | instid1(VALU_DEP_1)
	v_dual_add_nc_u32 v9, 14, v7 :: v_dual_add_nc_u32 v24, v1, v0
                                        ; implicit-def: $vgpr0_vgpr1
	v_cmpx_ne_u32_e32 0, v9
	s_xor_b32 s10, exec_lo, s10
; %bb.1716:                             ;   in Loop: Header=BB6_130 Depth=2
	s_delay_alu instid0(VALU_DEP_2) | instskip(SKIP_1) | instid1(VALU_DEP_1)
	v_cmp_lt_u64_e32 vcc_lo, 0xffffff, v[24:25]
	v_add_nc_u32_e32 v0, 15, v7
	v_cndmask_b32_e32 v6, v9, v0, vcc_lo
	v_cndmask_b32_e64 v0, 0, 1, vcc_lo
	s_delay_alu instid0(VALU_DEP_1)
	v_lshrrev_b64 v[0:1], v0, v[24:25]
; %bb.1717:                             ;   in Loop: Header=BB6_130 Depth=2
	s_and_not1_saveexec_b32 s10, s10
; %bb.1718:                             ;   in Loop: Header=BB6_130 Depth=2
	v_mov_b64_e32 v[0:1], v[24:25]
	v_bfe_u32 v6, v24, 23, 1
; %bb.1719:                             ;   in Loop: Header=BB6_130 Depth=2
	s_or_b32 exec_lo, exec_lo, s10
	s_delay_alu instid0(VALU_DEP_2) | instskip(NEXT) | instid1(VALU_DEP_2)
	v_lshrrev_b64 v[0:1], 21, v[0:1]
	v_cmp_gt_i32_e32 vcc_lo, 32, v6
	v_min_i32_e32 v7, 31, v6
	v_cmp_eq_u32_e64 s10, 0, v6
	s_delay_alu instid0(VALU_DEP_2) | instskip(SKIP_1) | instid1(VALU_DEP_2)
	v_dual_cndmask_b32 v1, 0, v1, vcc_lo :: v_dual_lshlrev_b32 v7, 2, v7
	v_cndmask_b32_e32 v0, 3, v0, vcc_lo
	v_and_b32_e32 v7, 0xfc, v7
	s_delay_alu instid0(VALU_DEP_2) | instskip(NEXT) | instid1(VALU_DEP_2)
	v_cmp_eq_u64_e32 vcc_lo, 0, v[0:1]
	v_and_or_b32 v0, v0, 3, v7
	s_and_b32 s10, s10, vcc_lo
	s_delay_alu instid0(VALU_DEP_1) | instid1(SALU_CYCLE_1)
	v_cndmask_b32_e64 v0, v0, 0, s10
	s_delay_alu instid0(VALU_DEP_1)
	v_or_b32_e32 v27, v0, v8
.LBB6_1720:                             ;   in Loop: Header=BB6_130 Depth=2
	s_or_b32 exec_lo, exec_lo, s42
                                        ; implicit-def: $vgpr8
.LBB6_1721:                             ;   in Loop: Header=BB6_130 Depth=2
	s_and_not1_saveexec_b32 s10, s15
; %bb.1722:                             ;   in Loop: Header=BB6_130 Depth=2
	v_or_b32_e32 v27, 0x7b, v8
; %bb.1723:                             ;   in Loop: Header=BB6_130 Depth=2
	s_or_b32 exec_lo, exec_lo, s10
                                        ; implicit-def: $vgpr6
                                        ; implicit-def: $vgpr0
.LBB6_1724:                             ;   in Loop: Header=BB6_130 Depth=2
	s_and_not1_saveexec_b32 s10, s11
	s_cbranch_execz .LBB6_1730
; %bb.1725:                             ;   in Loop: Header=BB6_130 Depth=2
	s_mov_b32 s11, exec_lo
                                        ; implicit-def: $vgpr27
	v_cmpx_ne_u64_e32 0, v[24:25]
	s_xor_b32 s11, exec_lo, s11
; %bb.1726:                             ;   in Loop: Header=BB6_130 Depth=2
	v_or_b32_e32 v27, 0x7f, v0
                                        ; implicit-def: $vgpr6
; %bb.1727:                             ;   in Loop: Header=BB6_130 Depth=2
	s_and_not1_saveexec_b32 s11, s11
; %bb.1728:                             ;   in Loop: Header=BB6_130 Depth=2
	v_cmp_lt_i32_e32 vcc_lo, -1, v6
	v_cndmask_b32_e32 v27, 0xfc, v93, vcc_lo
; %bb.1729:                             ;   in Loop: Header=BB6_130 Depth=2
	s_or_b32 exec_lo, exec_lo, s11
.LBB6_1730:                             ;   in Loop: Header=BB6_130 Depth=2
	s_delay_alu instid0(SALU_CYCLE_1) | instskip(SKIP_4) | instid1(VALU_DEP_2)
	s_or_b32 exec_lo, exec_lo, s10
	v_lshrrev_b16 v24, 8, v34
	v_lshrrev_b16 v0, 8, v28
	s_and_not1_b32 vcc_lo, exec_lo, s14
	s_mov_b32 s11, -1
                                        ; implicit-def: $vgpr1
	v_and_b32_e32 v6, 0xffff, v24
	v_cmp_ne_u16_e64 s10, 0, v24
	s_cbranch_vccnz .LBB6_1752
; %bb.1731:                             ;   in Loop: Header=BB6_130 Depth=2
	v_dual_mov_b32 v1, 0 :: v_dual_mov_b32 v7, 0
	s_and_saveexec_b32 s11, s10
	s_cbranch_execz .LBB6_1741
; %bb.1732:                             ;   in Loop: Header=BB6_130 Depth=2
	v_bfrev_b32_e32 v7, 1
	s_mov_b32 s15, exec_lo
	v_cmpx_ne_u16_e32 0x80, v24
	s_cbranch_execz .LBB6_1740
; %bb.1733:                             ;   in Loop: Header=BB6_130 Depth=2
	v_and_b32_e32 v7, 0x7c, v6
	v_and_b32_e32 v8, 3, v6
	s_delay_alu instid0(VALU_DEP_2) | instskip(SKIP_1) | instid1(SALU_CYCLE_1)
	v_cmp_ne_u32_e32 vcc_lo, 0x7c, v7
                                        ; implicit-def: $vgpr7
	s_and_saveexec_b32 s42, vcc_lo
	s_xor_b32 s42, exec_lo, s42
	s_cbranch_execz .LBB6_1737
; %bb.1734:                             ;   in Loop: Header=BB6_130 Depth=2
	v_bfe_u32 v7, v6, 2, 5
	s_mov_b32 s43, exec_lo
	s_delay_alu instid0(VALU_DEP_1)
	v_cmpx_eq_u32_e32 0, v7
; %bb.1735:                             ;   in Loop: Header=BB6_130 Depth=2
	v_clz_i32_u32_e32 v7, v8
	s_delay_alu instid0(VALU_DEP_1) | instskip(NEXT) | instid1(VALU_DEP_1)
	v_min_u32_e32 v7, 32, v7
	v_subrev_nc_u32_e32 v8, 29, v7
	s_delay_alu instid0(VALU_DEP_1) | instskip(NEXT) | instid1(VALU_DEP_1)
	v_lshlrev_b64_e32 v[8:9], v8, v[24:25]
	v_dual_sub_nc_u32 v7, 30, v7 :: v_dual_bitop2_b32 v8, 3, v8 bitop3:0x40
; %bb.1736:                             ;   in Loop: Header=BB6_130 Depth=2
	s_or_b32 exec_lo, exec_lo, s43
	v_lshlrev_b32_e32 v9, 16, v34
	s_delay_alu instid0(VALU_DEP_1) | instskip(NEXT) | instid1(VALU_DEP_1)
	v_and_b32_e32 v9, 0x80000000, v9
	v_lshl_add_u32 v7, v7, 23, v9
	s_delay_alu instid0(VALU_DEP_1) | instskip(NEXT) | instid1(VALU_DEP_1)
	v_lshl_or_b32 v7, v8, 21, v7
                                        ; implicit-def: $vgpr8
	v_add_nc_u32_e32 v7, 0x38000000, v7
.LBB6_1737:                             ;   in Loop: Header=BB6_130 Depth=2
	s_and_not1_saveexec_b32 s42, s42
; %bb.1738:                             ;   in Loop: Header=BB6_130 Depth=2
	v_cmp_lt_i16_e32 vcc_lo, -1, v34
	v_cndmask_b32_e32 v7, 0xff800000, v62, vcc_lo
	v_cmp_eq_u32_e32 vcc_lo, 0, v8
	s_delay_alu instid0(VALU_DEP_2)
	v_cndmask_b32_e32 v7, 0x7f800001, v7, vcc_lo
; %bb.1739:                             ;   in Loop: Header=BB6_130 Depth=2
	s_or_b32 exec_lo, exec_lo, s42
.LBB6_1740:                             ;   in Loop: Header=BB6_130 Depth=2
	s_delay_alu instid0(SALU_CYCLE_1)
	s_or_b32 exec_lo, exec_lo, s15
.LBB6_1741:                             ;   in Loop: Header=BB6_130 Depth=2
	s_delay_alu instid0(SALU_CYCLE_1) | instskip(NEXT) | instid1(SALU_CYCLE_1)
	s_or_b32 exec_lo, exec_lo, s11
	s_mov_b32 s11, exec_lo
	v_cmpx_ne_u16_e32 0, v0
	s_cbranch_execz .LBB6_1751
; %bb.1742:                             ;   in Loop: Header=BB6_130 Depth=2
	v_bfrev_b32_e32 v1, 1
	s_mov_b32 s15, exec_lo
	v_cmpx_ne_u16_e32 0x80, v0
	s_cbranch_execz .LBB6_1750
; %bb.1743:                             ;   in Loop: Header=BB6_130 Depth=2
	v_and_b32_e32 v9, 0xffff, v0
	s_delay_alu instid0(VALU_DEP_1) | instskip(SKIP_1) | instid1(VALU_DEP_2)
	v_and_b32_e32 v1, 0x7c, v9
	v_and_b32_e32 v8, 3, v9
	v_cmp_ne_u32_e32 vcc_lo, 0x7c, v1
                                        ; implicit-def: $vgpr1
	s_and_saveexec_b32 s42, vcc_lo
	s_delay_alu instid0(SALU_CYCLE_1)
	s_xor_b32 s42, exec_lo, s42
	s_cbranch_execz .LBB6_1747
; %bb.1744:                             ;   in Loop: Header=BB6_130 Depth=2
	v_bfe_u32 v1, v9, 2, 5
	s_mov_b32 s43, exec_lo
	s_delay_alu instid0(VALU_DEP_1)
	v_cmpx_eq_u32_e32 0, v1
	s_cbranch_execz .LBB6_1746
; %bb.1745:                             ;   in Loop: Header=BB6_130 Depth=2
	v_clz_i32_u32_e32 v1, v8
	s_delay_alu instid0(VALU_DEP_1) | instskip(SKIP_1) | instid1(VALU_DEP_2)
	v_min_u32_e32 v32, 32, v1
	v_mov_b32_e32 v1, v25
	v_subrev_nc_u32_e32 v8, 29, v32
	s_delay_alu instid0(VALU_DEP_1) | instskip(SKIP_1) | instid1(VALU_DEP_2)
	v_lshlrev_b64_e32 v[8:9], v8, v[0:1]
	v_sub_nc_u32_e32 v1, 30, v32
	v_and_b32_e32 v8, 3, v8
.LBB6_1746:                             ;   in Loop: Header=BB6_130 Depth=2
	s_or_b32 exec_lo, exec_lo, s43
	v_lshlrev_b32_e32 v9, 16, v28
	s_delay_alu instid0(VALU_DEP_1) | instskip(NEXT) | instid1(VALU_DEP_1)
	v_and_b32_e32 v9, 0x80000000, v9
	v_lshl_add_u32 v1, v1, 23, v9
	s_delay_alu instid0(VALU_DEP_1) | instskip(NEXT) | instid1(VALU_DEP_1)
	v_lshl_or_b32 v1, v8, 21, v1
                                        ; implicit-def: $vgpr8
	v_add_nc_u32_e32 v1, 0x38000000, v1
.LBB6_1747:                             ;   in Loop: Header=BB6_130 Depth=2
	s_and_not1_saveexec_b32 s42, s42
; %bb.1748:                             ;   in Loop: Header=BB6_130 Depth=2
	v_cmp_lt_i16_e32 vcc_lo, -1, v28
	v_cndmask_b32_e32 v1, 0xff800000, v62, vcc_lo
	v_cmp_eq_u32_e32 vcc_lo, 0, v8
	s_delay_alu instid0(VALU_DEP_2)
	v_cndmask_b32_e32 v1, 0x7f800001, v1, vcc_lo
; %bb.1749:                             ;   in Loop: Header=BB6_130 Depth=2
	s_or_b32 exec_lo, exec_lo, s42
.LBB6_1750:                             ;   in Loop: Header=BB6_130 Depth=2
	s_delay_alu instid0(SALU_CYCLE_1)
	s_or_b32 exec_lo, exec_lo, s15
.LBB6_1751:                             ;   in Loop: Header=BB6_130 Depth=2
	s_delay_alu instid0(SALU_CYCLE_1) | instskip(NEXT) | instid1(VALU_DEP_1)
	s_or_b32 exec_lo, exec_lo, s11
	v_dual_max_num_f32 v1, v1, v1 :: v_dual_max_num_f32 v7, v7, v7
	s_mov_b32 s11, 0
	s_delay_alu instid0(VALU_DEP_1)
	v_max_num_f32_e32 v1, v7, v1
.LBB6_1752:                             ;   in Loop: Header=BB6_130 Depth=2
	s_and_b32 vcc_lo, exec_lo, s11
	s_cbranch_vccz .LBB6_1774
; %bb.1753:                             ;   in Loop: Header=BB6_130 Depth=2
	v_dual_mov_b32 v1, 0 :: v_dual_mov_b32 v7, 0
	s_and_saveexec_b32 s11, s10
	s_cbranch_execz .LBB6_1763
; %bb.1754:                             ;   in Loop: Header=BB6_130 Depth=2
	v_bfrev_b32_e32 v7, 1
	s_mov_b32 s10, exec_lo
	v_cmpx_ne_u16_e32 0x80, v24
	s_cbranch_execz .LBB6_1762
; %bb.1755:                             ;   in Loop: Header=BB6_130 Depth=2
	v_and_b32_e32 v7, 0x7c, v6
	v_and_b32_e32 v8, 3, v6
	s_delay_alu instid0(VALU_DEP_2) | instskip(SKIP_1) | instid1(SALU_CYCLE_1)
	v_cmp_ne_u32_e32 vcc_lo, 0x7c, v7
                                        ; implicit-def: $vgpr7
	s_and_saveexec_b32 s15, vcc_lo
	s_xor_b32 s15, exec_lo, s15
	s_cbranch_execz .LBB6_1759
; %bb.1756:                             ;   in Loop: Header=BB6_130 Depth=2
	v_bfe_u32 v6, v6, 2, 5
	s_mov_b32 s42, exec_lo
	s_delay_alu instid0(VALU_DEP_1)
	v_cmpx_eq_u32_e32 0, v6
; %bb.1757:                             ;   in Loop: Header=BB6_130 Depth=2
	v_clz_i32_u32_e32 v6, v8
	s_delay_alu instid0(VALU_DEP_1) | instskip(NEXT) | instid1(VALU_DEP_1)
	v_min_u32_e32 v6, 32, v6
	v_subrev_nc_u32_e32 v7, 29, v6
	s_delay_alu instid0(VALU_DEP_1) | instskip(NEXT) | instid1(VALU_DEP_1)
	v_lshlrev_b64_e32 v[8:9], v7, v[24:25]
	v_dual_sub_nc_u32 v6, 30, v6 :: v_dual_bitop2_b32 v8, 3, v8 bitop3:0x40
; %bb.1758:                             ;   in Loop: Header=BB6_130 Depth=2
	s_or_b32 exec_lo, exec_lo, s42
	v_lshlrev_b32_e32 v7, 16, v34
	s_delay_alu instid0(VALU_DEP_1) | instskip(NEXT) | instid1(VALU_DEP_1)
	v_and_b32_e32 v7, 0x80000000, v7
	v_lshl_add_u32 v6, v6, 23, v7
	s_delay_alu instid0(VALU_DEP_1) | instskip(NEXT) | instid1(VALU_DEP_1)
	v_lshl_or_b32 v6, v8, 21, v6
                                        ; implicit-def: $vgpr8
	v_add_nc_u32_e32 v7, 0x38000000, v6
.LBB6_1759:                             ;   in Loop: Header=BB6_130 Depth=2
	s_and_not1_saveexec_b32 s15, s15
; %bb.1760:                             ;   in Loop: Header=BB6_130 Depth=2
	v_cmp_lt_i16_e32 vcc_lo, -1, v34
	v_cndmask_b32_e32 v6, 0xff800000, v62, vcc_lo
	v_cmp_eq_u32_e32 vcc_lo, 0, v8
	s_delay_alu instid0(VALU_DEP_2)
	v_cndmask_b32_e32 v7, 0x7f800001, v6, vcc_lo
; %bb.1761:                             ;   in Loop: Header=BB6_130 Depth=2
	s_or_b32 exec_lo, exec_lo, s15
.LBB6_1762:                             ;   in Loop: Header=BB6_130 Depth=2
	s_delay_alu instid0(SALU_CYCLE_1)
	s_or_b32 exec_lo, exec_lo, s10
.LBB6_1763:                             ;   in Loop: Header=BB6_130 Depth=2
	s_delay_alu instid0(SALU_CYCLE_1) | instskip(NEXT) | instid1(SALU_CYCLE_1)
	s_or_b32 exec_lo, exec_lo, s11
	s_mov_b32 s10, exec_lo
	v_cmpx_ne_u16_e32 0, v0
	s_cbranch_execz .LBB6_1773
; %bb.1764:                             ;   in Loop: Header=BB6_130 Depth=2
	v_bfrev_b32_e32 v1, 1
	s_mov_b32 s11, exec_lo
	v_cmpx_ne_u16_e32 0x80, v0
	s_cbranch_execz .LBB6_1772
; %bb.1765:                             ;   in Loop: Header=BB6_130 Depth=2
	v_and_b32_e32 v8, 0xffff, v0
	s_delay_alu instid0(VALU_DEP_1) | instskip(SKIP_1) | instid1(VALU_DEP_2)
	v_and_b32_e32 v1, 0x7c, v8
	v_and_b32_e32 v6, 3, v8
	v_cmp_ne_u32_e32 vcc_lo, 0x7c, v1
                                        ; implicit-def: $vgpr1
	s_and_saveexec_b32 s15, vcc_lo
	s_delay_alu instid0(SALU_CYCLE_1)
	s_xor_b32 s15, exec_lo, s15
	s_cbranch_execz .LBB6_1769
; %bb.1766:                             ;   in Loop: Header=BB6_130 Depth=2
	v_bfe_u32 v1, v8, 2, 5
	s_mov_b32 s42, exec_lo
	s_delay_alu instid0(VALU_DEP_1)
	v_cmpx_eq_u32_e32 0, v1
; %bb.1767:                             ;   in Loop: Header=BB6_130 Depth=2
	v_clz_i32_u32_e32 v1, v6
	s_delay_alu instid0(VALU_DEP_1) | instskip(SKIP_1) | instid1(VALU_DEP_2)
	v_min_u32_e32 v6, 32, v1
	v_mov_b32_e32 v1, v25
	v_subrev_nc_u32_e32 v8, 29, v6
	s_delay_alu instid0(VALU_DEP_1) | instskip(NEXT) | instid1(VALU_DEP_1)
	v_lshlrev_b64_e32 v[0:1], v8, v[0:1]
	v_dual_sub_nc_u32 v1, 30, v6 :: v_dual_bitop2_b32 v6, 3, v0 bitop3:0x40
; %bb.1768:                             ;   in Loop: Header=BB6_130 Depth=2
	s_or_b32 exec_lo, exec_lo, s42
	v_lshlrev_b32_e32 v0, 16, v28
	s_delay_alu instid0(VALU_DEP_1) | instskip(NEXT) | instid1(VALU_DEP_1)
	v_and_b32_e32 v0, 0x80000000, v0
	v_lshl_add_u32 v0, v1, 23, v0
	s_delay_alu instid0(VALU_DEP_1) | instskip(NEXT) | instid1(VALU_DEP_1)
	v_lshl_or_b32 v0, v6, 21, v0
                                        ; implicit-def: $vgpr6
	v_add_nc_u32_e32 v1, 0x38000000, v0
.LBB6_1769:                             ;   in Loop: Header=BB6_130 Depth=2
	s_and_not1_saveexec_b32 s15, s15
; %bb.1770:                             ;   in Loop: Header=BB6_130 Depth=2
	v_cmp_lt_i16_e32 vcc_lo, -1, v28
	v_cndmask_b32_e32 v0, 0xff800000, v62, vcc_lo
	v_cmp_eq_u32_e32 vcc_lo, 0, v6
	s_delay_alu instid0(VALU_DEP_2)
	v_cndmask_b32_e32 v1, 0x7f800001, v0, vcc_lo
; %bb.1771:                             ;   in Loop: Header=BB6_130 Depth=2
	s_or_b32 exec_lo, exec_lo, s15
.LBB6_1772:                             ;   in Loop: Header=BB6_130 Depth=2
	s_delay_alu instid0(SALU_CYCLE_1)
	s_or_b32 exec_lo, exec_lo, s11
.LBB6_1773:                             ;   in Loop: Header=BB6_130 Depth=2
	s_delay_alu instid0(SALU_CYCLE_1) | instskip(NEXT) | instid1(VALU_DEP_1)
	s_or_b32 exec_lo, exec_lo, s10
	v_dual_max_num_f32 v0, v1, v1 :: v_dual_max_num_f32 v1, v7, v7
	s_delay_alu instid0(VALU_DEP_1)
	v_min_num_f32_e32 v1, v1, v0
.LBB6_1774:                             ;   in Loop: Header=BB6_130 Depth=2
	s_delay_alu instid0(VALU_DEP_1) | instskip(SKIP_3) | instid1(VALU_DEP_2)
	v_and_b32_e32 v6, 0x7f800000, v1
	v_dual_mov_b32 v7, v25 :: v_dual_lshrrev_b32 v0, 24, v1
	v_and_b32_e32 v24, 0x7fffff, v1
                                        ; implicit-def: $vgpr32
	s_mov_b32 s10, exec_lo
	v_cmpx_ne_u64_e32 0x7f800000, v[6:7]
	s_xor_b32 s11, exec_lo, s10
	s_cbranch_execz .LBB6_1788
; %bb.1775:                             ;   in Loop: Header=BB6_130 Depth=2
	v_and_b32_e32 v6, 0x7fffffff, v1
	v_mov_b32_e32 v7, v25
	v_and_b32_e32 v8, 0x80, v0
                                        ; implicit-def: $vgpr32
	s_mov_b32 s10, exec_lo
	s_delay_alu instid0(VALU_DEP_2)
	v_cmpx_gt_u64_e32 0x47600001, v[6:7]
	s_xor_b32 s15, exec_lo, s10
	s_cbranch_execz .LBB6_1785
; %bb.1776:                             ;   in Loop: Header=BB6_130 Depth=2
	v_mov_b32_e32 v32, 0
	s_mov_b32 s42, exec_lo
	v_cmpx_ne_u32_e32 0, v1
	s_cbranch_execz .LBB6_1784
; %bb.1777:                             ;   in Loop: Header=BB6_130 Depth=2
	v_bfe_u32 v9, v1, 23, 8
	v_or_b32_e32 v6, 0x800000, v24
	s_delay_alu instid0(VALU_DEP_2) | instskip(SKIP_1) | instid1(VALU_DEP_2)
	v_sub_nc_u32_e32 v0, 0x71, v9
	v_cmp_gt_u32_e32 vcc_lo, 0x72, v9
	v_cndmask_b32_e32 v0, 0, v0, vcc_lo
	v_cmp_eq_u32_e32 vcc_lo, 0, v9
	s_delay_alu instid0(VALU_DEP_2) | instskip(SKIP_1) | instid1(VALU_DEP_2)
	v_cndmask_b32_e64 v32, v0, 0x70, vcc_lo
	v_cndmask_b32_e32 v24, v6, v24, vcc_lo
	v_dual_add_nc_u32 v0, 21, v32 :: v_dual_add_nc_u32 v7, 20, v32
	s_delay_alu instid0(VALU_DEP_1) | instskip(NEXT) | instid1(VALU_DEP_2)
	v_lshlrev_b64_e64 v[0:1], v0, -1
	v_lshlrev_b64_e64 v[6:7], v7, 1
	s_delay_alu instid0(VALU_DEP_2) | instskip(NEXT) | instid1(VALU_DEP_3)
	v_bfi_b32 v81, v1, 0, 0
	v_bfi_b32 v80, v0, 0, v24
	v_lshrrev_b64 v[0:1], v32, v[24:25]
	s_delay_alu instid0(VALU_DEP_2) | instskip(NEXT) | instid1(VALU_DEP_2)
	v_cmp_eq_u64_e64 s10, v[80:81], v[6:7]
	v_mov_b64_e32 v[6:7], v[0:1]
	s_and_saveexec_b32 s43, s10
; %bb.1778:                             ;   in Loop: Header=BB6_130 Depth=2
	v_bfe_u32 v24, v0, 21, 1
	s_delay_alu instid0(VALU_DEP_1) | instskip(NEXT) | instid1(VALU_DEP_1)
	v_add_nc_u64_e32 v[6:7], v[0:1], v[24:25]
	v_add_nc_u64_e32 v[6:7], -1, v[6:7]
; %bb.1779:                             ;   in Loop: Header=BB6_130 Depth=2
	s_or_b32 exec_lo, exec_lo, s43
	v_add_nc_u32_e32 v1, 0xffffff81, v9
	v_lshrrev_b32_e32 v7, 23, v0
	s_mov_b32 s10, exec_lo
	s_delay_alu instid0(VALU_DEP_2) | instskip(NEXT) | instid1(VALU_DEP_1)
	v_cndmask_b32_e64 v1, v1, 0xffffff82, vcc_lo
	v_add3_u32 v7, v32, v1, v7
	v_and_b32_e32 v1, 0x1fffff, v6
                                        ; implicit-def: $vgpr6
	s_delay_alu instid0(VALU_DEP_1) | instskip(NEXT) | instid1(VALU_DEP_1)
	v_dual_add_nc_u32 v9, 14, v7 :: v_dual_add_nc_u32 v24, v1, v0
                                        ; implicit-def: $vgpr0_vgpr1
	v_cmpx_ne_u32_e32 0, v9
	s_xor_b32 s10, exec_lo, s10
; %bb.1780:                             ;   in Loop: Header=BB6_130 Depth=2
	s_delay_alu instid0(VALU_DEP_2) | instskip(SKIP_1) | instid1(VALU_DEP_1)
	v_cmp_lt_u64_e32 vcc_lo, 0xffffff, v[24:25]
	v_add_nc_u32_e32 v0, 15, v7
	v_cndmask_b32_e32 v6, v9, v0, vcc_lo
	v_cndmask_b32_e64 v0, 0, 1, vcc_lo
	s_delay_alu instid0(VALU_DEP_1)
	v_lshrrev_b64 v[0:1], v0, v[24:25]
; %bb.1781:                             ;   in Loop: Header=BB6_130 Depth=2
	s_and_not1_saveexec_b32 s10, s10
; %bb.1782:                             ;   in Loop: Header=BB6_130 Depth=2
	v_mov_b64_e32 v[0:1], v[24:25]
	v_bfe_u32 v6, v24, 23, 1
; %bb.1783:                             ;   in Loop: Header=BB6_130 Depth=2
	s_or_b32 exec_lo, exec_lo, s10
	s_delay_alu instid0(VALU_DEP_2) | instskip(NEXT) | instid1(VALU_DEP_2)
	v_lshrrev_b64 v[0:1], 21, v[0:1]
	v_cmp_gt_i32_e32 vcc_lo, 32, v6
	v_min_i32_e32 v7, 31, v6
	v_cmp_eq_u32_e64 s10, 0, v6
	s_delay_alu instid0(VALU_DEP_2) | instskip(SKIP_1) | instid1(VALU_DEP_2)
	v_dual_cndmask_b32 v1, 0, v1, vcc_lo :: v_dual_lshlrev_b32 v7, 2, v7
	v_cndmask_b32_e32 v0, 3, v0, vcc_lo
	v_and_b32_e32 v7, 0xfc, v7
	s_delay_alu instid0(VALU_DEP_2) | instskip(NEXT) | instid1(VALU_DEP_2)
	v_cmp_eq_u64_e32 vcc_lo, 0, v[0:1]
	v_and_or_b32 v0, v0, 3, v7
	s_and_b32 s10, s10, vcc_lo
	s_delay_alu instid0(VALU_DEP_1) | instid1(SALU_CYCLE_1)
	v_cndmask_b32_e64 v0, v0, 0, s10
	s_delay_alu instid0(VALU_DEP_1)
	v_or_b32_e32 v32, v0, v8
.LBB6_1784:                             ;   in Loop: Header=BB6_130 Depth=2
	s_or_b32 exec_lo, exec_lo, s42
                                        ; implicit-def: $vgpr8
.LBB6_1785:                             ;   in Loop: Header=BB6_130 Depth=2
	s_and_not1_saveexec_b32 s10, s15
; %bb.1786:                             ;   in Loop: Header=BB6_130 Depth=2
	v_or_b32_e32 v32, 0x7b, v8
; %bb.1787:                             ;   in Loop: Header=BB6_130 Depth=2
	s_or_b32 exec_lo, exec_lo, s10
                                        ; implicit-def: $vgpr1
                                        ; implicit-def: $vgpr0
.LBB6_1788:                             ;   in Loop: Header=BB6_130 Depth=2
	s_and_not1_saveexec_b32 s10, s11
	s_cbranch_execz .LBB6_1794
; %bb.1789:                             ;   in Loop: Header=BB6_130 Depth=2
	s_mov_b32 s11, exec_lo
                                        ; implicit-def: $vgpr32
	v_cmpx_ne_u64_e32 0, v[24:25]
	s_xor_b32 s11, exec_lo, s11
; %bb.1790:                             ;   in Loop: Header=BB6_130 Depth=2
	v_or_b32_e32 v32, 0x7f, v0
                                        ; implicit-def: $vgpr1
; %bb.1791:                             ;   in Loop: Header=BB6_130 Depth=2
	s_and_not1_saveexec_b32 s11, s11
; %bb.1792:                             ;   in Loop: Header=BB6_130 Depth=2
	v_cmp_lt_i32_e32 vcc_lo, -1, v1
	v_cndmask_b32_e32 v32, 0xfc, v93, vcc_lo
; %bb.1793:                             ;   in Loop: Header=BB6_130 Depth=2
	s_or_b32 exec_lo, exec_lo, s11
.LBB6_1794:                             ;   in Loop: Header=BB6_130 Depth=2
	s_delay_alu instid0(SALU_CYCLE_1) | instskip(SKIP_3) | instid1(VALU_DEP_1)
	s_or_b32 exec_lo, exec_lo, s10
	v_dual_lshrrev_b32 v6, 16, v34 :: v_dual_lshrrev_b32 v0, 16, v28
	s_and_not1_b32 vcc_lo, exec_lo, s14
	s_mov_b32 s11, -1
                                        ; implicit-def: $vgpr7
	v_and_b32_e32 v1, 0xff, v6
	s_delay_alu instid0(VALU_DEP_1)
	v_cmp_ne_u16_e64 s10, 0, v1
	s_cbranch_vccnz .LBB6_1816
; %bb.1795:                             ;   in Loop: Header=BB6_130 Depth=2
	v_dual_mov_b32 v8, 0 :: v_dual_mov_b32 v7, 0
	s_and_saveexec_b32 s11, s10
	s_cbranch_execz .LBB6_1805
; %bb.1796:                             ;   in Loop: Header=BB6_130 Depth=2
	v_bfrev_b32_e32 v7, 1
	s_mov_b32 s15, exec_lo
	v_cmpx_ne_u16_e32 0x80, v1
	s_cbranch_execz .LBB6_1804
; %bb.1797:                             ;   in Loop: Header=BB6_130 Depth=2
	v_and_b32_e32 v7, 0x7c0000, v34
	v_bfe_u32 v9, v34, 16, 2
	s_delay_alu instid0(VALU_DEP_2) | instskip(SKIP_1) | instid1(SALU_CYCLE_1)
	v_cmp_ne_u32_e32 vcc_lo, 0x7c0000, v7
                                        ; implicit-def: $vgpr7
	s_and_saveexec_b32 s42, vcc_lo
	s_xor_b32 s42, exec_lo, s42
	s_cbranch_execz .LBB6_1801
; %bb.1798:                             ;   in Loop: Header=BB6_130 Depth=2
	v_bfe_u32 v7, v34, 18, 5
	s_mov_b32 s43, exec_lo
	s_delay_alu instid0(VALU_DEP_1)
	v_cmpx_eq_u32_e32 0, v7
; %bb.1799:                             ;   in Loop: Header=BB6_130 Depth=2
	v_clz_i32_u32_e32 v7, v9
	s_delay_alu instid0(VALU_DEP_1) | instskip(NEXT) | instid1(VALU_DEP_1)
	v_min_u32_e32 v7, 32, v7
	v_subrev_nc_u32_e32 v9, 29, v7
	s_delay_alu instid0(VALU_DEP_1) | instskip(NEXT) | instid1(VALU_DEP_1)
	v_lshlrev_b64_e32 v[80:81], v9, v[6:7]
	v_dual_sub_nc_u32 v7, 30, v7 :: v_dual_bitop2_b32 v9, 3, v80 bitop3:0x40
; %bb.1800:                             ;   in Loop: Header=BB6_130 Depth=2
	s_or_b32 exec_lo, exec_lo, s43
	v_lshlrev_b32_e32 v24, 24, v6
	s_delay_alu instid0(VALU_DEP_1) | instskip(NEXT) | instid1(VALU_DEP_1)
	v_and_b32_e32 v24, 0x80000000, v24
	v_lshl_add_u32 v7, v7, 23, v24
	s_delay_alu instid0(VALU_DEP_1) | instskip(NEXT) | instid1(VALU_DEP_1)
	v_lshl_or_b32 v7, v9, 21, v7
                                        ; implicit-def: $vgpr9
	v_add_nc_u32_e32 v7, 0x38000000, v7
.LBB6_1801:                             ;   in Loop: Header=BB6_130 Depth=2
	s_and_not1_saveexec_b32 s42, s42
; %bb.1802:                             ;   in Loop: Header=BB6_130 Depth=2
	v_bfe_i32 v7, v6, 0, 8
	s_delay_alu instid0(VALU_DEP_1) | instskip(SKIP_2) | instid1(VALU_DEP_2)
	v_cmp_lt_i16_e32 vcc_lo, -1, v7
	v_cndmask_b32_e32 v7, 0xff800000, v62, vcc_lo
	v_cmp_eq_u32_e32 vcc_lo, 0, v9
	v_cndmask_b32_e32 v7, 0x7f800001, v7, vcc_lo
; %bb.1803:                             ;   in Loop: Header=BB6_130 Depth=2
	s_or_b32 exec_lo, exec_lo, s42
.LBB6_1804:                             ;   in Loop: Header=BB6_130 Depth=2
	s_delay_alu instid0(SALU_CYCLE_1)
	s_or_b32 exec_lo, exec_lo, s15
.LBB6_1805:                             ;   in Loop: Header=BB6_130 Depth=2
	s_delay_alu instid0(SALU_CYCLE_1) | instskip(SKIP_2) | instid1(VALU_DEP_1)
	s_or_b32 exec_lo, exec_lo, s11
	v_and_b32_e32 v9, 0xff, v0
	s_mov_b32 s11, exec_lo
	v_cmpx_ne_u16_e32 0, v9
	s_cbranch_execz .LBB6_1815
; %bb.1806:                             ;   in Loop: Header=BB6_130 Depth=2
	v_bfrev_b32_e32 v8, 1
	s_mov_b32 s15, exec_lo
	v_cmpx_ne_u16_e32 0x80, v9
	s_cbranch_execz .LBB6_1814
; %bb.1807:                             ;   in Loop: Header=BB6_130 Depth=2
	v_and_b32_e32 v8, 0x7c0000, v28
	v_bfe_u32 v9, v28, 16, 2
	s_delay_alu instid0(VALU_DEP_2) | instskip(SKIP_1) | instid1(SALU_CYCLE_1)
	v_cmp_ne_u32_e32 vcc_lo, 0x7c0000, v8
                                        ; implicit-def: $vgpr8
	s_and_saveexec_b32 s42, vcc_lo
	s_xor_b32 s42, exec_lo, s42
	s_cbranch_execz .LBB6_1811
; %bb.1808:                             ;   in Loop: Header=BB6_130 Depth=2
	v_bfe_u32 v8, v28, 18, 5
	s_mov_b32 s43, exec_lo
	s_delay_alu instid0(VALU_DEP_1)
	v_cmpx_eq_u32_e32 0, v8
; %bb.1809:                             ;   in Loop: Header=BB6_130 Depth=2
	v_clz_i32_u32_e32 v8, v9
	s_delay_alu instid0(VALU_DEP_1) | instskip(NEXT) | instid1(VALU_DEP_1)
	v_min_u32_e32 v8, 32, v8
	v_subrev_nc_u32_e32 v9, 29, v8
	v_sub_nc_u32_e32 v8, 30, v8
	s_delay_alu instid0(VALU_DEP_2) | instskip(NEXT) | instid1(VALU_DEP_1)
	v_lshlrev_b64_e32 v[80:81], v9, v[0:1]
	v_and_b32_e32 v9, 3, v80
; %bb.1810:                             ;   in Loop: Header=BB6_130 Depth=2
	s_or_b32 exec_lo, exec_lo, s43
	v_lshlrev_b32_e32 v24, 24, v0
	s_delay_alu instid0(VALU_DEP_1) | instskip(NEXT) | instid1(VALU_DEP_1)
	v_and_b32_e32 v24, 0x80000000, v24
	v_lshl_add_u32 v8, v8, 23, v24
	s_delay_alu instid0(VALU_DEP_1) | instskip(NEXT) | instid1(VALU_DEP_1)
	v_lshl_or_b32 v8, v9, 21, v8
                                        ; implicit-def: $vgpr9
	v_add_nc_u32_e32 v8, 0x38000000, v8
.LBB6_1811:                             ;   in Loop: Header=BB6_130 Depth=2
	s_and_not1_saveexec_b32 s42, s42
; %bb.1812:                             ;   in Loop: Header=BB6_130 Depth=2
	v_bfe_i32 v8, v0, 0, 8
	s_delay_alu instid0(VALU_DEP_1) | instskip(SKIP_2) | instid1(VALU_DEP_2)
	v_cmp_lt_i16_e32 vcc_lo, -1, v8
	v_cndmask_b32_e32 v8, 0xff800000, v62, vcc_lo
	v_cmp_eq_u32_e32 vcc_lo, 0, v9
	v_cndmask_b32_e32 v8, 0x7f800001, v8, vcc_lo
; %bb.1813:                             ;   in Loop: Header=BB6_130 Depth=2
	s_or_b32 exec_lo, exec_lo, s42
.LBB6_1814:                             ;   in Loop: Header=BB6_130 Depth=2
	s_delay_alu instid0(SALU_CYCLE_1)
	s_or_b32 exec_lo, exec_lo, s15
.LBB6_1815:                             ;   in Loop: Header=BB6_130 Depth=2
	s_delay_alu instid0(SALU_CYCLE_1) | instskip(NEXT) | instid1(VALU_DEP_1)
	s_or_b32 exec_lo, exec_lo, s11
	v_dual_max_num_f32 v8, v8, v8 :: v_dual_max_num_f32 v7, v7, v7
	s_mov_b32 s11, 0
	s_delay_alu instid0(VALU_DEP_1)
	v_max_num_f32_e32 v7, v7, v8
.LBB6_1816:                             ;   in Loop: Header=BB6_130 Depth=2
	s_and_b32 vcc_lo, exec_lo, s11
	s_cbranch_vccz .LBB6_1838
; %bb.1817:                             ;   in Loop: Header=BB6_130 Depth=2
	v_dual_mov_b32 v8, 0 :: v_dual_mov_b32 v7, 0
	s_and_saveexec_b32 s11, s10
	s_cbranch_execz .LBB6_1827
; %bb.1818:                             ;   in Loop: Header=BB6_130 Depth=2
	v_bfrev_b32_e32 v7, 1
	s_mov_b32 s10, exec_lo
	v_cmpx_ne_u16_e32 0x80, v1
	s_cbranch_execz .LBB6_1826
; %bb.1819:                             ;   in Loop: Header=BB6_130 Depth=2
	v_and_b32_e32 v7, 0x7c0000, v34
	v_bfe_u32 v1, v34, 16, 2
	s_delay_alu instid0(VALU_DEP_2) | instskip(SKIP_1) | instid1(SALU_CYCLE_1)
	v_cmp_ne_u32_e32 vcc_lo, 0x7c0000, v7
                                        ; implicit-def: $vgpr7
	s_and_saveexec_b32 s15, vcc_lo
	s_xor_b32 s15, exec_lo, s15
	s_cbranch_execz .LBB6_1823
; %bb.1820:                             ;   in Loop: Header=BB6_130 Depth=2
	v_bfe_u32 v7, v34, 18, 5
	s_mov_b32 s42, exec_lo
	s_delay_alu instid0(VALU_DEP_1)
	v_cmpx_eq_u32_e32 0, v7
; %bb.1821:                             ;   in Loop: Header=BB6_130 Depth=2
	v_clz_i32_u32_e32 v1, v1
	s_delay_alu instid0(VALU_DEP_1) | instskip(NEXT) | instid1(VALU_DEP_1)
	v_min_u32_e32 v1, 32, v1
	v_subrev_nc_u32_e32 v7, 29, v1
	s_delay_alu instid0(VALU_DEP_1) | instskip(NEXT) | instid1(VALU_DEP_1)
	v_lshlrev_b64_e32 v[80:81], v7, v[6:7]
	v_dual_sub_nc_u32 v7, 30, v1 :: v_dual_bitop2_b32 v1, 3, v80 bitop3:0x40
; %bb.1822:                             ;   in Loop: Header=BB6_130 Depth=2
	s_or_b32 exec_lo, exec_lo, s42
	v_lshlrev_b32_e32 v6, 24, v6
	s_delay_alu instid0(VALU_DEP_1) | instskip(NEXT) | instid1(VALU_DEP_1)
	v_and_b32_e32 v6, 0x80000000, v6
	v_lshl_add_u32 v6, v7, 23, v6
	s_delay_alu instid0(VALU_DEP_1) | instskip(NEXT) | instid1(VALU_DEP_1)
	v_lshl_or_b32 v1, v1, 21, v6
                                        ; implicit-def: $vgpr6
	v_add_nc_u32_e32 v7, 0x38000000, v1
                                        ; implicit-def: $vgpr1
.LBB6_1823:                             ;   in Loop: Header=BB6_130 Depth=2
	s_and_not1_saveexec_b32 s15, s15
; %bb.1824:                             ;   in Loop: Header=BB6_130 Depth=2
	v_bfe_i32 v6, v6, 0, 8
	s_delay_alu instid0(VALU_DEP_1) | instskip(SKIP_2) | instid1(VALU_DEP_2)
	v_cmp_lt_i16_e32 vcc_lo, -1, v6
	v_cndmask_b32_e32 v6, 0xff800000, v62, vcc_lo
	v_cmp_eq_u32_e32 vcc_lo, 0, v1
	v_cndmask_b32_e32 v7, 0x7f800001, v6, vcc_lo
; %bb.1825:                             ;   in Loop: Header=BB6_130 Depth=2
	s_or_b32 exec_lo, exec_lo, s15
.LBB6_1826:                             ;   in Loop: Header=BB6_130 Depth=2
	s_delay_alu instid0(SALU_CYCLE_1)
	s_or_b32 exec_lo, exec_lo, s10
.LBB6_1827:                             ;   in Loop: Header=BB6_130 Depth=2
	s_delay_alu instid0(SALU_CYCLE_1) | instskip(SKIP_2) | instid1(VALU_DEP_1)
	s_or_b32 exec_lo, exec_lo, s11
	v_and_b32_e32 v1, 0xff, v0
	s_mov_b32 s10, exec_lo
	v_cmpx_ne_u16_e32 0, v1
	s_cbranch_execz .LBB6_1837
; %bb.1828:                             ;   in Loop: Header=BB6_130 Depth=2
	v_bfrev_b32_e32 v8, 1
	s_mov_b32 s11, exec_lo
	v_cmpx_ne_u16_e32 0x80, v1
	s_cbranch_execz .LBB6_1836
; %bb.1829:                             ;   in Loop: Header=BB6_130 Depth=2
	v_and_b32_e32 v6, 0x7c0000, v28
	v_bfe_u32 v1, v28, 16, 2
	s_mov_b32 s15, exec_lo
                                        ; implicit-def: $vgpr8
	s_delay_alu instid0(VALU_DEP_2)
	v_cmpx_ne_u32_e32 0x7c0000, v6
	s_xor_b32 s15, exec_lo, s15
	s_cbranch_execz .LBB6_1833
; %bb.1830:                             ;   in Loop: Header=BB6_130 Depth=2
	v_bfe_u32 v6, v28, 18, 5
	s_mov_b32 s42, exec_lo
	s_delay_alu instid0(VALU_DEP_1)
	v_cmpx_eq_u32_e32 0, v6
; %bb.1831:                             ;   in Loop: Header=BB6_130 Depth=2
	v_clz_i32_u32_e32 v1, v1
	s_delay_alu instid0(VALU_DEP_1) | instskip(NEXT) | instid1(VALU_DEP_1)
	v_min_u32_e32 v1, 32, v1
	v_subrev_nc_u32_e32 v6, 29, v1
	s_delay_alu instid0(VALU_DEP_1) | instskip(NEXT) | instid1(VALU_DEP_1)
	v_lshlrev_b64_e32 v[8:9], v6, v[0:1]
	v_dual_sub_nc_u32 v6, 30, v1 :: v_dual_bitop2_b32 v1, 3, v8 bitop3:0x40
; %bb.1832:                             ;   in Loop: Header=BB6_130 Depth=2
	s_or_b32 exec_lo, exec_lo, s42
	v_lshlrev_b32_e32 v0, 24, v0
	s_delay_alu instid0(VALU_DEP_1) | instskip(NEXT) | instid1(VALU_DEP_1)
	v_and_b32_e32 v0, 0x80000000, v0
	v_lshl_add_u32 v0, v6, 23, v0
	s_delay_alu instid0(VALU_DEP_1) | instskip(NEXT) | instid1(VALU_DEP_1)
	v_lshl_or_b32 v0, v1, 21, v0
                                        ; implicit-def: $vgpr1
	v_add_nc_u32_e32 v8, 0x38000000, v0
                                        ; implicit-def: $vgpr0
.LBB6_1833:                             ;   in Loop: Header=BB6_130 Depth=2
	s_and_not1_saveexec_b32 s15, s15
; %bb.1834:                             ;   in Loop: Header=BB6_130 Depth=2
	v_bfe_i32 v0, v0, 0, 8
	s_delay_alu instid0(VALU_DEP_1) | instskip(SKIP_2) | instid1(VALU_DEP_2)
	v_cmp_lt_i16_e32 vcc_lo, -1, v0
	v_cndmask_b32_e32 v0, 0xff800000, v62, vcc_lo
	v_cmp_eq_u32_e32 vcc_lo, 0, v1
	v_cndmask_b32_e32 v8, 0x7f800001, v0, vcc_lo
; %bb.1835:                             ;   in Loop: Header=BB6_130 Depth=2
	s_or_b32 exec_lo, exec_lo, s15
.LBB6_1836:                             ;   in Loop: Header=BB6_130 Depth=2
	s_delay_alu instid0(SALU_CYCLE_1)
	s_or_b32 exec_lo, exec_lo, s11
.LBB6_1837:                             ;   in Loop: Header=BB6_130 Depth=2
	s_delay_alu instid0(SALU_CYCLE_1) | instskip(NEXT) | instid1(VALU_DEP_1)
	s_or_b32 exec_lo, exec_lo, s10
	v_dual_max_num_f32 v0, v8, v8 :: v_dual_max_num_f32 v1, v7, v7
	s_delay_alu instid0(VALU_DEP_1)
	v_min_num_f32_e32 v7, v1, v0
.LBB6_1838:                             ;   in Loop: Header=BB6_130 Depth=2
	s_delay_alu instid0(VALU_DEP_1) | instskip(SKIP_2) | instid1(VALU_DEP_2)
	v_and_b32_e32 v0, 0x7f800000, v7
	v_mov_b32_e32 v1, v25
	v_and_b32_e32 v24, 0x7fffff, v7
                                        ; implicit-def: $vgpr33
	v_cmp_ne_u64_e32 vcc_lo, 0x7f800000, v[0:1]
	v_lshrrev_b32_e32 v0, 24, v7
	s_and_saveexec_b32 s10, vcc_lo
	s_delay_alu instid0(SALU_CYCLE_1)
	s_xor_b32 s11, exec_lo, s10
	s_cbranch_execz .LBB6_1852
; %bb.1839:                             ;   in Loop: Header=BB6_130 Depth=2
	v_and_b32_e32 v8, 0x7fffffff, v7
	v_mov_b32_e32 v9, v25
                                        ; implicit-def: $vgpr33
	s_delay_alu instid0(VALU_DEP_1) | instskip(SKIP_2) | instid1(SALU_CYCLE_1)
	v_cmp_gt_u64_e32 vcc_lo, 0x47600001, v[8:9]
	v_and_b32_e32 v8, 0x80, v0
	s_and_saveexec_b32 s10, vcc_lo
	s_xor_b32 s15, exec_lo, s10
	s_cbranch_execz .LBB6_1849
; %bb.1840:                             ;   in Loop: Header=BB6_130 Depth=2
	v_mov_b32_e32 v33, 0
	s_mov_b32 s42, exec_lo
	v_cmpx_ne_u32_e32 0, v7
	s_cbranch_execz .LBB6_1848
; %bb.1841:                             ;   in Loop: Header=BB6_130 Depth=2
	v_bfe_u32 v9, v7, 23, 8
	v_or_b32_e32 v6, 0x800000, v24
	s_delay_alu instid0(VALU_DEP_2) | instskip(SKIP_1) | instid1(VALU_DEP_2)
	v_sub_nc_u32_e32 v0, 0x71, v9
	v_cmp_gt_u32_e32 vcc_lo, 0x72, v9
	v_cndmask_b32_e32 v0, 0, v0, vcc_lo
	v_cmp_eq_u32_e32 vcc_lo, 0, v9
	s_delay_alu instid0(VALU_DEP_2) | instskip(NEXT) | instid1(VALU_DEP_1)
	v_cndmask_b32_e64 v33, v0, 0x70, vcc_lo
	v_dual_cndmask_b32 v24, v6, v24, vcc_lo :: v_dual_add_nc_u32 v0, 21, v33
	v_add_nc_u32_e32 v7, 20, v33
	s_delay_alu instid0(VALU_DEP_2) | instskip(NEXT) | instid1(VALU_DEP_2)
	v_lshlrev_b64_e64 v[0:1], v0, -1
	v_lshlrev_b64_e64 v[6:7], v7, 1
	s_delay_alu instid0(VALU_DEP_2) | instskip(NEXT) | instid1(VALU_DEP_3)
	v_bfi_b32 v81, v1, 0, 0
	v_bfi_b32 v80, v0, 0, v24
	v_lshrrev_b64 v[0:1], v33, v[24:25]
	s_delay_alu instid0(VALU_DEP_2) | instskip(NEXT) | instid1(VALU_DEP_2)
	v_cmp_eq_u64_e64 s10, v[80:81], v[6:7]
	v_mov_b64_e32 v[6:7], v[0:1]
	s_and_saveexec_b32 s43, s10
; %bb.1842:                             ;   in Loop: Header=BB6_130 Depth=2
	v_bfe_u32 v24, v0, 21, 1
	s_delay_alu instid0(VALU_DEP_1) | instskip(NEXT) | instid1(VALU_DEP_1)
	v_add_nc_u64_e32 v[6:7], v[0:1], v[24:25]
	v_add_nc_u64_e32 v[6:7], -1, v[6:7]
; %bb.1843:                             ;   in Loop: Header=BB6_130 Depth=2
	s_or_b32 exec_lo, exec_lo, s43
	v_add_nc_u32_e32 v1, 0xffffff81, v9
	v_lshrrev_b32_e32 v7, 23, v0
	s_mov_b32 s10, exec_lo
	s_delay_alu instid0(VALU_DEP_2) | instskip(NEXT) | instid1(VALU_DEP_1)
	v_cndmask_b32_e64 v1, v1, 0xffffff82, vcc_lo
	v_add3_u32 v7, v33, v1, v7
	v_and_b32_e32 v1, 0x1fffff, v6
                                        ; implicit-def: $vgpr6
	s_delay_alu instid0(VALU_DEP_1) | instskip(NEXT) | instid1(VALU_DEP_1)
	v_dual_add_nc_u32 v9, 14, v7 :: v_dual_add_nc_u32 v24, v1, v0
                                        ; implicit-def: $vgpr0_vgpr1
	v_cmpx_ne_u32_e32 0, v9
	s_xor_b32 s10, exec_lo, s10
; %bb.1844:                             ;   in Loop: Header=BB6_130 Depth=2
	s_delay_alu instid0(VALU_DEP_2) | instskip(SKIP_1) | instid1(VALU_DEP_1)
	v_cmp_lt_u64_e32 vcc_lo, 0xffffff, v[24:25]
	v_add_nc_u32_e32 v0, 15, v7
	v_cndmask_b32_e32 v6, v9, v0, vcc_lo
	v_cndmask_b32_e64 v0, 0, 1, vcc_lo
	s_delay_alu instid0(VALU_DEP_1)
	v_lshrrev_b64 v[0:1], v0, v[24:25]
; %bb.1845:                             ;   in Loop: Header=BB6_130 Depth=2
	s_and_not1_saveexec_b32 s10, s10
; %bb.1846:                             ;   in Loop: Header=BB6_130 Depth=2
	v_mov_b64_e32 v[0:1], v[24:25]
	v_bfe_u32 v6, v24, 23, 1
; %bb.1847:                             ;   in Loop: Header=BB6_130 Depth=2
	s_or_b32 exec_lo, exec_lo, s10
	s_delay_alu instid0(VALU_DEP_2) | instskip(NEXT) | instid1(VALU_DEP_2)
	v_lshrrev_b64 v[0:1], 21, v[0:1]
	v_cmp_gt_i32_e32 vcc_lo, 32, v6
	v_min_i32_e32 v7, 31, v6
	v_cmp_eq_u32_e64 s10, 0, v6
	s_delay_alu instid0(VALU_DEP_2) | instskip(SKIP_1) | instid1(VALU_DEP_2)
	v_dual_cndmask_b32 v1, 0, v1, vcc_lo :: v_dual_lshlrev_b32 v7, 2, v7
	v_cndmask_b32_e32 v0, 3, v0, vcc_lo
	v_and_b32_e32 v7, 0xfc, v7
	s_delay_alu instid0(VALU_DEP_2) | instskip(NEXT) | instid1(VALU_DEP_2)
	v_cmp_eq_u64_e32 vcc_lo, 0, v[0:1]
	v_and_or_b32 v0, v0, 3, v7
	s_and_b32 s10, s10, vcc_lo
	s_delay_alu instid0(VALU_DEP_1) | instid1(SALU_CYCLE_1)
	v_cndmask_b32_e64 v0, v0, 0, s10
	s_delay_alu instid0(VALU_DEP_1)
	v_or_b32_e32 v33, v0, v8
.LBB6_1848:                             ;   in Loop: Header=BB6_130 Depth=2
	s_or_b32 exec_lo, exec_lo, s42
                                        ; implicit-def: $vgpr8
.LBB6_1849:                             ;   in Loop: Header=BB6_130 Depth=2
	s_and_not1_saveexec_b32 s10, s15
; %bb.1850:                             ;   in Loop: Header=BB6_130 Depth=2
	v_or_b32_e32 v33, 0x7b, v8
; %bb.1851:                             ;   in Loop: Header=BB6_130 Depth=2
	s_or_b32 exec_lo, exec_lo, s10
                                        ; implicit-def: $vgpr7
                                        ; implicit-def: $vgpr0
.LBB6_1852:                             ;   in Loop: Header=BB6_130 Depth=2
	s_and_not1_saveexec_b32 s10, s11
	s_cbranch_execz .LBB6_1858
; %bb.1853:                             ;   in Loop: Header=BB6_130 Depth=2
	s_mov_b32 s11, exec_lo
                                        ; implicit-def: $vgpr33
	v_cmpx_ne_u64_e32 0, v[24:25]
	s_xor_b32 s11, exec_lo, s11
; %bb.1854:                             ;   in Loop: Header=BB6_130 Depth=2
	v_or_b32_e32 v33, 0x7f, v0
                                        ; implicit-def: $vgpr7
; %bb.1855:                             ;   in Loop: Header=BB6_130 Depth=2
	s_and_not1_saveexec_b32 s11, s11
; %bb.1856:                             ;   in Loop: Header=BB6_130 Depth=2
	v_cmp_lt_i32_e32 vcc_lo, -1, v7
	v_cndmask_b32_e32 v33, 0xfc, v93, vcc_lo
; %bb.1857:                             ;   in Loop: Header=BB6_130 Depth=2
	s_or_b32 exec_lo, exec_lo, s11
.LBB6_1858:                             ;   in Loop: Header=BB6_130 Depth=2
	s_delay_alu instid0(SALU_CYCLE_1)
	s_or_b32 exec_lo, exec_lo, s10
	v_dual_lshrrev_b32 v6, 24, v34 :: v_dual_lshrrev_b32 v0, 24, v28
	v_cmp_lt_u32_e64 s10, 0xffffff, v34
	s_and_not1_b32 vcc_lo, exec_lo, s14
	s_mov_b32 s11, -1
                                        ; implicit-def: $vgpr1
	s_cbranch_vccnz .LBB6_1880
; %bb.1859:                             ;   in Loop: Header=BB6_130 Depth=2
	v_dual_mov_b32 v7, 0 :: v_dual_mov_b32 v1, 0
	s_and_saveexec_b32 s11, s10
	s_cbranch_execz .LBB6_1869
; %bb.1860:                             ;   in Loop: Header=BB6_130 Depth=2
	v_bfrev_b32_e32 v1, 1
	s_mov_b32 s15, exec_lo
	v_cmpx_ne_u32_e32 0x80, v6
	s_cbranch_execz .LBB6_1868
; %bb.1861:                             ;   in Loop: Header=BB6_130 Depth=2
	v_and_b32_e32 v1, 0x7c000000, v34
	v_bfe_u32 v8, v34, 24, 2
	s_delay_alu instid0(VALU_DEP_2) | instskip(SKIP_1) | instid1(SALU_CYCLE_1)
	v_cmp_ne_u32_e32 vcc_lo, 0x7c000000, v1
                                        ; implicit-def: $vgpr1
	s_and_saveexec_b32 s42, vcc_lo
	s_xor_b32 s42, exec_lo, s42
	s_cbranch_execz .LBB6_1865
; %bb.1862:                             ;   in Loop: Header=BB6_130 Depth=2
	v_bfe_u32 v1, v34, 26, 5
	s_mov_b32 s43, exec_lo
	s_delay_alu instid0(VALU_DEP_1)
	v_cmpx_eq_u32_e32 0, v1
; %bb.1863:                             ;   in Loop: Header=BB6_130 Depth=2
	v_clz_i32_u32_e32 v1, v8
	s_delay_alu instid0(VALU_DEP_1) | instskip(NEXT) | instid1(VALU_DEP_1)
	v_min_u32_e32 v1, 32, v1
	v_subrev_nc_u32_e32 v8, 29, v1
	s_delay_alu instid0(VALU_DEP_1) | instskip(NEXT) | instid1(VALU_DEP_1)
	v_lshlrev_b64_e32 v[8:9], v8, v[6:7]
	v_dual_sub_nc_u32 v1, 30, v1 :: v_dual_bitop2_b32 v8, 3, v8 bitop3:0x40
; %bb.1864:                             ;   in Loop: Header=BB6_130 Depth=2
	s_or_b32 exec_lo, exec_lo, s43
	v_and_b32_e32 v9, 0x80000000, v34
	s_delay_alu instid0(VALU_DEP_1) | instskip(NEXT) | instid1(VALU_DEP_1)
	v_lshl_add_u32 v1, v1, 23, v9
	v_lshl_or_b32 v1, v8, 21, v1
                                        ; implicit-def: $vgpr8
	s_delay_alu instid0(VALU_DEP_1)
	v_add_nc_u32_e32 v1, 0x38000000, v1
.LBB6_1865:                             ;   in Loop: Header=BB6_130 Depth=2
	s_and_not1_saveexec_b32 s42, s42
; %bb.1866:                             ;   in Loop: Header=BB6_130 Depth=2
	v_cmp_lt_i32_e32 vcc_lo, -1, v34
	v_cndmask_b32_e32 v1, 0xff800000, v62, vcc_lo
	v_cmp_eq_u32_e32 vcc_lo, 0, v8
	s_delay_alu instid0(VALU_DEP_2)
	v_cndmask_b32_e32 v1, 0x7f800001, v1, vcc_lo
; %bb.1867:                             ;   in Loop: Header=BB6_130 Depth=2
	s_or_b32 exec_lo, exec_lo, s42
.LBB6_1868:                             ;   in Loop: Header=BB6_130 Depth=2
	s_delay_alu instid0(SALU_CYCLE_1)
	s_or_b32 exec_lo, exec_lo, s15
.LBB6_1869:                             ;   in Loop: Header=BB6_130 Depth=2
	s_delay_alu instid0(SALU_CYCLE_1) | instskip(NEXT) | instid1(SALU_CYCLE_1)
	s_or_b32 exec_lo, exec_lo, s11
	s_mov_b32 s11, exec_lo
	v_cmpx_lt_u32_e32 0xffffff, v28
	s_cbranch_execz .LBB6_1879
; %bb.1870:                             ;   in Loop: Header=BB6_130 Depth=2
	v_bfrev_b32_e32 v7, 1
	s_mov_b32 s15, exec_lo
	v_cmpx_ne_u32_e32 0x80, v0
	s_cbranch_execz .LBB6_1878
; %bb.1871:                             ;   in Loop: Header=BB6_130 Depth=2
	v_and_b32_e32 v7, 0x7c000000, v28
	v_bfe_u32 v8, v28, 24, 2
	s_delay_alu instid0(VALU_DEP_2) | instskip(SKIP_1) | instid1(SALU_CYCLE_1)
	v_cmp_ne_u32_e32 vcc_lo, 0x7c000000, v7
                                        ; implicit-def: $vgpr7
	s_and_saveexec_b32 s42, vcc_lo
	s_xor_b32 s42, exec_lo, s42
	s_cbranch_execz .LBB6_1875
; %bb.1872:                             ;   in Loop: Header=BB6_130 Depth=2
	v_bfe_u32 v7, v28, 26, 5
	s_mov_b32 s43, exec_lo
	s_delay_alu instid0(VALU_DEP_1)
	v_cmpx_eq_u32_e32 0, v7
; %bb.1873:                             ;   in Loop: Header=BB6_130 Depth=2
	v_clz_i32_u32_e32 v7, v8
	s_delay_alu instid0(VALU_DEP_1) | instskip(NEXT) | instid1(VALU_DEP_1)
	v_min_u32_e32 v7, 32, v7
	v_subrev_nc_u32_e32 v8, 29, v7
	s_delay_alu instid0(VALU_DEP_1) | instskip(NEXT) | instid1(VALU_DEP_1)
	v_lshlrev_b64_e32 v[8:9], v8, v[0:1]
	v_dual_sub_nc_u32 v7, 30, v7 :: v_dual_bitop2_b32 v8, 3, v8 bitop3:0x40
; %bb.1874:                             ;   in Loop: Header=BB6_130 Depth=2
	s_or_b32 exec_lo, exec_lo, s43
	v_and_b32_e32 v9, 0x80000000, v28
	s_delay_alu instid0(VALU_DEP_1) | instskip(NEXT) | instid1(VALU_DEP_1)
	v_lshl_add_u32 v7, v7, 23, v9
	v_lshl_or_b32 v7, v8, 21, v7
                                        ; implicit-def: $vgpr8
	s_delay_alu instid0(VALU_DEP_1)
	v_add_nc_u32_e32 v7, 0x38000000, v7
.LBB6_1875:                             ;   in Loop: Header=BB6_130 Depth=2
	s_and_not1_saveexec_b32 s42, s42
; %bb.1876:                             ;   in Loop: Header=BB6_130 Depth=2
	v_cmp_lt_i32_e32 vcc_lo, -1, v28
	v_cndmask_b32_e32 v7, 0xff800000, v62, vcc_lo
	v_cmp_eq_u32_e32 vcc_lo, 0, v8
	s_delay_alu instid0(VALU_DEP_2)
	v_cndmask_b32_e32 v7, 0x7f800001, v7, vcc_lo
; %bb.1877:                             ;   in Loop: Header=BB6_130 Depth=2
	s_or_b32 exec_lo, exec_lo, s42
.LBB6_1878:                             ;   in Loop: Header=BB6_130 Depth=2
	s_delay_alu instid0(SALU_CYCLE_1)
	s_or_b32 exec_lo, exec_lo, s15
.LBB6_1879:                             ;   in Loop: Header=BB6_130 Depth=2
	s_delay_alu instid0(SALU_CYCLE_1) | instskip(NEXT) | instid1(VALU_DEP_1)
	s_or_b32 exec_lo, exec_lo, s11
	v_dual_max_num_f32 v7, v7, v7 :: v_dual_max_num_f32 v1, v1, v1
	s_mov_b32 s11, 0
	s_delay_alu instid0(VALU_DEP_1)
	v_max_num_f32_e32 v1, v1, v7
.LBB6_1880:                             ;   in Loop: Header=BB6_130 Depth=2
	s_and_b32 vcc_lo, exec_lo, s11
	s_cbranch_vccz .LBB6_1902
; %bb.1881:                             ;   in Loop: Header=BB6_130 Depth=2
	v_dual_mov_b32 v7, 0 :: v_dual_mov_b32 v1, 0
	s_and_saveexec_b32 s11, s10
	s_cbranch_execz .LBB6_1891
; %bb.1882:                             ;   in Loop: Header=BB6_130 Depth=2
	v_bfrev_b32_e32 v1, 1
	s_mov_b32 s10, exec_lo
	v_cmpx_ne_u32_e32 0x80, v6
	s_cbranch_execz .LBB6_1890
; %bb.1883:                             ;   in Loop: Header=BB6_130 Depth=2
	v_and_b32_e32 v1, 0x7c000000, v34
	v_bfe_u32 v8, v34, 24, 2
	s_delay_alu instid0(VALU_DEP_2) | instskip(SKIP_1) | instid1(SALU_CYCLE_1)
	v_cmp_ne_u32_e32 vcc_lo, 0x7c000000, v1
                                        ; implicit-def: $vgpr1
	s_and_saveexec_b32 s15, vcc_lo
	s_xor_b32 s15, exec_lo, s15
	s_cbranch_execz .LBB6_1887
; %bb.1884:                             ;   in Loop: Header=BB6_130 Depth=2
	v_bfe_u32 v1, v34, 26, 5
	s_mov_b32 s42, exec_lo
	s_delay_alu instid0(VALU_DEP_1)
	v_cmpx_eq_u32_e32 0, v1
; %bb.1885:                             ;   in Loop: Header=BB6_130 Depth=2
	v_clz_i32_u32_e32 v1, v8
	s_delay_alu instid0(VALU_DEP_1) | instskip(NEXT) | instid1(VALU_DEP_1)
	v_min_u32_e32 v1, 32, v1
	v_subrev_nc_u32_e32 v8, 29, v1
	s_delay_alu instid0(VALU_DEP_1) | instskip(NEXT) | instid1(VALU_DEP_1)
	v_lshlrev_b64_e32 v[8:9], v8, v[6:7]
	v_dual_sub_nc_u32 v1, 30, v1 :: v_dual_bitop2_b32 v8, 3, v8 bitop3:0x40
; %bb.1886:                             ;   in Loop: Header=BB6_130 Depth=2
	s_or_b32 exec_lo, exec_lo, s42
	v_and_b32_e32 v6, 0x80000000, v34
	s_delay_alu instid0(VALU_DEP_1) | instskip(NEXT) | instid1(VALU_DEP_1)
	v_lshl_add_u32 v1, v1, 23, v6
	v_lshl_or_b32 v1, v8, 21, v1
                                        ; implicit-def: $vgpr8
	s_delay_alu instid0(VALU_DEP_1)
	v_add_nc_u32_e32 v1, 0x38000000, v1
.LBB6_1887:                             ;   in Loop: Header=BB6_130 Depth=2
	s_and_not1_saveexec_b32 s15, s15
; %bb.1888:                             ;   in Loop: Header=BB6_130 Depth=2
	v_cmp_lt_i32_e32 vcc_lo, -1, v34
	v_cndmask_b32_e32 v1, 0xff800000, v62, vcc_lo
	v_cmp_eq_u32_e32 vcc_lo, 0, v8
	s_delay_alu instid0(VALU_DEP_2)
	v_cndmask_b32_e32 v1, 0x7f800001, v1, vcc_lo
; %bb.1889:                             ;   in Loop: Header=BB6_130 Depth=2
	s_or_b32 exec_lo, exec_lo, s15
.LBB6_1890:                             ;   in Loop: Header=BB6_130 Depth=2
	s_delay_alu instid0(SALU_CYCLE_1)
	s_or_b32 exec_lo, exec_lo, s10
.LBB6_1891:                             ;   in Loop: Header=BB6_130 Depth=2
	s_delay_alu instid0(SALU_CYCLE_1) | instskip(NEXT) | instid1(SALU_CYCLE_1)
	s_or_b32 exec_lo, exec_lo, s11
	s_mov_b32 s10, exec_lo
	v_cmpx_lt_u32_e32 0xffffff, v28
	s_cbranch_execz .LBB6_1901
; %bb.1892:                             ;   in Loop: Header=BB6_130 Depth=2
	v_bfrev_b32_e32 v7, 1
	s_mov_b32 s11, exec_lo
	v_cmpx_ne_u32_e32 0x80, v0
	s_cbranch_execz .LBB6_1900
; %bb.1893:                             ;   in Loop: Header=BB6_130 Depth=2
	v_and_b32_e32 v7, 0x7c000000, v28
	v_bfe_u32 v6, v28, 24, 2
	s_delay_alu instid0(VALU_DEP_2) | instskip(SKIP_1) | instid1(SALU_CYCLE_1)
	v_cmp_ne_u32_e32 vcc_lo, 0x7c000000, v7
                                        ; implicit-def: $vgpr7
	s_and_saveexec_b32 s15, vcc_lo
	s_xor_b32 s15, exec_lo, s15
	s_cbranch_execz .LBB6_1897
; %bb.1894:                             ;   in Loop: Header=BB6_130 Depth=2
	v_bfe_u32 v7, v28, 26, 5
	s_mov_b32 s42, exec_lo
	s_delay_alu instid0(VALU_DEP_1)
	v_cmpx_eq_u32_e32 0, v7
; %bb.1895:                             ;   in Loop: Header=BB6_130 Depth=2
	v_clz_i32_u32_e32 v6, v6
	s_delay_alu instid0(VALU_DEP_1) | instskip(NEXT) | instid1(VALU_DEP_1)
	v_min_u32_e32 v8, 32, v6
	v_subrev_nc_u32_e32 v6, 29, v8
	s_delay_alu instid0(VALU_DEP_1) | instskip(NEXT) | instid1(VALU_DEP_1)
	v_lshlrev_b64_e32 v[6:7], v6, v[0:1]
	v_dual_sub_nc_u32 v7, 30, v8 :: v_dual_bitop2_b32 v6, 3, v6 bitop3:0x40
; %bb.1896:                             ;   in Loop: Header=BB6_130 Depth=2
	s_or_b32 exec_lo, exec_lo, s42
	v_and_b32_e32 v0, 0x80000000, v28
	s_delay_alu instid0(VALU_DEP_1) | instskip(NEXT) | instid1(VALU_DEP_1)
	v_lshl_add_u32 v0, v7, 23, v0
	v_lshl_or_b32 v0, v6, 21, v0
                                        ; implicit-def: $vgpr6
	s_delay_alu instid0(VALU_DEP_1)
	v_add_nc_u32_e32 v7, 0x38000000, v0
.LBB6_1897:                             ;   in Loop: Header=BB6_130 Depth=2
	s_and_not1_saveexec_b32 s15, s15
; %bb.1898:                             ;   in Loop: Header=BB6_130 Depth=2
	v_cmp_lt_i32_e32 vcc_lo, -1, v28
	v_cndmask_b32_e32 v0, 0xff800000, v62, vcc_lo
	v_cmp_eq_u32_e32 vcc_lo, 0, v6
	s_delay_alu instid0(VALU_DEP_2)
	v_cndmask_b32_e32 v7, 0x7f800001, v0, vcc_lo
; %bb.1899:                             ;   in Loop: Header=BB6_130 Depth=2
	s_or_b32 exec_lo, exec_lo, s15
.LBB6_1900:                             ;   in Loop: Header=BB6_130 Depth=2
	s_delay_alu instid0(SALU_CYCLE_1)
	s_or_b32 exec_lo, exec_lo, s11
.LBB6_1901:                             ;   in Loop: Header=BB6_130 Depth=2
	s_delay_alu instid0(SALU_CYCLE_1) | instskip(NEXT) | instid1(VALU_DEP_1)
	s_or_b32 exec_lo, exec_lo, s10
	v_dual_max_num_f32 v0, v7, v7 :: v_dual_max_num_f32 v1, v1, v1
	s_delay_alu instid0(VALU_DEP_1)
	v_min_num_f32_e32 v1, v1, v0
.LBB6_1902:                             ;   in Loop: Header=BB6_130 Depth=2
	s_delay_alu instid0(VALU_DEP_1) | instskip(SKIP_3) | instid1(VALU_DEP_2)
	v_and_b32_e32 v6, 0x7f800000, v1
	v_dual_mov_b32 v7, v25 :: v_dual_lshrrev_b32 v0, 24, v1
	v_and_b32_e32 v24, 0x7fffff, v1
                                        ; implicit-def: $vgpr80
	s_mov_b32 s10, exec_lo
	v_cmpx_ne_u64_e32 0x7f800000, v[6:7]
	s_xor_b32 s11, exec_lo, s10
	s_cbranch_execz .LBB6_1916
; %bb.1903:                             ;   in Loop: Header=BB6_130 Depth=2
	v_and_b32_e32 v6, 0x7fffffff, v1
	v_mov_b32_e32 v7, v25
	v_and_b32_e32 v8, 0x80, v0
                                        ; implicit-def: $vgpr80
	s_mov_b32 s10, exec_lo
	s_delay_alu instid0(VALU_DEP_2)
	v_cmpx_gt_u64_e32 0x47600001, v[6:7]
	s_xor_b32 s15, exec_lo, s10
	s_cbranch_execz .LBB6_1913
; %bb.1904:                             ;   in Loop: Header=BB6_130 Depth=2
	v_mov_b32_e32 v80, 0
	s_mov_b32 s42, exec_lo
	v_cmpx_ne_u32_e32 0, v1
	s_cbranch_execz .LBB6_1912
; %bb.1905:                             ;   in Loop: Header=BB6_130 Depth=2
	v_bfe_u32 v9, v1, 23, 8
	v_or_b32_e32 v6, 0x800000, v24
	s_delay_alu instid0(VALU_DEP_2) | instskip(SKIP_1) | instid1(VALU_DEP_2)
	v_sub_nc_u32_e32 v0, 0x71, v9
	v_cmp_gt_u32_e32 vcc_lo, 0x72, v9
	v_cndmask_b32_e32 v0, 0, v0, vcc_lo
	v_cmp_eq_u32_e32 vcc_lo, 0, v9
	s_delay_alu instid0(VALU_DEP_2) | instskip(SKIP_1) | instid1(VALU_DEP_2)
	v_cndmask_b32_e64 v80, v0, 0x70, vcc_lo
	v_cndmask_b32_e32 v24, v6, v24, vcc_lo
	v_dual_add_nc_u32 v0, 21, v80 :: v_dual_add_nc_u32 v7, 20, v80
	s_delay_alu instid0(VALU_DEP_1) | instskip(NEXT) | instid1(VALU_DEP_2)
	v_lshlrev_b64_e64 v[0:1], v0, -1
	v_lshlrev_b64_e64 v[6:7], v7, 1
	s_delay_alu instid0(VALU_DEP_2) | instskip(NEXT) | instid1(VALU_DEP_3)
	v_bfi_b32 v83, v1, 0, 0
	v_bfi_b32 v82, v0, 0, v24
	v_lshrrev_b64 v[0:1], v80, v[24:25]
	s_delay_alu instid0(VALU_DEP_2) | instskip(NEXT) | instid1(VALU_DEP_2)
	v_cmp_eq_u64_e64 s10, v[82:83], v[6:7]
	v_mov_b64_e32 v[6:7], v[0:1]
	s_and_saveexec_b32 s43, s10
; %bb.1906:                             ;   in Loop: Header=BB6_130 Depth=2
	v_bfe_u32 v24, v0, 21, 1
	s_delay_alu instid0(VALU_DEP_1) | instskip(NEXT) | instid1(VALU_DEP_1)
	v_add_nc_u64_e32 v[6:7], v[0:1], v[24:25]
	v_add_nc_u64_e32 v[6:7], -1, v[6:7]
; %bb.1907:                             ;   in Loop: Header=BB6_130 Depth=2
	s_or_b32 exec_lo, exec_lo, s43
	v_add_nc_u32_e32 v1, 0xffffff81, v9
	v_lshrrev_b32_e32 v7, 23, v0
	s_mov_b32 s10, exec_lo
	s_delay_alu instid0(VALU_DEP_2) | instskip(NEXT) | instid1(VALU_DEP_1)
	v_cndmask_b32_e64 v1, v1, 0xffffff82, vcc_lo
	v_add3_u32 v7, v80, v1, v7
	v_and_b32_e32 v1, 0x1fffff, v6
                                        ; implicit-def: $vgpr6
	s_delay_alu instid0(VALU_DEP_1) | instskip(NEXT) | instid1(VALU_DEP_1)
	v_dual_add_nc_u32 v9, 14, v7 :: v_dual_add_nc_u32 v24, v1, v0
                                        ; implicit-def: $vgpr0_vgpr1
	v_cmpx_ne_u32_e32 0, v9
	s_xor_b32 s10, exec_lo, s10
; %bb.1908:                             ;   in Loop: Header=BB6_130 Depth=2
	s_delay_alu instid0(VALU_DEP_2) | instskip(SKIP_1) | instid1(VALU_DEP_1)
	v_cmp_lt_u64_e32 vcc_lo, 0xffffff, v[24:25]
	v_add_nc_u32_e32 v0, 15, v7
	v_cndmask_b32_e32 v6, v9, v0, vcc_lo
	v_cndmask_b32_e64 v0, 0, 1, vcc_lo
	s_delay_alu instid0(VALU_DEP_1)
	v_lshrrev_b64 v[0:1], v0, v[24:25]
; %bb.1909:                             ;   in Loop: Header=BB6_130 Depth=2
	s_and_not1_saveexec_b32 s10, s10
; %bb.1910:                             ;   in Loop: Header=BB6_130 Depth=2
	v_mov_b64_e32 v[0:1], v[24:25]
	v_bfe_u32 v6, v24, 23, 1
; %bb.1911:                             ;   in Loop: Header=BB6_130 Depth=2
	s_or_b32 exec_lo, exec_lo, s10
	s_delay_alu instid0(VALU_DEP_2) | instskip(NEXT) | instid1(VALU_DEP_2)
	v_lshrrev_b64 v[0:1], 21, v[0:1]
	v_cmp_gt_i32_e32 vcc_lo, 32, v6
	v_min_i32_e32 v7, 31, v6
	v_cmp_eq_u32_e64 s10, 0, v6
	s_delay_alu instid0(VALU_DEP_2) | instskip(SKIP_1) | instid1(VALU_DEP_2)
	v_dual_cndmask_b32 v1, 0, v1, vcc_lo :: v_dual_lshlrev_b32 v7, 2, v7
	v_cndmask_b32_e32 v0, 3, v0, vcc_lo
	v_and_b32_e32 v7, 0xfc, v7
	s_delay_alu instid0(VALU_DEP_2) | instskip(NEXT) | instid1(VALU_DEP_2)
	v_cmp_eq_u64_e32 vcc_lo, 0, v[0:1]
	v_and_or_b32 v0, v0, 3, v7
	s_and_b32 s10, s10, vcc_lo
	s_delay_alu instid0(VALU_DEP_1) | instid1(SALU_CYCLE_1)
	v_cndmask_b32_e64 v0, v0, 0, s10
	s_delay_alu instid0(VALU_DEP_1)
	v_or_b32_e32 v80, v0, v8
.LBB6_1912:                             ;   in Loop: Header=BB6_130 Depth=2
	s_or_b32 exec_lo, exec_lo, s42
                                        ; implicit-def: $vgpr8
.LBB6_1913:                             ;   in Loop: Header=BB6_130 Depth=2
	s_and_not1_saveexec_b32 s10, s15
; %bb.1914:                             ;   in Loop: Header=BB6_130 Depth=2
	v_or_b32_e32 v80, 0x7b, v8
; %bb.1915:                             ;   in Loop: Header=BB6_130 Depth=2
	s_or_b32 exec_lo, exec_lo, s10
                                        ; implicit-def: $vgpr1
                                        ; implicit-def: $vgpr0
.LBB6_1916:                             ;   in Loop: Header=BB6_130 Depth=2
	s_and_not1_saveexec_b32 s10, s11
	s_cbranch_execz .LBB6_1922
; %bb.1917:                             ;   in Loop: Header=BB6_130 Depth=2
	s_mov_b32 s11, exec_lo
                                        ; implicit-def: $vgpr80
	v_cmpx_ne_u64_e32 0, v[24:25]
	s_xor_b32 s11, exec_lo, s11
; %bb.1918:                             ;   in Loop: Header=BB6_130 Depth=2
	v_or_b32_e32 v80, 0x7f, v0
                                        ; implicit-def: $vgpr1
; %bb.1919:                             ;   in Loop: Header=BB6_130 Depth=2
	s_and_not1_saveexec_b32 s11, s11
; %bb.1920:                             ;   in Loop: Header=BB6_130 Depth=2
	v_cmp_lt_i32_e32 vcc_lo, -1, v1
	v_cndmask_b32_e32 v80, 0xfc, v93, vcc_lo
; %bb.1921:                             ;   in Loop: Header=BB6_130 Depth=2
	s_or_b32 exec_lo, exec_lo, s11
.LBB6_1922:                             ;   in Loop: Header=BB6_130 Depth=2
	s_delay_alu instid0(SALU_CYCLE_1) | instskip(SKIP_4) | instid1(VALU_DEP_3)
	s_or_b32 exec_lo, exec_lo, s10
	v_and_b32_e32 v6, 0xff, v35
	v_dual_mov_b32 v24, v35 :: v_dual_mov_b32 v0, v29
	v_mov_b32_e32 v1, v25
	s_and_not1_b32 vcc_lo, exec_lo, s14
	v_cmp_ne_u16_e64 s10, 0, v6
	s_mov_b32 s11, -1
                                        ; implicit-def: $vgpr8
	s_cbranch_vccnz .LBB6_1944
; %bb.1923:                             ;   in Loop: Header=BB6_130 Depth=2
	v_dual_mov_b32 v8, 0 :: v_dual_mov_b32 v7, 0
	s_and_saveexec_b32 s11, s10
	s_cbranch_execz .LBB6_1933
; %bb.1924:                             ;   in Loop: Header=BB6_130 Depth=2
	v_bfrev_b32_e32 v7, 1
	s_mov_b32 s15, exec_lo
	v_cmpx_ne_u16_e32 0x80, v6
	s_cbranch_execz .LBB6_1932
; %bb.1925:                             ;   in Loop: Header=BB6_130 Depth=2
	v_and_b32_e32 v7, 0x7c, v35
	v_and_b32_e32 v9, 3, v35
	s_delay_alu instid0(VALU_DEP_2) | instskip(SKIP_1) | instid1(SALU_CYCLE_1)
	v_cmp_ne_u32_e32 vcc_lo, 0x7c, v7
                                        ; implicit-def: $vgpr7
	s_and_saveexec_b32 s42, vcc_lo
	s_xor_b32 s42, exec_lo, s42
	s_cbranch_execz .LBB6_1929
; %bb.1926:                             ;   in Loop: Header=BB6_130 Depth=2
	v_bfe_u32 v7, v35, 2, 5
	s_mov_b32 s43, exec_lo
	s_delay_alu instid0(VALU_DEP_1)
	v_cmpx_eq_u32_e32 0, v7
; %bb.1927:                             ;   in Loop: Header=BB6_130 Depth=2
	v_clz_i32_u32_e32 v7, v9
	s_delay_alu instid0(VALU_DEP_1) | instskip(NEXT) | instid1(VALU_DEP_1)
	v_min_u32_e32 v7, 32, v7
	v_subrev_nc_u32_e32 v9, 29, v7
	s_delay_alu instid0(VALU_DEP_1) | instskip(NEXT) | instid1(VALU_DEP_1)
	v_lshlrev_b64_e32 v[82:83], v9, v[24:25]
	v_dual_sub_nc_u32 v7, 30, v7 :: v_dual_bitop2_b32 v9, 3, v82 bitop3:0x40
; %bb.1928:                             ;   in Loop: Header=BB6_130 Depth=2
	s_or_b32 exec_lo, exec_lo, s43
	v_lshlrev_b32_e32 v81, 24, v35
	s_delay_alu instid0(VALU_DEP_1) | instskip(NEXT) | instid1(VALU_DEP_1)
	v_and_b32_e32 v81, 0x80000000, v81
	v_lshl_add_u32 v7, v7, 23, v81
	s_delay_alu instid0(VALU_DEP_1) | instskip(NEXT) | instid1(VALU_DEP_1)
	v_lshl_or_b32 v7, v9, 21, v7
                                        ; implicit-def: $vgpr9
	v_add_nc_u32_e32 v7, 0x38000000, v7
.LBB6_1929:                             ;   in Loop: Header=BB6_130 Depth=2
	s_and_not1_saveexec_b32 s42, s42
; %bb.1930:                             ;   in Loop: Header=BB6_130 Depth=2
	v_bfe_i32 v7, v35, 0, 8
	s_delay_alu instid0(VALU_DEP_1) | instskip(SKIP_2) | instid1(VALU_DEP_2)
	v_cmp_lt_i16_e32 vcc_lo, -1, v7
	v_cndmask_b32_e32 v7, 0xff800000, v62, vcc_lo
	v_cmp_eq_u32_e32 vcc_lo, 0, v9
	v_cndmask_b32_e32 v7, 0x7f800001, v7, vcc_lo
; %bb.1931:                             ;   in Loop: Header=BB6_130 Depth=2
	s_or_b32 exec_lo, exec_lo, s42
.LBB6_1932:                             ;   in Loop: Header=BB6_130 Depth=2
	s_delay_alu instid0(SALU_CYCLE_1)
	s_or_b32 exec_lo, exec_lo, s15
.LBB6_1933:                             ;   in Loop: Header=BB6_130 Depth=2
	s_delay_alu instid0(SALU_CYCLE_1) | instskip(SKIP_2) | instid1(VALU_DEP_1)
	s_or_b32 exec_lo, exec_lo, s11
	v_and_b32_e32 v9, 0xff, v29
	s_mov_b32 s11, exec_lo
	v_cmpx_ne_u16_e32 0, v9
	s_cbranch_execz .LBB6_1943
; %bb.1934:                             ;   in Loop: Header=BB6_130 Depth=2
	v_bfrev_b32_e32 v8, 1
	s_mov_b32 s15, exec_lo
	v_cmpx_ne_u16_e32 0x80, v9
	s_cbranch_execz .LBB6_1942
; %bb.1935:                             ;   in Loop: Header=BB6_130 Depth=2
	v_and_b32_e32 v8, 0x7c, v29
	v_and_b32_e32 v9, 3, v29
	s_delay_alu instid0(VALU_DEP_2) | instskip(SKIP_1) | instid1(SALU_CYCLE_1)
	v_cmp_ne_u32_e32 vcc_lo, 0x7c, v8
                                        ; implicit-def: $vgpr8
	s_and_saveexec_b32 s42, vcc_lo
	s_xor_b32 s42, exec_lo, s42
	s_cbranch_execz .LBB6_1939
; %bb.1936:                             ;   in Loop: Header=BB6_130 Depth=2
	v_bfe_u32 v8, v29, 2, 5
	s_mov_b32 s43, exec_lo
	s_delay_alu instid0(VALU_DEP_1)
	v_cmpx_eq_u32_e32 0, v8
; %bb.1937:                             ;   in Loop: Header=BB6_130 Depth=2
	v_clz_i32_u32_e32 v8, v9
	s_delay_alu instid0(VALU_DEP_1) | instskip(NEXT) | instid1(VALU_DEP_1)
	v_min_u32_e32 v8, 32, v8
	v_subrev_nc_u32_e32 v9, 29, v8
	s_delay_alu instid0(VALU_DEP_1) | instskip(NEXT) | instid1(VALU_DEP_1)
	v_lshlrev_b64_e32 v[82:83], v9, v[0:1]
	v_dual_sub_nc_u32 v8, 30, v8 :: v_dual_bitop2_b32 v9, 3, v82 bitop3:0x40
; %bb.1938:                             ;   in Loop: Header=BB6_130 Depth=2
	s_or_b32 exec_lo, exec_lo, s43
	v_lshlrev_b32_e32 v81, 24, v29
	s_delay_alu instid0(VALU_DEP_1) | instskip(NEXT) | instid1(VALU_DEP_1)
	v_and_b32_e32 v81, 0x80000000, v81
	v_lshl_add_u32 v8, v8, 23, v81
	s_delay_alu instid0(VALU_DEP_1) | instskip(NEXT) | instid1(VALU_DEP_1)
	v_lshl_or_b32 v8, v9, 21, v8
                                        ; implicit-def: $vgpr9
	v_add_nc_u32_e32 v8, 0x38000000, v8
.LBB6_1939:                             ;   in Loop: Header=BB6_130 Depth=2
	s_and_not1_saveexec_b32 s42, s42
; %bb.1940:                             ;   in Loop: Header=BB6_130 Depth=2
	v_bfe_i32 v8, v29, 0, 8
	s_delay_alu instid0(VALU_DEP_1) | instskip(SKIP_2) | instid1(VALU_DEP_2)
	v_cmp_lt_i16_e32 vcc_lo, -1, v8
	v_cndmask_b32_e32 v8, 0xff800000, v62, vcc_lo
	v_cmp_eq_u32_e32 vcc_lo, 0, v9
	v_cndmask_b32_e32 v8, 0x7f800001, v8, vcc_lo
; %bb.1941:                             ;   in Loop: Header=BB6_130 Depth=2
	s_or_b32 exec_lo, exec_lo, s42
.LBB6_1942:                             ;   in Loop: Header=BB6_130 Depth=2
	s_delay_alu instid0(SALU_CYCLE_1)
	s_or_b32 exec_lo, exec_lo, s15
.LBB6_1943:                             ;   in Loop: Header=BB6_130 Depth=2
	s_delay_alu instid0(SALU_CYCLE_1) | instskip(NEXT) | instid1(VALU_DEP_1)
	s_or_b32 exec_lo, exec_lo, s11
	v_dual_max_num_f32 v8, v8, v8 :: v_dual_max_num_f32 v7, v7, v7
	s_mov_b32 s11, 0
	s_delay_alu instid0(VALU_DEP_1)
	v_max_num_f32_e32 v8, v7, v8
.LBB6_1944:                             ;   in Loop: Header=BB6_130 Depth=2
	s_and_b32 vcc_lo, exec_lo, s11
	s_cbranch_vccz .LBB6_1966
; %bb.1945:                             ;   in Loop: Header=BB6_130 Depth=2
	v_dual_mov_b32 v8, 0 :: v_dual_mov_b32 v7, 0
	s_and_saveexec_b32 s11, s10
	s_cbranch_execz .LBB6_1955
; %bb.1946:                             ;   in Loop: Header=BB6_130 Depth=2
	v_bfrev_b32_e32 v7, 1
	s_mov_b32 s10, exec_lo
	v_cmpx_ne_u16_e32 0x80, v6
	s_cbranch_execz .LBB6_1954
; %bb.1947:                             ;   in Loop: Header=BB6_130 Depth=2
	v_and_b32_e32 v7, 0x7c, v35
	v_and_b32_e32 v6, 3, v35
	s_delay_alu instid0(VALU_DEP_2) | instskip(SKIP_1) | instid1(SALU_CYCLE_1)
	v_cmp_ne_u32_e32 vcc_lo, 0x7c, v7
                                        ; implicit-def: $vgpr7
	s_and_saveexec_b32 s15, vcc_lo
	s_xor_b32 s15, exec_lo, s15
	s_cbranch_execz .LBB6_1951
; %bb.1948:                             ;   in Loop: Header=BB6_130 Depth=2
	v_bfe_u32 v7, v35, 2, 5
	s_mov_b32 s42, exec_lo
	s_delay_alu instid0(VALU_DEP_1)
	v_cmpx_eq_u32_e32 0, v7
; %bb.1949:                             ;   in Loop: Header=BB6_130 Depth=2
	v_clz_i32_u32_e32 v6, v6
	s_delay_alu instid0(VALU_DEP_1) | instskip(NEXT) | instid1(VALU_DEP_1)
	v_min_u32_e32 v9, 32, v6
	v_subrev_nc_u32_e32 v6, 29, v9
	s_delay_alu instid0(VALU_DEP_1) | instskip(NEXT) | instid1(VALU_DEP_1)
	v_lshlrev_b64_e32 v[6:7], v6, v[24:25]
	v_dual_sub_nc_u32 v7, 30, v9 :: v_dual_bitop2_b32 v6, 3, v6 bitop3:0x40
; %bb.1950:                             ;   in Loop: Header=BB6_130 Depth=2
	s_or_b32 exec_lo, exec_lo, s42
	v_lshlrev_b32_e32 v9, 24, v35
	s_delay_alu instid0(VALU_DEP_1) | instskip(NEXT) | instid1(VALU_DEP_1)
	v_and_b32_e32 v9, 0x80000000, v9
	v_lshl_add_u32 v7, v7, 23, v9
	s_delay_alu instid0(VALU_DEP_1) | instskip(NEXT) | instid1(VALU_DEP_1)
	v_lshl_or_b32 v6, v6, 21, v7
	v_add_nc_u32_e32 v7, 0x38000000, v6
                                        ; implicit-def: $vgpr6
.LBB6_1951:                             ;   in Loop: Header=BB6_130 Depth=2
	s_and_not1_saveexec_b32 s15, s15
; %bb.1952:                             ;   in Loop: Header=BB6_130 Depth=2
	v_bfe_i32 v7, v35, 0, 8
	s_delay_alu instid0(VALU_DEP_1) | instskip(SKIP_2) | instid1(VALU_DEP_2)
	v_cmp_lt_i16_e32 vcc_lo, -1, v7
	v_cndmask_b32_e32 v7, 0xff800000, v62, vcc_lo
	v_cmp_eq_u32_e32 vcc_lo, 0, v6
	v_cndmask_b32_e32 v7, 0x7f800001, v7, vcc_lo
; %bb.1953:                             ;   in Loop: Header=BB6_130 Depth=2
	s_or_b32 exec_lo, exec_lo, s15
.LBB6_1954:                             ;   in Loop: Header=BB6_130 Depth=2
	s_delay_alu instid0(SALU_CYCLE_1)
	s_or_b32 exec_lo, exec_lo, s10
.LBB6_1955:                             ;   in Loop: Header=BB6_130 Depth=2
	s_delay_alu instid0(SALU_CYCLE_1) | instskip(SKIP_2) | instid1(VALU_DEP_1)
	s_or_b32 exec_lo, exec_lo, s11
	v_and_b32_e32 v6, 0xff, v29
	s_mov_b32 s10, exec_lo
	v_cmpx_ne_u16_e32 0, v6
	s_cbranch_execz .LBB6_1965
; %bb.1956:                             ;   in Loop: Header=BB6_130 Depth=2
	v_bfrev_b32_e32 v8, 1
	s_mov_b32 s11, exec_lo
	v_cmpx_ne_u16_e32 0x80, v6
	s_cbranch_execz .LBB6_1964
; %bb.1957:                             ;   in Loop: Header=BB6_130 Depth=2
	v_and_b32_e32 v8, 0x7c, v29
	v_and_b32_e32 v6, 3, v29
	s_delay_alu instid0(VALU_DEP_2) | instskip(SKIP_1) | instid1(SALU_CYCLE_1)
	v_cmp_ne_u32_e32 vcc_lo, 0x7c, v8
                                        ; implicit-def: $vgpr8
	s_and_saveexec_b32 s15, vcc_lo
	s_xor_b32 s15, exec_lo, s15
	s_cbranch_execz .LBB6_1961
; %bb.1958:                             ;   in Loop: Header=BB6_130 Depth=2
	v_bfe_u32 v8, v29, 2, 5
	s_mov_b32 s42, exec_lo
	s_delay_alu instid0(VALU_DEP_1)
	v_cmpx_eq_u32_e32 0, v8
; %bb.1959:                             ;   in Loop: Header=BB6_130 Depth=2
	v_clz_i32_u32_e32 v6, v6
	s_delay_alu instid0(VALU_DEP_1) | instskip(NEXT) | instid1(VALU_DEP_1)
	v_min_u32_e32 v6, 32, v6
	v_subrev_nc_u32_e32 v8, 29, v6
	s_delay_alu instid0(VALU_DEP_1) | instskip(SKIP_1) | instid1(VALU_DEP_2)
	v_lshlrev_b64_e32 v[82:83], v8, v[0:1]
	v_sub_nc_u32_e32 v8, 30, v6
	v_and_b32_e32 v6, 3, v82
; %bb.1960:                             ;   in Loop: Header=BB6_130 Depth=2
	s_or_b32 exec_lo, exec_lo, s42
	v_lshlrev_b32_e32 v1, 24, v29
	s_delay_alu instid0(VALU_DEP_1) | instskip(NEXT) | instid1(VALU_DEP_1)
	v_and_b32_e32 v1, 0x80000000, v1
	v_lshl_add_u32 v1, v8, 23, v1
	s_delay_alu instid0(VALU_DEP_1) | instskip(NEXT) | instid1(VALU_DEP_1)
	v_lshl_or_b32 v1, v6, 21, v1
                                        ; implicit-def: $vgpr6
	v_add_nc_u32_e32 v8, 0x38000000, v1
.LBB6_1961:                             ;   in Loop: Header=BB6_130 Depth=2
	s_and_not1_saveexec_b32 s15, s15
; %bb.1962:                             ;   in Loop: Header=BB6_130 Depth=2
	v_bfe_i32 v1, v29, 0, 8
	s_delay_alu instid0(VALU_DEP_1) | instskip(SKIP_2) | instid1(VALU_DEP_2)
	v_cmp_lt_i16_e32 vcc_lo, -1, v1
	v_cndmask_b32_e32 v1, 0xff800000, v62, vcc_lo
	v_cmp_eq_u32_e32 vcc_lo, 0, v6
	v_cndmask_b32_e32 v8, 0x7f800001, v1, vcc_lo
; %bb.1963:                             ;   in Loop: Header=BB6_130 Depth=2
	s_or_b32 exec_lo, exec_lo, s15
.LBB6_1964:                             ;   in Loop: Header=BB6_130 Depth=2
	s_delay_alu instid0(SALU_CYCLE_1)
	s_or_b32 exec_lo, exec_lo, s11
.LBB6_1965:                             ;   in Loop: Header=BB6_130 Depth=2
	s_delay_alu instid0(SALU_CYCLE_1) | instskip(NEXT) | instid1(VALU_DEP_1)
	s_or_b32 exec_lo, exec_lo, s10
	v_dual_max_num_f32 v1, v8, v8 :: v_dual_max_num_f32 v6, v7, v7
	s_delay_alu instid0(VALU_DEP_1)
	v_min_num_f32_e32 v8, v6, v1
.LBB6_1966:                             ;   in Loop: Header=BB6_130 Depth=2
	s_delay_alu instid0(VALU_DEP_1) | instskip(SKIP_4) | instid1(VALU_DEP_3)
	v_and_b32_e32 v82, 0x7f800000, v8
	v_dual_mov_b32 v83, v25 :: v_dual_mov_b32 v7, v25
	v_and_b32_e32 v6, 0x7fffff, v8
	v_lshrrev_b32_e32 v1, 24, v8
                                        ; implicit-def: $vgpr81
	s_mov_b32 s10, exec_lo
	v_cmpx_ne_u64_e32 0x7f800000, v[82:83]
	s_xor_b32 s11, exec_lo, s10
	s_cbranch_execz .LBB6_1980
; %bb.1967:                             ;   in Loop: Header=BB6_130 Depth=2
	v_and_b32_e32 v82, 0x7fffffff, v8
	v_mov_b32_e32 v83, v25
	v_and_b32_e32 v1, 0x80, v1
                                        ; implicit-def: $vgpr81
	s_mov_b32 s10, exec_lo
	s_delay_alu instid0(VALU_DEP_2)
	v_cmpx_gt_u64_e32 0x47600001, v[82:83]
	s_xor_b32 s15, exec_lo, s10
	s_cbranch_execz .LBB6_1977
; %bb.1968:                             ;   in Loop: Header=BB6_130 Depth=2
	v_mov_b32_e32 v81, 0
	s_mov_b32 s42, exec_lo
	v_cmpx_ne_u32_e32 0, v8
	s_cbranch_execz .LBB6_1976
; %bb.1969:                             ;   in Loop: Header=BB6_130 Depth=2
	v_bfe_u32 v81, v8, 23, 8
	v_or_b32_e32 v9, 0x800000, v6
	s_delay_alu instid0(VALU_DEP_2) | instskip(SKIP_2) | instid1(VALU_DEP_2)
	v_cmp_gt_u32_e64 s10, 0x72, v81
	v_sub_nc_u32_e32 v8, 0x71, v81
	v_cmp_eq_u32_e32 vcc_lo, 0, v81
	v_dual_cndmask_b32 v8, 0, v8, s10 :: v_dual_cndmask_b32 v6, v9, v6, vcc_lo
	s_delay_alu instid0(VALU_DEP_1) | instskip(NEXT) | instid1(VALU_DEP_1)
	v_cndmask_b32_e64 v82, v8, 0x70, vcc_lo
	v_dual_add_nc_u32 v8, 21, v82 :: v_dual_add_nc_u32 v83, 20, v82
	s_delay_alu instid0(VALU_DEP_1) | instskip(NEXT) | instid1(VALU_DEP_2)
	v_lshlrev_b64_e64 v[8:9], v8, -1
	v_lshlrev_b64_e64 v[84:85], v83, 1
	s_delay_alu instid0(VALU_DEP_2) | instskip(SKIP_1) | instid1(VALU_DEP_4)
	v_bfi_b32 v8, v8, 0, v6
	v_lshrrev_b64 v[6:7], v82, v[6:7]
	v_bfi_b32 v9, v9, 0, 0
	s_delay_alu instid0(VALU_DEP_1) | instskip(NEXT) | instid1(VALU_DEP_3)
	v_cmp_eq_u64_e64 s10, v[8:9], v[84:85]
	v_mov_b64_e32 v[8:9], v[6:7]
	s_and_saveexec_b32 s43, s10
; %bb.1970:                             ;   in Loop: Header=BB6_130 Depth=2
	v_bfe_u32 v8, v6, 21, 1
	v_mov_b32_e32 v9, v25
	s_delay_alu instid0(VALU_DEP_1) | instskip(NEXT) | instid1(VALU_DEP_1)
	v_add_nc_u64_e32 v[8:9], v[6:7], v[8:9]
	v_add_nc_u64_e32 v[8:9], -1, v[8:9]
; %bb.1971:                             ;   in Loop: Header=BB6_130 Depth=2
	s_or_b32 exec_lo, exec_lo, s43
	v_add_nc_u32_e32 v7, 0xffffff81, v81
	v_lshrrev_b32_e32 v9, 23, v6
	s_mov_b32 s10, exec_lo
	s_delay_alu instid0(VALU_DEP_2) | instskip(NEXT) | instid1(VALU_DEP_1)
	v_cndmask_b32_e64 v7, v7, 0xffffff82, vcc_lo
	v_add3_u32 v9, v82, v7, v9
	v_and_b32_e32 v7, 0x1fffff, v8
                                        ; implicit-def: $vgpr8
	s_delay_alu instid0(VALU_DEP_1) | instskip(SKIP_1) | instid1(VALU_DEP_2)
	v_dual_add_nc_u32 v81, 14, v9 :: v_dual_add_nc_u32 v6, v7, v6
	v_mov_b32_e32 v7, v25
	v_cmpx_ne_u32_e32 0, v81
	s_xor_b32 s10, exec_lo, s10
; %bb.1972:                             ;   in Loop: Header=BB6_130 Depth=2
	s_delay_alu instid0(VALU_DEP_2) | instskip(SKIP_2) | instid1(VALU_DEP_2)
	v_cmp_lt_u64_e32 vcc_lo, 0xffffff, v[6:7]
	v_add_nc_u32_e32 v8, 15, v9
	v_cndmask_b32_e64 v9, 0, 1, vcc_lo
	v_cndmask_b32_e32 v8, v81, v8, vcc_lo
	s_delay_alu instid0(VALU_DEP_2)
	v_lshrrev_b64 v[6:7], v9, v[6:7]
; %bb.1973:                             ;   in Loop: Header=BB6_130 Depth=2
	s_and_not1_saveexec_b32 s10, s10
; %bb.1974:                             ;   in Loop: Header=BB6_130 Depth=2
	s_delay_alu instid0(VALU_DEP_1)
	v_bfe_u32 v8, v6, 23, 1
; %bb.1975:                             ;   in Loop: Header=BB6_130 Depth=2
	s_or_b32 exec_lo, exec_lo, s10
	s_delay_alu instid0(VALU_DEP_2) | instskip(NEXT) | instid1(VALU_DEP_2)
	v_lshrrev_b64 v[6:7], 21, v[6:7]
	v_cmp_gt_i32_e32 vcc_lo, 32, v8
	v_min_i32_e32 v9, 31, v8
	v_cmp_eq_u32_e64 s10, 0, v8
	s_delay_alu instid0(VALU_DEP_2) | instskip(SKIP_1) | instid1(VALU_DEP_2)
	v_dual_cndmask_b32 v7, 0, v7, vcc_lo :: v_dual_lshlrev_b32 v9, 2, v9
	v_cndmask_b32_e32 v6, 3, v6, vcc_lo
	v_and_b32_e32 v9, 0xfc, v9
	s_delay_alu instid0(VALU_DEP_2) | instskip(NEXT) | instid1(VALU_DEP_2)
	v_cmp_eq_u64_e32 vcc_lo, 0, v[6:7]
	v_and_or_b32 v6, v6, 3, v9
	s_and_b32 s10, s10, vcc_lo
	s_delay_alu instid0(VALU_DEP_1) | instid1(SALU_CYCLE_1)
	v_cndmask_b32_e64 v6, v6, 0, s10
	s_delay_alu instid0(VALU_DEP_1)
	v_or_b32_e32 v81, v6, v1
.LBB6_1976:                             ;   in Loop: Header=BB6_130 Depth=2
	s_or_b32 exec_lo, exec_lo, s42
                                        ; implicit-def: $vgpr1
.LBB6_1977:                             ;   in Loop: Header=BB6_130 Depth=2
	s_and_not1_saveexec_b32 s10, s15
; %bb.1978:                             ;   in Loop: Header=BB6_130 Depth=2
	v_or_b32_e32 v81, 0x7b, v1
; %bb.1979:                             ;   in Loop: Header=BB6_130 Depth=2
	s_or_b32 exec_lo, exec_lo, s10
                                        ; implicit-def: $vgpr8
                                        ; implicit-def: $vgpr6_vgpr7
                                        ; implicit-def: $vgpr1
.LBB6_1980:                             ;   in Loop: Header=BB6_130 Depth=2
	s_and_not1_saveexec_b32 s10, s11
	s_cbranch_execz .LBB6_1986
; %bb.1981:                             ;   in Loop: Header=BB6_130 Depth=2
	s_mov_b32 s11, exec_lo
                                        ; implicit-def: $vgpr81
	v_cmpx_ne_u64_e32 0, v[6:7]
	s_xor_b32 s11, exec_lo, s11
; %bb.1982:                             ;   in Loop: Header=BB6_130 Depth=2
	v_or_b32_e32 v81, 0x7f, v1
                                        ; implicit-def: $vgpr8
; %bb.1983:                             ;   in Loop: Header=BB6_130 Depth=2
	s_and_not1_saveexec_b32 s11, s11
; %bb.1984:                             ;   in Loop: Header=BB6_130 Depth=2
	v_cmp_lt_i32_e32 vcc_lo, -1, v8
	v_cndmask_b32_e32 v81, 0xfc, v93, vcc_lo
; %bb.1985:                             ;   in Loop: Header=BB6_130 Depth=2
	s_or_b32 exec_lo, exec_lo, s11
.LBB6_1986:                             ;   in Loop: Header=BB6_130 Depth=2
	s_delay_alu instid0(SALU_CYCLE_1) | instskip(SKIP_4) | instid1(VALU_DEP_2)
	s_or_b32 exec_lo, exec_lo, s10
	v_lshrrev_b16 v8, 8, v24
	v_lshrrev_b16 v6, 8, v0
	s_and_not1_b32 vcc_lo, exec_lo, s14
	s_mov_b32 s11, -1
                                        ; implicit-def: $vgpr7
	v_and_b32_e32 v1, 0xffff, v8
	v_cmp_ne_u16_e64 s10, 0, v8
	s_cbranch_vccnz .LBB6_2008
; %bb.1987:                             ;   in Loop: Header=BB6_130 Depth=2
	v_dual_mov_b32 v7, 0 :: v_dual_mov_b32 v9, 0
	s_and_saveexec_b32 s11, s10
	s_cbranch_execz .LBB6_1997
; %bb.1988:                             ;   in Loop: Header=BB6_130 Depth=2
	v_bfrev_b32_e32 v9, 1
	s_mov_b32 s15, exec_lo
	v_cmpx_ne_u16_e32 0x80, v8
	s_cbranch_execz .LBB6_1996
; %bb.1989:                             ;   in Loop: Header=BB6_130 Depth=2
	v_and_b32_e32 v9, 0x7c, v1
	v_and_b32_e32 v82, 3, v1
	s_delay_alu instid0(VALU_DEP_2) | instskip(SKIP_1) | instid1(SALU_CYCLE_1)
	v_cmp_ne_u32_e32 vcc_lo, 0x7c, v9
                                        ; implicit-def: $vgpr9
	s_and_saveexec_b32 s42, vcc_lo
	s_xor_b32 s42, exec_lo, s42
	s_cbranch_execz .LBB6_1993
; %bb.1990:                             ;   in Loop: Header=BB6_130 Depth=2
	v_bfe_u32 v9, v1, 2, 5
	s_mov_b32 s43, exec_lo
	s_delay_alu instid0(VALU_DEP_1)
	v_cmpx_eq_u32_e32 0, v9
; %bb.1991:                             ;   in Loop: Header=BB6_130 Depth=2
	v_clz_i32_u32_e32 v9, v82
	s_delay_alu instid0(VALU_DEP_1) | instskip(SKIP_1) | instid1(VALU_DEP_2)
	v_min_u32_e32 v84, 32, v9
	v_mov_b32_e32 v9, v25
	v_subrev_nc_u32_e32 v82, 29, v84
	s_delay_alu instid0(VALU_DEP_1) | instskip(NEXT) | instid1(VALU_DEP_1)
	v_lshlrev_b64_e32 v[82:83], v82, v[8:9]
	v_dual_sub_nc_u32 v9, 30, v84 :: v_dual_bitop2_b32 v82, 3, v82 bitop3:0x40
; %bb.1992:                             ;   in Loop: Header=BB6_130 Depth=2
	s_or_b32 exec_lo, exec_lo, s43
	v_lshlrev_b32_e32 v83, 16, v24
	s_delay_alu instid0(VALU_DEP_1) | instskip(NEXT) | instid1(VALU_DEP_1)
	v_and_b32_e32 v83, 0x80000000, v83
	v_lshl_add_u32 v9, v9, 23, v83
	s_delay_alu instid0(VALU_DEP_1) | instskip(NEXT) | instid1(VALU_DEP_1)
	v_lshl_or_b32 v9, v82, 21, v9
                                        ; implicit-def: $vgpr82
	v_add_nc_u32_e32 v9, 0x38000000, v9
.LBB6_1993:                             ;   in Loop: Header=BB6_130 Depth=2
	s_and_not1_saveexec_b32 s42, s42
; %bb.1994:                             ;   in Loop: Header=BB6_130 Depth=2
	v_cmp_lt_i16_e32 vcc_lo, -1, v24
	v_cndmask_b32_e32 v9, 0xff800000, v62, vcc_lo
	v_cmp_eq_u32_e32 vcc_lo, 0, v82
	s_delay_alu instid0(VALU_DEP_2)
	v_cndmask_b32_e32 v9, 0x7f800001, v9, vcc_lo
; %bb.1995:                             ;   in Loop: Header=BB6_130 Depth=2
	s_or_b32 exec_lo, exec_lo, s42
.LBB6_1996:                             ;   in Loop: Header=BB6_130 Depth=2
	s_delay_alu instid0(SALU_CYCLE_1)
	s_or_b32 exec_lo, exec_lo, s15
.LBB6_1997:                             ;   in Loop: Header=BB6_130 Depth=2
	s_delay_alu instid0(SALU_CYCLE_1) | instskip(NEXT) | instid1(SALU_CYCLE_1)
	s_or_b32 exec_lo, exec_lo, s11
	s_mov_b32 s11, exec_lo
	v_cmpx_ne_u16_e32 0, v6
	s_cbranch_execz .LBB6_2007
; %bb.1998:                             ;   in Loop: Header=BB6_130 Depth=2
	v_bfrev_b32_e32 v7, 1
	s_mov_b32 s15, exec_lo
	v_cmpx_ne_u16_e32 0x80, v6
	s_cbranch_execz .LBB6_2006
; %bb.1999:                             ;   in Loop: Header=BB6_130 Depth=2
	v_and_b32_e32 v83, 0xffff, v6
	s_delay_alu instid0(VALU_DEP_1) | instskip(SKIP_1) | instid1(VALU_DEP_2)
	v_and_b32_e32 v7, 0x7c, v83
	v_and_b32_e32 v82, 3, v83
	v_cmp_ne_u32_e32 vcc_lo, 0x7c, v7
                                        ; implicit-def: $vgpr7
	s_and_saveexec_b32 s42, vcc_lo
	s_delay_alu instid0(SALU_CYCLE_1)
	s_xor_b32 s42, exec_lo, s42
	s_cbranch_execz .LBB6_2003
; %bb.2000:                             ;   in Loop: Header=BB6_130 Depth=2
	v_bfe_u32 v7, v83, 2, 5
	s_mov_b32 s43, exec_lo
	s_delay_alu instid0(VALU_DEP_1)
	v_cmpx_eq_u32_e32 0, v7
; %bb.2001:                             ;   in Loop: Header=BB6_130 Depth=2
	v_clz_i32_u32_e32 v7, v82
	s_delay_alu instid0(VALU_DEP_1) | instskip(SKIP_1) | instid1(VALU_DEP_2)
	v_min_u32_e32 v84, 32, v7
	v_mov_b32_e32 v7, v25
	v_subrev_nc_u32_e32 v82, 29, v84
	s_delay_alu instid0(VALU_DEP_1) | instskip(NEXT) | instid1(VALU_DEP_1)
	v_lshlrev_b64_e32 v[82:83], v82, v[6:7]
	v_dual_sub_nc_u32 v7, 30, v84 :: v_dual_bitop2_b32 v82, 3, v82 bitop3:0x40
; %bb.2002:                             ;   in Loop: Header=BB6_130 Depth=2
	s_or_b32 exec_lo, exec_lo, s43
	v_lshlrev_b32_e32 v83, 16, v0
	s_delay_alu instid0(VALU_DEP_1) | instskip(NEXT) | instid1(VALU_DEP_1)
	v_and_b32_e32 v83, 0x80000000, v83
	v_lshl_add_u32 v7, v7, 23, v83
	s_delay_alu instid0(VALU_DEP_1) | instskip(NEXT) | instid1(VALU_DEP_1)
	v_lshl_or_b32 v7, v82, 21, v7
                                        ; implicit-def: $vgpr82
	v_add_nc_u32_e32 v7, 0x38000000, v7
.LBB6_2003:                             ;   in Loop: Header=BB6_130 Depth=2
	s_and_not1_saveexec_b32 s42, s42
; %bb.2004:                             ;   in Loop: Header=BB6_130 Depth=2
	v_cmp_lt_i16_e32 vcc_lo, -1, v0
	v_cndmask_b32_e32 v7, 0xff800000, v62, vcc_lo
	v_cmp_eq_u32_e32 vcc_lo, 0, v82
	s_delay_alu instid0(VALU_DEP_2)
	v_cndmask_b32_e32 v7, 0x7f800001, v7, vcc_lo
; %bb.2005:                             ;   in Loop: Header=BB6_130 Depth=2
	s_or_b32 exec_lo, exec_lo, s42
.LBB6_2006:                             ;   in Loop: Header=BB6_130 Depth=2
	s_delay_alu instid0(SALU_CYCLE_1)
	s_or_b32 exec_lo, exec_lo, s15
.LBB6_2007:                             ;   in Loop: Header=BB6_130 Depth=2
	s_delay_alu instid0(SALU_CYCLE_1) | instskip(NEXT) | instid1(VALU_DEP_1)
	s_or_b32 exec_lo, exec_lo, s11
	v_dual_max_num_f32 v7, v7, v7 :: v_dual_max_num_f32 v9, v9, v9
	s_mov_b32 s11, 0
	s_delay_alu instid0(VALU_DEP_1)
	v_max_num_f32_e32 v7, v9, v7
.LBB6_2008:                             ;   in Loop: Header=BB6_130 Depth=2
	s_and_b32 vcc_lo, exec_lo, s11
	s_cbranch_vccz .LBB6_2030
; %bb.2009:                             ;   in Loop: Header=BB6_130 Depth=2
	v_dual_mov_b32 v7, 0 :: v_dual_mov_b32 v9, 0
	s_and_saveexec_b32 s11, s10
	s_cbranch_execz .LBB6_2019
; %bb.2010:                             ;   in Loop: Header=BB6_130 Depth=2
	v_bfrev_b32_e32 v9, 1
	s_mov_b32 s10, exec_lo
	v_cmpx_ne_u16_e32 0x80, v8
	s_cbranch_execz .LBB6_2018
; %bb.2011:                             ;   in Loop: Header=BB6_130 Depth=2
	v_and_b32_e32 v9, 0x7c, v1
	v_and_b32_e32 v82, 3, v1
	s_delay_alu instid0(VALU_DEP_2) | instskip(SKIP_1) | instid1(SALU_CYCLE_1)
	v_cmp_ne_u32_e32 vcc_lo, 0x7c, v9
                                        ; implicit-def: $vgpr9
	s_and_saveexec_b32 s15, vcc_lo
	s_xor_b32 s15, exec_lo, s15
	s_cbranch_execz .LBB6_2015
; %bb.2012:                             ;   in Loop: Header=BB6_130 Depth=2
	v_bfe_u32 v1, v1, 2, 5
	s_mov_b32 s42, exec_lo
	s_delay_alu instid0(VALU_DEP_1)
	v_cmpx_eq_u32_e32 0, v1
	s_cbranch_execz .LBB6_2014
; %bb.2013:                             ;   in Loop: Header=BB6_130 Depth=2
	v_clz_i32_u32_e32 v1, v82
	s_delay_alu instid0(VALU_DEP_1) | instskip(SKIP_1) | instid1(VALU_DEP_2)
	v_min_u32_e32 v1, 32, v1
	v_mov_b32_e32 v9, v25
	v_subrev_nc_u32_e32 v82, 29, v1
	v_sub_nc_u32_e32 v1, 30, v1
	s_delay_alu instid0(VALU_DEP_2) | instskip(NEXT) | instid1(VALU_DEP_1)
	v_lshlrev_b64_e32 v[8:9], v82, v[8:9]
	v_and_b32_e32 v82, 3, v8
.LBB6_2014:                             ;   in Loop: Header=BB6_130 Depth=2
	s_or_b32 exec_lo, exec_lo, s42
	v_lshlrev_b32_e32 v8, 16, v24
	s_delay_alu instid0(VALU_DEP_1) | instskip(NEXT) | instid1(VALU_DEP_1)
	v_and_b32_e32 v8, 0x80000000, v8
	v_lshl_add_u32 v1, v1, 23, v8
	s_delay_alu instid0(VALU_DEP_1) | instskip(NEXT) | instid1(VALU_DEP_1)
	v_lshl_or_b32 v1, v82, 21, v1
                                        ; implicit-def: $vgpr82
	v_add_nc_u32_e32 v9, 0x38000000, v1
.LBB6_2015:                             ;   in Loop: Header=BB6_130 Depth=2
	s_and_not1_saveexec_b32 s15, s15
; %bb.2016:                             ;   in Loop: Header=BB6_130 Depth=2
	v_cmp_lt_i16_e32 vcc_lo, -1, v24
	v_cndmask_b32_e32 v1, 0xff800000, v62, vcc_lo
	v_cmp_eq_u32_e32 vcc_lo, 0, v82
	s_delay_alu instid0(VALU_DEP_2)
	v_cndmask_b32_e32 v9, 0x7f800001, v1, vcc_lo
; %bb.2017:                             ;   in Loop: Header=BB6_130 Depth=2
	s_or_b32 exec_lo, exec_lo, s15
.LBB6_2018:                             ;   in Loop: Header=BB6_130 Depth=2
	s_delay_alu instid0(SALU_CYCLE_1)
	s_or_b32 exec_lo, exec_lo, s10
.LBB6_2019:                             ;   in Loop: Header=BB6_130 Depth=2
	s_delay_alu instid0(SALU_CYCLE_1) | instskip(NEXT) | instid1(SALU_CYCLE_1)
	s_or_b32 exec_lo, exec_lo, s11
	s_mov_b32 s10, exec_lo
	v_cmpx_ne_u16_e32 0, v6
	s_cbranch_execz .LBB6_2029
; %bb.2020:                             ;   in Loop: Header=BB6_130 Depth=2
	v_bfrev_b32_e32 v7, 1
	s_mov_b32 s11, exec_lo
	v_cmpx_ne_u16_e32 0x80, v6
	s_cbranch_execz .LBB6_2028
; %bb.2021:                             ;   in Loop: Header=BB6_130 Depth=2
	v_and_b32_e32 v1, 0xffff, v6
	s_delay_alu instid0(VALU_DEP_1) | instskip(SKIP_1) | instid1(VALU_DEP_2)
	v_and_b32_e32 v7, 0x7c, v1
	v_and_b32_e32 v8, 3, v1
	v_cmp_ne_u32_e32 vcc_lo, 0x7c, v7
                                        ; implicit-def: $vgpr7
	s_and_saveexec_b32 s15, vcc_lo
	s_delay_alu instid0(SALU_CYCLE_1)
	s_xor_b32 s15, exec_lo, s15
	s_cbranch_execz .LBB6_2025
; %bb.2022:                             ;   in Loop: Header=BB6_130 Depth=2
	v_bfe_u32 v1, v1, 2, 5
	s_mov_b32 s42, exec_lo
	s_delay_alu instid0(VALU_DEP_1)
	v_cmpx_eq_u32_e32 0, v1
	s_cbranch_execz .LBB6_2024
; %bb.2023:                             ;   in Loop: Header=BB6_130 Depth=2
	v_clz_i32_u32_e32 v1, v8
	s_delay_alu instid0(VALU_DEP_1) | instskip(SKIP_1) | instid1(VALU_DEP_2)
	v_min_u32_e32 v1, 32, v1
	v_mov_b32_e32 v7, v25
	v_subrev_nc_u32_e32 v8, 29, v1
	v_sub_nc_u32_e32 v1, 30, v1
	s_delay_alu instid0(VALU_DEP_2) | instskip(NEXT) | instid1(VALU_DEP_1)
	v_lshlrev_b64_e32 v[6:7], v8, v[6:7]
	v_and_b32_e32 v8, 3, v6
.LBB6_2024:                             ;   in Loop: Header=BB6_130 Depth=2
	s_or_b32 exec_lo, exec_lo, s42
	v_lshlrev_b32_e32 v0, 16, v0
	s_delay_alu instid0(VALU_DEP_1) | instskip(NEXT) | instid1(VALU_DEP_1)
	v_and_b32_e32 v0, 0x80000000, v0
	v_lshl_add_u32 v0, v1, 23, v0
	s_delay_alu instid0(VALU_DEP_1) | instskip(NEXT) | instid1(VALU_DEP_1)
	v_lshl_or_b32 v0, v8, 21, v0
                                        ; implicit-def: $vgpr8
	v_add_nc_u32_e32 v7, 0x38000000, v0
                                        ; implicit-def: $vgpr0_vgpr1
.LBB6_2025:                             ;   in Loop: Header=BB6_130 Depth=2
	s_and_not1_saveexec_b32 s15, s15
; %bb.2026:                             ;   in Loop: Header=BB6_130 Depth=2
	v_cmp_lt_i16_e32 vcc_lo, -1, v0
	v_cndmask_b32_e32 v0, 0xff800000, v62, vcc_lo
	v_cmp_eq_u32_e32 vcc_lo, 0, v8
	s_delay_alu instid0(VALU_DEP_2)
	v_cndmask_b32_e32 v7, 0x7f800001, v0, vcc_lo
; %bb.2027:                             ;   in Loop: Header=BB6_130 Depth=2
	s_or_b32 exec_lo, exec_lo, s15
.LBB6_2028:                             ;   in Loop: Header=BB6_130 Depth=2
	s_delay_alu instid0(SALU_CYCLE_1)
	s_or_b32 exec_lo, exec_lo, s11
.LBB6_2029:                             ;   in Loop: Header=BB6_130 Depth=2
	s_delay_alu instid0(SALU_CYCLE_1) | instskip(NEXT) | instid1(VALU_DEP_1)
	s_or_b32 exec_lo, exec_lo, s10
	v_dual_max_num_f32 v0, v7, v7 :: v_dual_max_num_f32 v1, v9, v9
	s_delay_alu instid0(VALU_DEP_1)
	v_min_num_f32_e32 v7, v1, v0
.LBB6_2030:                             ;   in Loop: Header=BB6_130 Depth=2
	s_delay_alu instid0(VALU_DEP_1) | instskip(SKIP_2) | instid1(VALU_DEP_2)
	v_and_b32_e32 v0, 0x7f800000, v7
	v_mov_b32_e32 v1, v25
	v_and_b32_e32 v24, 0x7fffff, v7
                                        ; implicit-def: $vgpr82
	v_cmp_ne_u64_e32 vcc_lo, 0x7f800000, v[0:1]
	v_lshrrev_b32_e32 v0, 24, v7
	s_and_saveexec_b32 s10, vcc_lo
	s_delay_alu instid0(SALU_CYCLE_1)
	s_xor_b32 s11, exec_lo, s10
	s_cbranch_execz .LBB6_2044
; %bb.2031:                             ;   in Loop: Header=BB6_130 Depth=2
	v_and_b32_e32 v8, 0x7fffffff, v7
	v_mov_b32_e32 v9, v25
                                        ; implicit-def: $vgpr82
	s_delay_alu instid0(VALU_DEP_1) | instskip(SKIP_2) | instid1(SALU_CYCLE_1)
	v_cmp_gt_u64_e32 vcc_lo, 0x47600001, v[8:9]
	v_and_b32_e32 v8, 0x80, v0
	s_and_saveexec_b32 s10, vcc_lo
	s_xor_b32 s15, exec_lo, s10
	s_cbranch_execz .LBB6_2041
; %bb.2032:                             ;   in Loop: Header=BB6_130 Depth=2
	v_mov_b32_e32 v82, 0
	s_mov_b32 s42, exec_lo
	v_cmpx_ne_u32_e32 0, v7
	s_cbranch_execz .LBB6_2040
; %bb.2033:                             ;   in Loop: Header=BB6_130 Depth=2
	v_bfe_u32 v9, v7, 23, 8
	v_or_b32_e32 v6, 0x800000, v24
	s_delay_alu instid0(VALU_DEP_2) | instskip(SKIP_1) | instid1(VALU_DEP_2)
	v_sub_nc_u32_e32 v0, 0x71, v9
	v_cmp_gt_u32_e32 vcc_lo, 0x72, v9
	v_cndmask_b32_e32 v0, 0, v0, vcc_lo
	v_cmp_eq_u32_e32 vcc_lo, 0, v9
	s_delay_alu instid0(VALU_DEP_2) | instskip(NEXT) | instid1(VALU_DEP_1)
	v_cndmask_b32_e64 v82, v0, 0x70, vcc_lo
	v_dual_cndmask_b32 v24, v6, v24, vcc_lo :: v_dual_add_nc_u32 v0, 21, v82
	v_add_nc_u32_e32 v7, 20, v82
	s_delay_alu instid0(VALU_DEP_2) | instskip(NEXT) | instid1(VALU_DEP_2)
	v_lshlrev_b64_e64 v[0:1], v0, -1
	v_lshlrev_b64_e64 v[6:7], v7, 1
	s_delay_alu instid0(VALU_DEP_2) | instskip(NEXT) | instid1(VALU_DEP_3)
	v_bfi_b32 v85, v1, 0, 0
	v_bfi_b32 v84, v0, 0, v24
	v_lshrrev_b64 v[0:1], v82, v[24:25]
	s_delay_alu instid0(VALU_DEP_2) | instskip(NEXT) | instid1(VALU_DEP_2)
	v_cmp_eq_u64_e64 s10, v[84:85], v[6:7]
	v_mov_b64_e32 v[6:7], v[0:1]
	s_and_saveexec_b32 s43, s10
; %bb.2034:                             ;   in Loop: Header=BB6_130 Depth=2
	v_bfe_u32 v24, v0, 21, 1
	s_delay_alu instid0(VALU_DEP_1) | instskip(NEXT) | instid1(VALU_DEP_1)
	v_add_nc_u64_e32 v[6:7], v[0:1], v[24:25]
	v_add_nc_u64_e32 v[6:7], -1, v[6:7]
; %bb.2035:                             ;   in Loop: Header=BB6_130 Depth=2
	s_or_b32 exec_lo, exec_lo, s43
	v_add_nc_u32_e32 v1, 0xffffff81, v9
	v_lshrrev_b32_e32 v7, 23, v0
	s_mov_b32 s10, exec_lo
	s_delay_alu instid0(VALU_DEP_2) | instskip(NEXT) | instid1(VALU_DEP_1)
	v_cndmask_b32_e64 v1, v1, 0xffffff82, vcc_lo
	v_add3_u32 v7, v82, v1, v7
	v_and_b32_e32 v1, 0x1fffff, v6
                                        ; implicit-def: $vgpr6
	s_delay_alu instid0(VALU_DEP_1) | instskip(NEXT) | instid1(VALU_DEP_1)
	v_dual_add_nc_u32 v9, 14, v7 :: v_dual_add_nc_u32 v24, v1, v0
                                        ; implicit-def: $vgpr0_vgpr1
	v_cmpx_ne_u32_e32 0, v9
	s_xor_b32 s10, exec_lo, s10
; %bb.2036:                             ;   in Loop: Header=BB6_130 Depth=2
	s_delay_alu instid0(VALU_DEP_2) | instskip(SKIP_1) | instid1(VALU_DEP_1)
	v_cmp_lt_u64_e32 vcc_lo, 0xffffff, v[24:25]
	v_add_nc_u32_e32 v0, 15, v7
	v_cndmask_b32_e32 v6, v9, v0, vcc_lo
	v_cndmask_b32_e64 v0, 0, 1, vcc_lo
	s_delay_alu instid0(VALU_DEP_1)
	v_lshrrev_b64 v[0:1], v0, v[24:25]
; %bb.2037:                             ;   in Loop: Header=BB6_130 Depth=2
	s_and_not1_saveexec_b32 s10, s10
; %bb.2038:                             ;   in Loop: Header=BB6_130 Depth=2
	v_mov_b64_e32 v[0:1], v[24:25]
	v_bfe_u32 v6, v24, 23, 1
; %bb.2039:                             ;   in Loop: Header=BB6_130 Depth=2
	s_or_b32 exec_lo, exec_lo, s10
	s_delay_alu instid0(VALU_DEP_2) | instskip(NEXT) | instid1(VALU_DEP_2)
	v_lshrrev_b64 v[0:1], 21, v[0:1]
	v_cmp_gt_i32_e32 vcc_lo, 32, v6
	v_min_i32_e32 v7, 31, v6
	v_cmp_eq_u32_e64 s10, 0, v6
	s_delay_alu instid0(VALU_DEP_2) | instskip(SKIP_1) | instid1(VALU_DEP_2)
	v_dual_cndmask_b32 v1, 0, v1, vcc_lo :: v_dual_lshlrev_b32 v7, 2, v7
	v_cndmask_b32_e32 v0, 3, v0, vcc_lo
	v_and_b32_e32 v7, 0xfc, v7
	s_delay_alu instid0(VALU_DEP_2) | instskip(NEXT) | instid1(VALU_DEP_2)
	v_cmp_eq_u64_e32 vcc_lo, 0, v[0:1]
	v_and_or_b32 v0, v0, 3, v7
	s_and_b32 s10, s10, vcc_lo
	s_delay_alu instid0(VALU_DEP_1) | instid1(SALU_CYCLE_1)
	v_cndmask_b32_e64 v0, v0, 0, s10
	s_delay_alu instid0(VALU_DEP_1)
	v_or_b32_e32 v82, v0, v8
.LBB6_2040:                             ;   in Loop: Header=BB6_130 Depth=2
	s_or_b32 exec_lo, exec_lo, s42
                                        ; implicit-def: $vgpr8
.LBB6_2041:                             ;   in Loop: Header=BB6_130 Depth=2
	s_and_not1_saveexec_b32 s10, s15
; %bb.2042:                             ;   in Loop: Header=BB6_130 Depth=2
	v_or_b32_e32 v82, 0x7b, v8
; %bb.2043:                             ;   in Loop: Header=BB6_130 Depth=2
	s_or_b32 exec_lo, exec_lo, s10
                                        ; implicit-def: $vgpr7
                                        ; implicit-def: $vgpr0
.LBB6_2044:                             ;   in Loop: Header=BB6_130 Depth=2
	s_and_not1_saveexec_b32 s10, s11
	s_cbranch_execz .LBB6_2050
; %bb.2045:                             ;   in Loop: Header=BB6_130 Depth=2
	s_mov_b32 s11, exec_lo
                                        ; implicit-def: $vgpr82
	v_cmpx_ne_u64_e32 0, v[24:25]
	s_xor_b32 s11, exec_lo, s11
; %bb.2046:                             ;   in Loop: Header=BB6_130 Depth=2
	v_or_b32_e32 v82, 0x7f, v0
                                        ; implicit-def: $vgpr7
; %bb.2047:                             ;   in Loop: Header=BB6_130 Depth=2
	s_and_not1_saveexec_b32 s11, s11
; %bb.2048:                             ;   in Loop: Header=BB6_130 Depth=2
	v_cmp_lt_i32_e32 vcc_lo, -1, v7
	v_cndmask_b32_e32 v82, 0xfc, v93, vcc_lo
; %bb.2049:                             ;   in Loop: Header=BB6_130 Depth=2
	s_or_b32 exec_lo, exec_lo, s11
.LBB6_2050:                             ;   in Loop: Header=BB6_130 Depth=2
	s_delay_alu instid0(SALU_CYCLE_1) | instskip(SKIP_3) | instid1(VALU_DEP_1)
	s_or_b32 exec_lo, exec_lo, s10
	v_dual_lshrrev_b32 v6, 16, v35 :: v_dual_lshrrev_b32 v0, 16, v29
	s_and_not1_b32 vcc_lo, exec_lo, s14
	s_mov_b32 s11, -1
                                        ; implicit-def: $vgpr7
	v_and_b32_e32 v1, 0xff, v6
	s_delay_alu instid0(VALU_DEP_1)
	v_cmp_ne_u16_e64 s10, 0, v1
	s_cbranch_vccnz .LBB6_2072
; %bb.2051:                             ;   in Loop: Header=BB6_130 Depth=2
	v_dual_mov_b32 v8, 0 :: v_dual_mov_b32 v7, 0
	s_and_saveexec_b32 s11, s10
	s_cbranch_execz .LBB6_2061
; %bb.2052:                             ;   in Loop: Header=BB6_130 Depth=2
	v_bfrev_b32_e32 v7, 1
	s_mov_b32 s15, exec_lo
	v_cmpx_ne_u16_e32 0x80, v1
	s_cbranch_execz .LBB6_2060
; %bb.2053:                             ;   in Loop: Header=BB6_130 Depth=2
	v_and_b32_e32 v7, 0x7c0000, v35
	v_bfe_u32 v9, v35, 16, 2
	s_delay_alu instid0(VALU_DEP_2) | instskip(SKIP_1) | instid1(SALU_CYCLE_1)
	v_cmp_ne_u32_e32 vcc_lo, 0x7c0000, v7
                                        ; implicit-def: $vgpr7
	s_and_saveexec_b32 s42, vcc_lo
	s_xor_b32 s42, exec_lo, s42
	s_cbranch_execz .LBB6_2057
; %bb.2054:                             ;   in Loop: Header=BB6_130 Depth=2
	v_bfe_u32 v7, v35, 18, 5
	s_mov_b32 s43, exec_lo
	s_delay_alu instid0(VALU_DEP_1)
	v_cmpx_eq_u32_e32 0, v7
; %bb.2055:                             ;   in Loop: Header=BB6_130 Depth=2
	v_clz_i32_u32_e32 v7, v9
	s_delay_alu instid0(VALU_DEP_1) | instskip(NEXT) | instid1(VALU_DEP_1)
	v_min_u32_e32 v7, 32, v7
	v_subrev_nc_u32_e32 v9, 29, v7
	s_delay_alu instid0(VALU_DEP_1) | instskip(NEXT) | instid1(VALU_DEP_1)
	v_lshlrev_b64_e32 v[84:85], v9, v[6:7]
	v_dual_sub_nc_u32 v7, 30, v7 :: v_dual_bitop2_b32 v9, 3, v84 bitop3:0x40
; %bb.2056:                             ;   in Loop: Header=BB6_130 Depth=2
	s_or_b32 exec_lo, exec_lo, s43
	v_lshlrev_b32_e32 v24, 24, v6
	s_delay_alu instid0(VALU_DEP_1) | instskip(NEXT) | instid1(VALU_DEP_1)
	v_and_b32_e32 v24, 0x80000000, v24
	v_lshl_add_u32 v7, v7, 23, v24
	s_delay_alu instid0(VALU_DEP_1) | instskip(NEXT) | instid1(VALU_DEP_1)
	v_lshl_or_b32 v7, v9, 21, v7
                                        ; implicit-def: $vgpr9
	v_add_nc_u32_e32 v7, 0x38000000, v7
.LBB6_2057:                             ;   in Loop: Header=BB6_130 Depth=2
	s_and_not1_saveexec_b32 s42, s42
; %bb.2058:                             ;   in Loop: Header=BB6_130 Depth=2
	v_bfe_i32 v7, v6, 0, 8
	s_delay_alu instid0(VALU_DEP_1) | instskip(SKIP_2) | instid1(VALU_DEP_2)
	v_cmp_lt_i16_e32 vcc_lo, -1, v7
	v_cndmask_b32_e32 v7, 0xff800000, v62, vcc_lo
	v_cmp_eq_u32_e32 vcc_lo, 0, v9
	v_cndmask_b32_e32 v7, 0x7f800001, v7, vcc_lo
; %bb.2059:                             ;   in Loop: Header=BB6_130 Depth=2
	s_or_b32 exec_lo, exec_lo, s42
.LBB6_2060:                             ;   in Loop: Header=BB6_130 Depth=2
	s_delay_alu instid0(SALU_CYCLE_1)
	s_or_b32 exec_lo, exec_lo, s15
.LBB6_2061:                             ;   in Loop: Header=BB6_130 Depth=2
	s_delay_alu instid0(SALU_CYCLE_1) | instskip(SKIP_2) | instid1(VALU_DEP_1)
	s_or_b32 exec_lo, exec_lo, s11
	v_and_b32_e32 v9, 0xff, v0
	s_mov_b32 s11, exec_lo
	v_cmpx_ne_u16_e32 0, v9
	s_cbranch_execz .LBB6_2071
; %bb.2062:                             ;   in Loop: Header=BB6_130 Depth=2
	v_bfrev_b32_e32 v8, 1
	s_mov_b32 s15, exec_lo
	v_cmpx_ne_u16_e32 0x80, v9
	s_cbranch_execz .LBB6_2070
; %bb.2063:                             ;   in Loop: Header=BB6_130 Depth=2
	v_and_b32_e32 v8, 0x7c0000, v29
	v_bfe_u32 v9, v29, 16, 2
	s_delay_alu instid0(VALU_DEP_2) | instskip(SKIP_1) | instid1(SALU_CYCLE_1)
	v_cmp_ne_u32_e32 vcc_lo, 0x7c0000, v8
                                        ; implicit-def: $vgpr8
	s_and_saveexec_b32 s42, vcc_lo
	s_xor_b32 s42, exec_lo, s42
	s_cbranch_execz .LBB6_2067
; %bb.2064:                             ;   in Loop: Header=BB6_130 Depth=2
	v_bfe_u32 v8, v29, 18, 5
	s_mov_b32 s43, exec_lo
	s_delay_alu instid0(VALU_DEP_1)
	v_cmpx_eq_u32_e32 0, v8
; %bb.2065:                             ;   in Loop: Header=BB6_130 Depth=2
	v_clz_i32_u32_e32 v8, v9
	s_delay_alu instid0(VALU_DEP_1) | instskip(NEXT) | instid1(VALU_DEP_1)
	v_min_u32_e32 v8, 32, v8
	v_subrev_nc_u32_e32 v9, 29, v8
	v_sub_nc_u32_e32 v8, 30, v8
	s_delay_alu instid0(VALU_DEP_2) | instskip(NEXT) | instid1(VALU_DEP_1)
	v_lshlrev_b64_e32 v[84:85], v9, v[0:1]
	v_and_b32_e32 v9, 3, v84
; %bb.2066:                             ;   in Loop: Header=BB6_130 Depth=2
	s_or_b32 exec_lo, exec_lo, s43
	v_lshlrev_b32_e32 v24, 24, v0
	s_delay_alu instid0(VALU_DEP_1) | instskip(NEXT) | instid1(VALU_DEP_1)
	v_and_b32_e32 v24, 0x80000000, v24
	v_lshl_add_u32 v8, v8, 23, v24
	s_delay_alu instid0(VALU_DEP_1) | instskip(NEXT) | instid1(VALU_DEP_1)
	v_lshl_or_b32 v8, v9, 21, v8
                                        ; implicit-def: $vgpr9
	v_add_nc_u32_e32 v8, 0x38000000, v8
.LBB6_2067:                             ;   in Loop: Header=BB6_130 Depth=2
	s_and_not1_saveexec_b32 s42, s42
; %bb.2068:                             ;   in Loop: Header=BB6_130 Depth=2
	v_bfe_i32 v8, v0, 0, 8
	s_delay_alu instid0(VALU_DEP_1) | instskip(SKIP_2) | instid1(VALU_DEP_2)
	v_cmp_lt_i16_e32 vcc_lo, -1, v8
	v_cndmask_b32_e32 v8, 0xff800000, v62, vcc_lo
	v_cmp_eq_u32_e32 vcc_lo, 0, v9
	v_cndmask_b32_e32 v8, 0x7f800001, v8, vcc_lo
; %bb.2069:                             ;   in Loop: Header=BB6_130 Depth=2
	s_or_b32 exec_lo, exec_lo, s42
.LBB6_2070:                             ;   in Loop: Header=BB6_130 Depth=2
	s_delay_alu instid0(SALU_CYCLE_1)
	s_or_b32 exec_lo, exec_lo, s15
.LBB6_2071:                             ;   in Loop: Header=BB6_130 Depth=2
	s_delay_alu instid0(SALU_CYCLE_1) | instskip(NEXT) | instid1(VALU_DEP_1)
	s_or_b32 exec_lo, exec_lo, s11
	v_dual_max_num_f32 v8, v8, v8 :: v_dual_max_num_f32 v7, v7, v7
	s_mov_b32 s11, 0
	s_delay_alu instid0(VALU_DEP_1)
	v_max_num_f32_e32 v7, v7, v8
.LBB6_2072:                             ;   in Loop: Header=BB6_130 Depth=2
	s_and_b32 vcc_lo, exec_lo, s11
	s_cbranch_vccz .LBB6_2094
; %bb.2073:                             ;   in Loop: Header=BB6_130 Depth=2
	v_dual_mov_b32 v8, 0 :: v_dual_mov_b32 v7, 0
	s_and_saveexec_b32 s11, s10
	s_cbranch_execz .LBB6_2083
; %bb.2074:                             ;   in Loop: Header=BB6_130 Depth=2
	v_bfrev_b32_e32 v7, 1
	s_mov_b32 s10, exec_lo
	v_cmpx_ne_u16_e32 0x80, v1
	s_cbranch_execz .LBB6_2082
; %bb.2075:                             ;   in Loop: Header=BB6_130 Depth=2
	v_and_b32_e32 v7, 0x7c0000, v35
	v_bfe_u32 v1, v35, 16, 2
	s_delay_alu instid0(VALU_DEP_2) | instskip(SKIP_1) | instid1(SALU_CYCLE_1)
	v_cmp_ne_u32_e32 vcc_lo, 0x7c0000, v7
                                        ; implicit-def: $vgpr7
	s_and_saveexec_b32 s15, vcc_lo
	s_xor_b32 s15, exec_lo, s15
	s_cbranch_execz .LBB6_2079
; %bb.2076:                             ;   in Loop: Header=BB6_130 Depth=2
	v_bfe_u32 v7, v35, 18, 5
	s_mov_b32 s42, exec_lo
	s_delay_alu instid0(VALU_DEP_1)
	v_cmpx_eq_u32_e32 0, v7
; %bb.2077:                             ;   in Loop: Header=BB6_130 Depth=2
	v_clz_i32_u32_e32 v1, v1
	s_delay_alu instid0(VALU_DEP_1) | instskip(NEXT) | instid1(VALU_DEP_1)
	v_min_u32_e32 v1, 32, v1
	v_subrev_nc_u32_e32 v7, 29, v1
	s_delay_alu instid0(VALU_DEP_1) | instskip(NEXT) | instid1(VALU_DEP_1)
	v_lshlrev_b64_e32 v[84:85], v7, v[6:7]
	v_dual_sub_nc_u32 v7, 30, v1 :: v_dual_bitop2_b32 v1, 3, v84 bitop3:0x40
; %bb.2078:                             ;   in Loop: Header=BB6_130 Depth=2
	s_or_b32 exec_lo, exec_lo, s42
	v_lshlrev_b32_e32 v6, 24, v6
	s_delay_alu instid0(VALU_DEP_1) | instskip(NEXT) | instid1(VALU_DEP_1)
	v_and_b32_e32 v6, 0x80000000, v6
	v_lshl_add_u32 v6, v7, 23, v6
	s_delay_alu instid0(VALU_DEP_1) | instskip(NEXT) | instid1(VALU_DEP_1)
	v_lshl_or_b32 v1, v1, 21, v6
                                        ; implicit-def: $vgpr6
	v_add_nc_u32_e32 v7, 0x38000000, v1
                                        ; implicit-def: $vgpr1
.LBB6_2079:                             ;   in Loop: Header=BB6_130 Depth=2
	s_and_not1_saveexec_b32 s15, s15
; %bb.2080:                             ;   in Loop: Header=BB6_130 Depth=2
	v_bfe_i32 v6, v6, 0, 8
	s_delay_alu instid0(VALU_DEP_1) | instskip(SKIP_2) | instid1(VALU_DEP_2)
	v_cmp_lt_i16_e32 vcc_lo, -1, v6
	v_cndmask_b32_e32 v6, 0xff800000, v62, vcc_lo
	v_cmp_eq_u32_e32 vcc_lo, 0, v1
	v_cndmask_b32_e32 v7, 0x7f800001, v6, vcc_lo
; %bb.2081:                             ;   in Loop: Header=BB6_130 Depth=2
	s_or_b32 exec_lo, exec_lo, s15
.LBB6_2082:                             ;   in Loop: Header=BB6_130 Depth=2
	s_delay_alu instid0(SALU_CYCLE_1)
	s_or_b32 exec_lo, exec_lo, s10
.LBB6_2083:                             ;   in Loop: Header=BB6_130 Depth=2
	s_delay_alu instid0(SALU_CYCLE_1) | instskip(SKIP_2) | instid1(VALU_DEP_1)
	s_or_b32 exec_lo, exec_lo, s11
	v_and_b32_e32 v1, 0xff, v0
	s_mov_b32 s10, exec_lo
	v_cmpx_ne_u16_e32 0, v1
	s_cbranch_execz .LBB6_2093
; %bb.2084:                             ;   in Loop: Header=BB6_130 Depth=2
	v_bfrev_b32_e32 v8, 1
	s_mov_b32 s11, exec_lo
	v_cmpx_ne_u16_e32 0x80, v1
	s_cbranch_execz .LBB6_2092
; %bb.2085:                             ;   in Loop: Header=BB6_130 Depth=2
	v_and_b32_e32 v6, 0x7c0000, v29
	v_bfe_u32 v1, v29, 16, 2
	s_mov_b32 s15, exec_lo
                                        ; implicit-def: $vgpr8
	s_delay_alu instid0(VALU_DEP_2)
	v_cmpx_ne_u32_e32 0x7c0000, v6
	s_xor_b32 s15, exec_lo, s15
	s_cbranch_execz .LBB6_2089
; %bb.2086:                             ;   in Loop: Header=BB6_130 Depth=2
	v_bfe_u32 v6, v29, 18, 5
	s_mov_b32 s42, exec_lo
	s_delay_alu instid0(VALU_DEP_1)
	v_cmpx_eq_u32_e32 0, v6
; %bb.2087:                             ;   in Loop: Header=BB6_130 Depth=2
	v_clz_i32_u32_e32 v1, v1
	s_delay_alu instid0(VALU_DEP_1) | instskip(NEXT) | instid1(VALU_DEP_1)
	v_min_u32_e32 v1, 32, v1
	v_subrev_nc_u32_e32 v6, 29, v1
	s_delay_alu instid0(VALU_DEP_1) | instskip(NEXT) | instid1(VALU_DEP_1)
	v_lshlrev_b64_e32 v[8:9], v6, v[0:1]
	v_dual_sub_nc_u32 v6, 30, v1 :: v_dual_bitop2_b32 v1, 3, v8 bitop3:0x40
; %bb.2088:                             ;   in Loop: Header=BB6_130 Depth=2
	s_or_b32 exec_lo, exec_lo, s42
	v_lshlrev_b32_e32 v0, 24, v0
	s_delay_alu instid0(VALU_DEP_1) | instskip(NEXT) | instid1(VALU_DEP_1)
	v_and_b32_e32 v0, 0x80000000, v0
	v_lshl_add_u32 v0, v6, 23, v0
	s_delay_alu instid0(VALU_DEP_1) | instskip(NEXT) | instid1(VALU_DEP_1)
	v_lshl_or_b32 v0, v1, 21, v0
                                        ; implicit-def: $vgpr1
	v_add_nc_u32_e32 v8, 0x38000000, v0
                                        ; implicit-def: $vgpr0
.LBB6_2089:                             ;   in Loop: Header=BB6_130 Depth=2
	s_and_not1_saveexec_b32 s15, s15
; %bb.2090:                             ;   in Loop: Header=BB6_130 Depth=2
	v_bfe_i32 v0, v0, 0, 8
	s_delay_alu instid0(VALU_DEP_1) | instskip(SKIP_2) | instid1(VALU_DEP_2)
	v_cmp_lt_i16_e32 vcc_lo, -1, v0
	v_cndmask_b32_e32 v0, 0xff800000, v62, vcc_lo
	v_cmp_eq_u32_e32 vcc_lo, 0, v1
	v_cndmask_b32_e32 v8, 0x7f800001, v0, vcc_lo
; %bb.2091:                             ;   in Loop: Header=BB6_130 Depth=2
	s_or_b32 exec_lo, exec_lo, s15
.LBB6_2092:                             ;   in Loop: Header=BB6_130 Depth=2
	s_delay_alu instid0(SALU_CYCLE_1)
	s_or_b32 exec_lo, exec_lo, s11
.LBB6_2093:                             ;   in Loop: Header=BB6_130 Depth=2
	s_delay_alu instid0(SALU_CYCLE_1) | instskip(NEXT) | instid1(VALU_DEP_1)
	s_or_b32 exec_lo, exec_lo, s10
	v_dual_max_num_f32 v0, v8, v8 :: v_dual_max_num_f32 v1, v7, v7
	s_delay_alu instid0(VALU_DEP_1)
	v_min_num_f32_e32 v7, v1, v0
.LBB6_2094:                             ;   in Loop: Header=BB6_130 Depth=2
	s_delay_alu instid0(VALU_DEP_1) | instskip(SKIP_2) | instid1(VALU_DEP_2)
	v_and_b32_e32 v0, 0x7f800000, v7
	v_mov_b32_e32 v1, v25
	v_and_b32_e32 v24, 0x7fffff, v7
                                        ; implicit-def: $vgpr83
	v_cmp_ne_u64_e32 vcc_lo, 0x7f800000, v[0:1]
	v_lshrrev_b32_e32 v0, 24, v7
	s_and_saveexec_b32 s10, vcc_lo
	s_delay_alu instid0(SALU_CYCLE_1)
	s_xor_b32 s11, exec_lo, s10
	s_cbranch_execz .LBB6_2108
; %bb.2095:                             ;   in Loop: Header=BB6_130 Depth=2
	v_and_b32_e32 v8, 0x7fffffff, v7
	v_mov_b32_e32 v9, v25
                                        ; implicit-def: $vgpr83
	s_delay_alu instid0(VALU_DEP_1) | instskip(SKIP_2) | instid1(SALU_CYCLE_1)
	v_cmp_gt_u64_e32 vcc_lo, 0x47600001, v[8:9]
	v_and_b32_e32 v8, 0x80, v0
	s_and_saveexec_b32 s10, vcc_lo
	s_xor_b32 s15, exec_lo, s10
	s_cbranch_execz .LBB6_2105
; %bb.2096:                             ;   in Loop: Header=BB6_130 Depth=2
	v_mov_b32_e32 v83, 0
	s_mov_b32 s42, exec_lo
	v_cmpx_ne_u32_e32 0, v7
	s_cbranch_execz .LBB6_2104
; %bb.2097:                             ;   in Loop: Header=BB6_130 Depth=2
	v_bfe_u32 v9, v7, 23, 8
	v_or_b32_e32 v1, 0x800000, v24
	s_delay_alu instid0(VALU_DEP_2) | instskip(SKIP_2) | instid1(VALU_DEP_2)
	v_cmp_gt_u32_e64 s10, 0x72, v9
	v_sub_nc_u32_e32 v0, 0x71, v9
	v_cmp_eq_u32_e32 vcc_lo, 0, v9
	v_cndmask_b32_e64 v0, 0, v0, s10
	s_delay_alu instid0(VALU_DEP_1) | instskip(NEXT) | instid1(VALU_DEP_1)
	v_cndmask_b32_e64 v83, v0, 0x70, vcc_lo
	v_dual_cndmask_b32 v24, v1, v24, vcc_lo :: v_dual_add_nc_u32 v0, 21, v83
	v_add_nc_u32_e32 v6, 20, v83
	s_delay_alu instid0(VALU_DEP_2) | instskip(NEXT) | instid1(VALU_DEP_2)
	v_lshlrev_b64_e64 v[0:1], v0, -1
	v_lshlrev_b64_e64 v[6:7], v6, 1
	s_delay_alu instid0(VALU_DEP_2) | instskip(NEXT) | instid1(VALU_DEP_3)
	v_bfi_b32 v1, v1, 0, 0
	v_bfi_b32 v0, v0, 0, v24
	s_delay_alu instid0(VALU_DEP_1) | instskip(SKIP_1) | instid1(VALU_DEP_1)
	v_cmp_eq_u64_e64 s10, v[0:1], v[6:7]
	v_lshrrev_b64 v[0:1], v83, v[24:25]
	v_mov_b64_e32 v[6:7], v[0:1]
	s_and_saveexec_b32 s43, s10
; %bb.2098:                             ;   in Loop: Header=BB6_130 Depth=2
	v_bfe_u32 v24, v0, 21, 1
	s_delay_alu instid0(VALU_DEP_1) | instskip(NEXT) | instid1(VALU_DEP_1)
	v_add_nc_u64_e32 v[6:7], v[0:1], v[24:25]
	v_add_nc_u64_e32 v[6:7], -1, v[6:7]
; %bb.2099:                             ;   in Loop: Header=BB6_130 Depth=2
	s_or_b32 exec_lo, exec_lo, s43
	v_add_nc_u32_e32 v1, 0xffffff81, v9
	v_lshrrev_b32_e32 v7, 23, v0
	s_mov_b32 s10, exec_lo
	s_delay_alu instid0(VALU_DEP_2) | instskip(NEXT) | instid1(VALU_DEP_1)
	v_cndmask_b32_e64 v1, v1, 0xffffff82, vcc_lo
	v_add3_u32 v7, v83, v1, v7
	v_and_b32_e32 v1, 0x1fffff, v6
                                        ; implicit-def: $vgpr6
	s_delay_alu instid0(VALU_DEP_1) | instskip(NEXT) | instid1(VALU_DEP_1)
	v_dual_add_nc_u32 v9, 14, v7 :: v_dual_add_nc_u32 v24, v1, v0
                                        ; implicit-def: $vgpr0_vgpr1
	v_cmpx_ne_u32_e32 0, v9
	s_xor_b32 s10, exec_lo, s10
; %bb.2100:                             ;   in Loop: Header=BB6_130 Depth=2
	s_delay_alu instid0(VALU_DEP_2) | instskip(SKIP_1) | instid1(VALU_DEP_1)
	v_cmp_lt_u64_e32 vcc_lo, 0xffffff, v[24:25]
	v_add_nc_u32_e32 v0, 15, v7
	v_cndmask_b32_e32 v6, v9, v0, vcc_lo
	v_cndmask_b32_e64 v0, 0, 1, vcc_lo
	s_delay_alu instid0(VALU_DEP_1)
	v_lshrrev_b64 v[0:1], v0, v[24:25]
; %bb.2101:                             ;   in Loop: Header=BB6_130 Depth=2
	s_and_not1_saveexec_b32 s10, s10
; %bb.2102:                             ;   in Loop: Header=BB6_130 Depth=2
	v_mov_b64_e32 v[0:1], v[24:25]
	v_bfe_u32 v6, v24, 23, 1
; %bb.2103:                             ;   in Loop: Header=BB6_130 Depth=2
	s_or_b32 exec_lo, exec_lo, s10
	s_delay_alu instid0(VALU_DEP_2) | instskip(NEXT) | instid1(VALU_DEP_2)
	v_lshrrev_b64 v[0:1], 21, v[0:1]
	v_cmp_gt_i32_e32 vcc_lo, 32, v6
	v_min_i32_e32 v7, 31, v6
	v_cmp_eq_u32_e64 s10, 0, v6
	s_delay_alu instid0(VALU_DEP_2) | instskip(SKIP_1) | instid1(VALU_DEP_2)
	v_dual_cndmask_b32 v1, 0, v1, vcc_lo :: v_dual_lshlrev_b32 v7, 2, v7
	v_cndmask_b32_e32 v0, 3, v0, vcc_lo
	v_and_b32_e32 v7, 0xfc, v7
	s_delay_alu instid0(VALU_DEP_2) | instskip(NEXT) | instid1(VALU_DEP_2)
	v_cmp_eq_u64_e32 vcc_lo, 0, v[0:1]
	v_and_or_b32 v0, v0, 3, v7
	s_and_b32 s10, s10, vcc_lo
	s_delay_alu instid0(VALU_DEP_1) | instid1(SALU_CYCLE_1)
	v_cndmask_b32_e64 v0, v0, 0, s10
	s_delay_alu instid0(VALU_DEP_1)
	v_or_b32_e32 v83, v0, v8
.LBB6_2104:                             ;   in Loop: Header=BB6_130 Depth=2
	s_or_b32 exec_lo, exec_lo, s42
                                        ; implicit-def: $vgpr8
.LBB6_2105:                             ;   in Loop: Header=BB6_130 Depth=2
	s_and_not1_saveexec_b32 s10, s15
; %bb.2106:                             ;   in Loop: Header=BB6_130 Depth=2
	v_or_b32_e32 v83, 0x7b, v8
; %bb.2107:                             ;   in Loop: Header=BB6_130 Depth=2
	s_or_b32 exec_lo, exec_lo, s10
                                        ; implicit-def: $vgpr7
                                        ; implicit-def: $vgpr0
.LBB6_2108:                             ;   in Loop: Header=BB6_130 Depth=2
	s_and_not1_saveexec_b32 s10, s11
	s_cbranch_execz .LBB6_2114
; %bb.2109:                             ;   in Loop: Header=BB6_130 Depth=2
	s_mov_b32 s11, exec_lo
                                        ; implicit-def: $vgpr83
	v_cmpx_ne_u64_e32 0, v[24:25]
	s_xor_b32 s11, exec_lo, s11
; %bb.2110:                             ;   in Loop: Header=BB6_130 Depth=2
	v_or_b32_e32 v83, 0x7f, v0
                                        ; implicit-def: $vgpr7
; %bb.2111:                             ;   in Loop: Header=BB6_130 Depth=2
	s_and_not1_saveexec_b32 s11, s11
; %bb.2112:                             ;   in Loop: Header=BB6_130 Depth=2
	v_cmp_lt_i32_e32 vcc_lo, -1, v7
	v_cndmask_b32_e32 v83, 0xfc, v93, vcc_lo
; %bb.2113:                             ;   in Loop: Header=BB6_130 Depth=2
	s_or_b32 exec_lo, exec_lo, s11
.LBB6_2114:                             ;   in Loop: Header=BB6_130 Depth=2
	s_delay_alu instid0(SALU_CYCLE_1)
	s_or_b32 exec_lo, exec_lo, s10
	v_cmp_lt_u64_e64 s10, s[16:17], v[34:35]
	v_dual_lshrrev_b32 v6, 24, v35 :: v_dual_lshrrev_b32 v0, 24, v29
	s_and_not1_b32 vcc_lo, exec_lo, s14
	s_mov_b32 s11, -1
                                        ; implicit-def: $vgpr1
	s_cbranch_vccnz .LBB6_2136
; %bb.2115:                             ;   in Loop: Header=BB6_130 Depth=2
	v_dual_mov_b32 v7, 0 :: v_dual_mov_b32 v1, 0
	s_and_saveexec_b32 s11, s10
	s_cbranch_execz .LBB6_2125
; %bb.2116:                             ;   in Loop: Header=BB6_130 Depth=2
	v_bfrev_b32_e32 v1, 1
	s_mov_b32 s15, exec_lo
	v_cmpx_ne_u32_e32 0x80, v6
	s_cbranch_execz .LBB6_2124
; %bb.2117:                             ;   in Loop: Header=BB6_130 Depth=2
	v_and_b32_e32 v1, 0x7c000000, v35
	v_bfe_u32 v8, v35, 24, 2
	s_delay_alu instid0(VALU_DEP_2) | instskip(SKIP_1) | instid1(SALU_CYCLE_1)
	v_cmp_ne_u32_e32 vcc_lo, 0x7c000000, v1
                                        ; implicit-def: $vgpr1
	s_and_saveexec_b32 s42, vcc_lo
	s_xor_b32 s42, exec_lo, s42
	s_cbranch_execz .LBB6_2121
; %bb.2118:                             ;   in Loop: Header=BB6_130 Depth=2
	v_bfe_u32 v1, v35, 26, 5
	s_mov_b32 s43, exec_lo
	s_delay_alu instid0(VALU_DEP_1)
	v_cmpx_eq_u32_e32 0, v1
; %bb.2119:                             ;   in Loop: Header=BB6_130 Depth=2
	v_clz_i32_u32_e32 v1, v8
	s_delay_alu instid0(VALU_DEP_1) | instskip(NEXT) | instid1(VALU_DEP_1)
	v_min_u32_e32 v1, 32, v1
	v_subrev_nc_u32_e32 v8, 29, v1
	s_delay_alu instid0(VALU_DEP_1) | instskip(NEXT) | instid1(VALU_DEP_1)
	v_lshlrev_b64_e32 v[8:9], v8, v[6:7]
	v_dual_sub_nc_u32 v1, 30, v1 :: v_dual_bitop2_b32 v8, 3, v8 bitop3:0x40
; %bb.2120:                             ;   in Loop: Header=BB6_130 Depth=2
	s_or_b32 exec_lo, exec_lo, s43
	v_and_b32_e32 v9, 0x80000000, v35
	s_delay_alu instid0(VALU_DEP_1) | instskip(NEXT) | instid1(VALU_DEP_1)
	v_lshl_add_u32 v1, v1, 23, v9
	v_lshl_or_b32 v1, v8, 21, v1
                                        ; implicit-def: $vgpr8
	s_delay_alu instid0(VALU_DEP_1)
	v_add_nc_u32_e32 v1, 0x38000000, v1
.LBB6_2121:                             ;   in Loop: Header=BB6_130 Depth=2
	s_and_not1_saveexec_b32 s42, s42
; %bb.2122:                             ;   in Loop: Header=BB6_130 Depth=2
	v_cmp_lt_i64_e32 vcc_lo, -1, v[34:35]
	v_cndmask_b32_e32 v1, 0xff800000, v62, vcc_lo
	v_cmp_eq_u32_e32 vcc_lo, 0, v8
	s_delay_alu instid0(VALU_DEP_2)
	v_cndmask_b32_e32 v1, 0x7f800001, v1, vcc_lo
; %bb.2123:                             ;   in Loop: Header=BB6_130 Depth=2
	s_or_b32 exec_lo, exec_lo, s42
.LBB6_2124:                             ;   in Loop: Header=BB6_130 Depth=2
	s_delay_alu instid0(SALU_CYCLE_1)
	s_or_b32 exec_lo, exec_lo, s15
.LBB6_2125:                             ;   in Loop: Header=BB6_130 Depth=2
	s_delay_alu instid0(SALU_CYCLE_1) | instskip(NEXT) | instid1(SALU_CYCLE_1)
	s_or_b32 exec_lo, exec_lo, s11
	s_mov_b32 s11, exec_lo
	v_cmpx_lt_u64_e64 s[16:17], v[28:29]
	s_cbranch_execz .LBB6_2135
; %bb.2126:                             ;   in Loop: Header=BB6_130 Depth=2
	v_bfrev_b32_e32 v7, 1
	s_mov_b32 s15, exec_lo
	v_cmpx_ne_u32_e32 0x80, v0
	s_cbranch_execz .LBB6_2134
; %bb.2127:                             ;   in Loop: Header=BB6_130 Depth=2
	v_and_b32_e32 v7, 0x7c000000, v29
	v_bfe_u32 v8, v29, 24, 2
	s_delay_alu instid0(VALU_DEP_2) | instskip(SKIP_1) | instid1(SALU_CYCLE_1)
	v_cmp_ne_u32_e32 vcc_lo, 0x7c000000, v7
                                        ; implicit-def: $vgpr7
	s_and_saveexec_b32 s42, vcc_lo
	s_xor_b32 s42, exec_lo, s42
	s_cbranch_execz .LBB6_2131
; %bb.2128:                             ;   in Loop: Header=BB6_130 Depth=2
	v_bfe_u32 v7, v29, 26, 5
	s_mov_b32 s43, exec_lo
	s_delay_alu instid0(VALU_DEP_1)
	v_cmpx_eq_u32_e32 0, v7
; %bb.2129:                             ;   in Loop: Header=BB6_130 Depth=2
	v_clz_i32_u32_e32 v7, v8
	s_delay_alu instid0(VALU_DEP_1) | instskip(NEXT) | instid1(VALU_DEP_1)
	v_min_u32_e32 v7, 32, v7
	v_subrev_nc_u32_e32 v8, 29, v7
	s_delay_alu instid0(VALU_DEP_1) | instskip(NEXT) | instid1(VALU_DEP_1)
	v_lshlrev_b64_e32 v[8:9], v8, v[0:1]
	v_dual_sub_nc_u32 v7, 30, v7 :: v_dual_bitop2_b32 v8, 3, v8 bitop3:0x40
; %bb.2130:                             ;   in Loop: Header=BB6_130 Depth=2
	s_or_b32 exec_lo, exec_lo, s43
	v_and_b32_e32 v9, 0x80000000, v29
	s_delay_alu instid0(VALU_DEP_1) | instskip(NEXT) | instid1(VALU_DEP_1)
	v_lshl_add_u32 v7, v7, 23, v9
	v_lshl_or_b32 v7, v8, 21, v7
                                        ; implicit-def: $vgpr8
	s_delay_alu instid0(VALU_DEP_1)
	v_add_nc_u32_e32 v7, 0x38000000, v7
.LBB6_2131:                             ;   in Loop: Header=BB6_130 Depth=2
	s_and_not1_saveexec_b32 s42, s42
; %bb.2132:                             ;   in Loop: Header=BB6_130 Depth=2
	v_cmp_lt_i64_e32 vcc_lo, -1, v[28:29]
	v_cndmask_b32_e32 v7, 0xff800000, v62, vcc_lo
	v_cmp_eq_u32_e32 vcc_lo, 0, v8
	s_delay_alu instid0(VALU_DEP_2)
	v_cndmask_b32_e32 v7, 0x7f800001, v7, vcc_lo
; %bb.2133:                             ;   in Loop: Header=BB6_130 Depth=2
	s_or_b32 exec_lo, exec_lo, s42
.LBB6_2134:                             ;   in Loop: Header=BB6_130 Depth=2
	s_delay_alu instid0(SALU_CYCLE_1)
	s_or_b32 exec_lo, exec_lo, s15
.LBB6_2135:                             ;   in Loop: Header=BB6_130 Depth=2
	s_delay_alu instid0(SALU_CYCLE_1) | instskip(NEXT) | instid1(VALU_DEP_1)
	s_or_b32 exec_lo, exec_lo, s11
	v_dual_max_num_f32 v7, v7, v7 :: v_dual_max_num_f32 v1, v1, v1
	s_mov_b32 s11, 0
	s_delay_alu instid0(VALU_DEP_1)
	v_max_num_f32_e32 v1, v1, v7
.LBB6_2136:                             ;   in Loop: Header=BB6_130 Depth=2
	s_and_b32 vcc_lo, exec_lo, s11
	s_cbranch_vccz .LBB6_2158
; %bb.2137:                             ;   in Loop: Header=BB6_130 Depth=2
	v_dual_mov_b32 v7, 0 :: v_dual_mov_b32 v1, 0
	s_and_saveexec_b32 s11, s10
	s_cbranch_execz .LBB6_2147
; %bb.2138:                             ;   in Loop: Header=BB6_130 Depth=2
	v_bfrev_b32_e32 v1, 1
	s_mov_b32 s10, exec_lo
	v_cmpx_ne_u32_e32 0x80, v6
	s_cbranch_execz .LBB6_2146
; %bb.2139:                             ;   in Loop: Header=BB6_130 Depth=2
	v_and_b32_e32 v1, 0x7c000000, v35
	v_bfe_u32 v8, v35, 24, 2
	s_delay_alu instid0(VALU_DEP_2) | instskip(SKIP_1) | instid1(SALU_CYCLE_1)
	v_cmp_ne_u32_e32 vcc_lo, 0x7c000000, v1
                                        ; implicit-def: $vgpr1
	s_and_saveexec_b32 s15, vcc_lo
	s_xor_b32 s15, exec_lo, s15
	s_cbranch_execz .LBB6_2143
; %bb.2140:                             ;   in Loop: Header=BB6_130 Depth=2
	v_bfe_u32 v1, v35, 26, 5
	s_mov_b32 s42, exec_lo
	s_delay_alu instid0(VALU_DEP_1)
	v_cmpx_eq_u32_e32 0, v1
; %bb.2141:                             ;   in Loop: Header=BB6_130 Depth=2
	v_clz_i32_u32_e32 v1, v8
	s_delay_alu instid0(VALU_DEP_1) | instskip(NEXT) | instid1(VALU_DEP_1)
	v_min_u32_e32 v1, 32, v1
	v_subrev_nc_u32_e32 v8, 29, v1
	s_delay_alu instid0(VALU_DEP_1) | instskip(NEXT) | instid1(VALU_DEP_1)
	v_lshlrev_b64_e32 v[8:9], v8, v[6:7]
	v_dual_sub_nc_u32 v1, 30, v1 :: v_dual_bitop2_b32 v8, 3, v8 bitop3:0x40
; %bb.2142:                             ;   in Loop: Header=BB6_130 Depth=2
	s_or_b32 exec_lo, exec_lo, s42
	v_and_b32_e32 v6, 0x80000000, v35
                                        ; implicit-def: $vgpr34_vgpr35
	s_delay_alu instid0(VALU_DEP_1) | instskip(NEXT) | instid1(VALU_DEP_1)
	v_lshl_add_u32 v1, v1, 23, v6
	v_lshl_or_b32 v1, v8, 21, v1
                                        ; implicit-def: $vgpr8
	s_delay_alu instid0(VALU_DEP_1)
	v_add_nc_u32_e32 v1, 0x38000000, v1
.LBB6_2143:                             ;   in Loop: Header=BB6_130 Depth=2
	s_and_not1_saveexec_b32 s15, s15
; %bb.2144:                             ;   in Loop: Header=BB6_130 Depth=2
	v_cmp_lt_i64_e32 vcc_lo, -1, v[34:35]
	v_cndmask_b32_e32 v1, 0xff800000, v62, vcc_lo
	v_cmp_eq_u32_e32 vcc_lo, 0, v8
	s_delay_alu instid0(VALU_DEP_2)
	v_cndmask_b32_e32 v1, 0x7f800001, v1, vcc_lo
; %bb.2145:                             ;   in Loop: Header=BB6_130 Depth=2
	s_or_b32 exec_lo, exec_lo, s15
.LBB6_2146:                             ;   in Loop: Header=BB6_130 Depth=2
	s_delay_alu instid0(SALU_CYCLE_1)
	s_or_b32 exec_lo, exec_lo, s10
.LBB6_2147:                             ;   in Loop: Header=BB6_130 Depth=2
	s_delay_alu instid0(SALU_CYCLE_1) | instskip(NEXT) | instid1(SALU_CYCLE_1)
	s_or_b32 exec_lo, exec_lo, s11
	s_mov_b32 s10, exec_lo
	v_cmpx_lt_u64_e64 s[16:17], v[28:29]
	s_cbranch_execz .LBB6_2157
; %bb.2148:                             ;   in Loop: Header=BB6_130 Depth=2
	v_bfrev_b32_e32 v7, 1
	s_mov_b32 s11, exec_lo
	v_cmpx_ne_u32_e32 0x80, v0
	s_cbranch_execz .LBB6_2156
; %bb.2149:                             ;   in Loop: Header=BB6_130 Depth=2
	v_and_b32_e32 v7, 0x7c000000, v29
	v_bfe_u32 v6, v29, 24, 2
	s_delay_alu instid0(VALU_DEP_2) | instskip(SKIP_1) | instid1(SALU_CYCLE_1)
	v_cmp_ne_u32_e32 vcc_lo, 0x7c000000, v7
                                        ; implicit-def: $vgpr7
	s_and_saveexec_b32 s15, vcc_lo
	s_xor_b32 s15, exec_lo, s15
	s_cbranch_execz .LBB6_2153
; %bb.2150:                             ;   in Loop: Header=BB6_130 Depth=2
	v_bfe_u32 v7, v29, 26, 5
	s_mov_b32 s42, exec_lo
	s_delay_alu instid0(VALU_DEP_1)
	v_cmpx_eq_u32_e32 0, v7
; %bb.2151:                             ;   in Loop: Header=BB6_130 Depth=2
	v_clz_i32_u32_e32 v6, v6
	s_delay_alu instid0(VALU_DEP_1) | instskip(NEXT) | instid1(VALU_DEP_1)
	v_min_u32_e32 v8, 32, v6
	v_subrev_nc_u32_e32 v6, 29, v8
	s_delay_alu instid0(VALU_DEP_1) | instskip(NEXT) | instid1(VALU_DEP_1)
	v_lshlrev_b64_e32 v[6:7], v6, v[0:1]
	v_dual_sub_nc_u32 v7, 30, v8 :: v_dual_bitop2_b32 v6, 3, v6 bitop3:0x40
; %bb.2152:                             ;   in Loop: Header=BB6_130 Depth=2
	s_or_b32 exec_lo, exec_lo, s42
	v_and_b32_e32 v0, 0x80000000, v29
                                        ; implicit-def: $vgpr28_vgpr29
	s_delay_alu instid0(VALU_DEP_1) | instskip(NEXT) | instid1(VALU_DEP_1)
	v_lshl_add_u32 v0, v7, 23, v0
	v_lshl_or_b32 v0, v6, 21, v0
                                        ; implicit-def: $vgpr6
	s_delay_alu instid0(VALU_DEP_1)
	v_add_nc_u32_e32 v7, 0x38000000, v0
.LBB6_2153:                             ;   in Loop: Header=BB6_130 Depth=2
	s_and_not1_saveexec_b32 s15, s15
; %bb.2154:                             ;   in Loop: Header=BB6_130 Depth=2
	v_cmp_lt_i64_e32 vcc_lo, -1, v[28:29]
	v_cndmask_b32_e32 v0, 0xff800000, v62, vcc_lo
	v_cmp_eq_u32_e32 vcc_lo, 0, v6
	s_delay_alu instid0(VALU_DEP_2)
	v_cndmask_b32_e32 v7, 0x7f800001, v0, vcc_lo
; %bb.2155:                             ;   in Loop: Header=BB6_130 Depth=2
	s_or_b32 exec_lo, exec_lo, s15
.LBB6_2156:                             ;   in Loop: Header=BB6_130 Depth=2
	s_delay_alu instid0(SALU_CYCLE_1)
	s_or_b32 exec_lo, exec_lo, s11
.LBB6_2157:                             ;   in Loop: Header=BB6_130 Depth=2
	s_delay_alu instid0(SALU_CYCLE_1) | instskip(NEXT) | instid1(VALU_DEP_1)
	s_or_b32 exec_lo, exec_lo, s10
	v_dual_max_num_f32 v0, v7, v7 :: v_dual_max_num_f32 v1, v1, v1
	s_delay_alu instid0(VALU_DEP_1)
	v_min_num_f32_e32 v1, v1, v0
.LBB6_2158:                             ;   in Loop: Header=BB6_130 Depth=2
	s_delay_alu instid0(VALU_DEP_1) | instskip(SKIP_3) | instid1(VALU_DEP_2)
	v_and_b32_e32 v6, 0x7f800000, v1
	v_dual_mov_b32 v7, v25 :: v_dual_lshrrev_b32 v0, 24, v1
	v_and_b32_e32 v24, 0x7fffff, v1
                                        ; implicit-def: $vgpr28
	s_mov_b32 s10, exec_lo
	v_cmpx_ne_u64_e32 0x7f800000, v[6:7]
	s_xor_b32 s11, exec_lo, s10
	s_cbranch_execz .LBB6_2172
; %bb.2159:                             ;   in Loop: Header=BB6_130 Depth=2
	v_and_b32_e32 v6, 0x7fffffff, v1
	v_mov_b32_e32 v7, v25
	v_and_b32_e32 v8, 0x80, v0
                                        ; implicit-def: $vgpr28
	s_mov_b32 s10, exec_lo
	s_delay_alu instid0(VALU_DEP_2)
	v_cmpx_gt_u64_e32 0x47600001, v[6:7]
	s_xor_b32 s15, exec_lo, s10
	s_cbranch_execz .LBB6_2169
; %bb.2160:                             ;   in Loop: Header=BB6_130 Depth=2
	v_mov_b32_e32 v28, 0
	s_mov_b32 s42, exec_lo
	v_cmpx_ne_u32_e32 0, v1
	s_cbranch_execz .LBB6_2168
; %bb.2161:                             ;   in Loop: Header=BB6_130 Depth=2
	v_bfe_u32 v9, v1, 23, 8
	v_or_b32_e32 v6, 0x800000, v24
	s_delay_alu instid0(VALU_DEP_2) | instskip(SKIP_1) | instid1(VALU_DEP_2)
	v_sub_nc_u32_e32 v0, 0x71, v9
	v_cmp_gt_u32_e32 vcc_lo, 0x72, v9
	v_cndmask_b32_e32 v0, 0, v0, vcc_lo
	v_cmp_eq_u32_e32 vcc_lo, 0, v9
	s_delay_alu instid0(VALU_DEP_2) | instskip(SKIP_1) | instid1(VALU_DEP_2)
	v_cndmask_b32_e64 v28, v0, 0x70, vcc_lo
	v_cndmask_b32_e32 v24, v6, v24, vcc_lo
	v_dual_add_nc_u32 v0, 21, v28 :: v_dual_add_nc_u32 v7, 20, v28
	s_delay_alu instid0(VALU_DEP_1) | instskip(NEXT) | instid1(VALU_DEP_2)
	v_lshlrev_b64_e64 v[0:1], v0, -1
	v_lshlrev_b64_e64 v[6:7], v7, 1
	s_delay_alu instid0(VALU_DEP_2) | instskip(NEXT) | instid1(VALU_DEP_3)
	v_bfi_b32 v35, v1, 0, 0
	v_bfi_b32 v34, v0, 0, v24
	v_lshrrev_b64 v[0:1], v28, v[24:25]
	s_delay_alu instid0(VALU_DEP_2) | instskip(NEXT) | instid1(VALU_DEP_2)
	v_cmp_eq_u64_e64 s10, v[34:35], v[6:7]
	v_mov_b64_e32 v[6:7], v[0:1]
	s_and_saveexec_b32 s43, s10
; %bb.2162:                             ;   in Loop: Header=BB6_130 Depth=2
	v_bfe_u32 v24, v0, 21, 1
	s_delay_alu instid0(VALU_DEP_1) | instskip(NEXT) | instid1(VALU_DEP_1)
	v_add_nc_u64_e32 v[6:7], v[0:1], v[24:25]
	v_add_nc_u64_e32 v[6:7], -1, v[6:7]
; %bb.2163:                             ;   in Loop: Header=BB6_130 Depth=2
	s_or_b32 exec_lo, exec_lo, s43
	v_add_nc_u32_e32 v1, 0xffffff81, v9
	v_lshrrev_b32_e32 v7, 23, v0
	s_mov_b32 s10, exec_lo
	s_delay_alu instid0(VALU_DEP_2) | instskip(NEXT) | instid1(VALU_DEP_1)
	v_cndmask_b32_e64 v1, v1, 0xffffff82, vcc_lo
	v_add3_u32 v7, v28, v1, v7
	v_and_b32_e32 v1, 0x1fffff, v6
                                        ; implicit-def: $vgpr6
	s_delay_alu instid0(VALU_DEP_1) | instskip(NEXT) | instid1(VALU_DEP_1)
	v_dual_add_nc_u32 v9, 14, v7 :: v_dual_add_nc_u32 v24, v1, v0
                                        ; implicit-def: $vgpr0_vgpr1
	v_cmpx_ne_u32_e32 0, v9
	s_xor_b32 s10, exec_lo, s10
; %bb.2164:                             ;   in Loop: Header=BB6_130 Depth=2
	s_delay_alu instid0(VALU_DEP_2) | instskip(SKIP_1) | instid1(VALU_DEP_1)
	v_cmp_lt_u64_e32 vcc_lo, 0xffffff, v[24:25]
	v_add_nc_u32_e32 v0, 15, v7
	v_cndmask_b32_e32 v6, v9, v0, vcc_lo
	v_cndmask_b32_e64 v0, 0, 1, vcc_lo
	s_delay_alu instid0(VALU_DEP_1)
	v_lshrrev_b64 v[0:1], v0, v[24:25]
; %bb.2165:                             ;   in Loop: Header=BB6_130 Depth=2
	s_and_not1_saveexec_b32 s10, s10
; %bb.2166:                             ;   in Loop: Header=BB6_130 Depth=2
	v_mov_b64_e32 v[0:1], v[24:25]
	v_bfe_u32 v6, v24, 23, 1
; %bb.2167:                             ;   in Loop: Header=BB6_130 Depth=2
	s_or_b32 exec_lo, exec_lo, s10
	s_delay_alu instid0(VALU_DEP_2) | instskip(NEXT) | instid1(VALU_DEP_2)
	v_lshrrev_b64 v[0:1], 21, v[0:1]
	v_cmp_gt_i32_e32 vcc_lo, 32, v6
	v_min_i32_e32 v7, 31, v6
	v_cmp_eq_u32_e64 s10, 0, v6
	s_delay_alu instid0(VALU_DEP_2) | instskip(SKIP_1) | instid1(VALU_DEP_2)
	v_dual_cndmask_b32 v1, 0, v1, vcc_lo :: v_dual_lshlrev_b32 v7, 2, v7
	v_cndmask_b32_e32 v0, 3, v0, vcc_lo
	v_and_b32_e32 v7, 0xfc, v7
	s_delay_alu instid0(VALU_DEP_2) | instskip(NEXT) | instid1(VALU_DEP_2)
	v_cmp_eq_u64_e32 vcc_lo, 0, v[0:1]
	v_and_or_b32 v0, v0, 3, v7
	s_and_b32 s10, s10, vcc_lo
	s_delay_alu instid0(VALU_DEP_1) | instid1(SALU_CYCLE_1)
	v_cndmask_b32_e64 v0, v0, 0, s10
	s_delay_alu instid0(VALU_DEP_1)
	v_or_b32_e32 v28, v0, v8
.LBB6_2168:                             ;   in Loop: Header=BB6_130 Depth=2
	s_or_b32 exec_lo, exec_lo, s42
                                        ; implicit-def: $vgpr8
.LBB6_2169:                             ;   in Loop: Header=BB6_130 Depth=2
	s_and_not1_saveexec_b32 s10, s15
; %bb.2170:                             ;   in Loop: Header=BB6_130 Depth=2
	v_or_b32_e32 v28, 0x7b, v8
; %bb.2171:                             ;   in Loop: Header=BB6_130 Depth=2
	s_or_b32 exec_lo, exec_lo, s10
                                        ; implicit-def: $vgpr1
                                        ; implicit-def: $vgpr0
.LBB6_2172:                             ;   in Loop: Header=BB6_130 Depth=2
	s_and_not1_saveexec_b32 s10, s11
	s_cbranch_execz .LBB6_2178
; %bb.2173:                             ;   in Loop: Header=BB6_130 Depth=2
	s_mov_b32 s11, exec_lo
                                        ; implicit-def: $vgpr28
	v_cmpx_ne_u64_e32 0, v[24:25]
	s_xor_b32 s11, exec_lo, s11
; %bb.2174:                             ;   in Loop: Header=BB6_130 Depth=2
	v_or_b32_e32 v28, 0x7f, v0
                                        ; implicit-def: $vgpr1
; %bb.2175:                             ;   in Loop: Header=BB6_130 Depth=2
	s_and_not1_saveexec_b32 s11, s11
; %bb.2176:                             ;   in Loop: Header=BB6_130 Depth=2
	v_cmp_lt_i32_e32 vcc_lo, -1, v1
	v_cndmask_b32_e32 v28, 0xfc, v93, vcc_lo
; %bb.2177:                             ;   in Loop: Header=BB6_130 Depth=2
	s_or_b32 exec_lo, exec_lo, s11
.LBB6_2178:                             ;   in Loop: Header=BB6_130 Depth=2
	s_delay_alu instid0(SALU_CYCLE_1)
	s_or_b32 exec_lo, exec_lo, s10
	v_and_b32_e32 v6, 0xff, v2
	v_bfe_i32 v1, v2, 0, 8
	s_wait_loadcnt 0x1
	v_bfe_i32 v0, v18, 0, 8
	s_and_not1_b32 vcc_lo, exec_lo, s14
	s_mov_b32 s11, -1
	v_cmp_ne_u16_e64 s10, 0, v6
                                        ; implicit-def: $vgpr6
	s_cbranch_vccnz .LBB6_2200
; %bb.2179:                             ;   in Loop: Header=BB6_130 Depth=2
	v_dual_mov_b32 v7, 0 :: v_dual_mov_b32 v6, 0
	s_and_saveexec_b32 s11, s10
	s_cbranch_execz .LBB6_2189
; %bb.2180:                             ;   in Loop: Header=BB6_130 Depth=2
	v_bfrev_b32_e32 v6, 1
	s_mov_b32 s15, exec_lo
	v_cmpx_ne_u16_e32 0xff80, v1
	s_cbranch_execz .LBB6_2188
; %bb.2181:                             ;   in Loop: Header=BB6_130 Depth=2
	v_and_b32_e32 v6, 0x7c, v2
	v_and_b32_e32 v8, 3, v2
	s_delay_alu instid0(VALU_DEP_2) | instskip(SKIP_1) | instid1(SALU_CYCLE_1)
	v_cmp_ne_u32_e32 vcc_lo, 0x7c, v6
                                        ; implicit-def: $vgpr6
	s_and_saveexec_b32 s42, vcc_lo
	s_xor_b32 s42, exec_lo, s42
	s_cbranch_execz .LBB6_2185
; %bb.2182:                             ;   in Loop: Header=BB6_130 Depth=2
	v_bfe_u32 v6, v2, 2, 5
	s_mov_b32 s43, exec_lo
	s_delay_alu instid0(VALU_DEP_1)
	v_cmpx_eq_u32_e32 0, v6
; %bb.2183:                             ;   in Loop: Header=BB6_130 Depth=2
	v_clz_i32_u32_e32 v6, v8
	s_delay_alu instid0(VALU_DEP_1) | instskip(NEXT) | instid1(VALU_DEP_1)
	v_min_u32_e32 v6, 32, v6
	v_subrev_nc_u32_e32 v8, 29, v6
	s_delay_alu instid0(VALU_DEP_1) | instskip(NEXT) | instid1(VALU_DEP_1)
	v_lshlrev_b64_e32 v[8:9], v8, v[2:3]
	v_dual_sub_nc_u32 v6, 30, v6 :: v_dual_bitop2_b32 v8, 3, v8 bitop3:0x40
; %bb.2184:                             ;   in Loop: Header=BB6_130 Depth=2
	s_or_b32 exec_lo, exec_lo, s43
	v_lshlrev_b32_e32 v9, 24, v2
	s_delay_alu instid0(VALU_DEP_1) | instskip(NEXT) | instid1(VALU_DEP_1)
	v_and_b32_e32 v9, 0x80000000, v9
	v_lshl_add_u32 v6, v6, 23, v9
	s_delay_alu instid0(VALU_DEP_1) | instskip(NEXT) | instid1(VALU_DEP_1)
	v_lshl_or_b32 v6, v8, 21, v6
                                        ; implicit-def: $vgpr8
	v_add_nc_u32_e32 v6, 0x38000000, v6
.LBB6_2185:                             ;   in Loop: Header=BB6_130 Depth=2
	s_and_not1_saveexec_b32 s42, s42
; %bb.2186:                             ;   in Loop: Header=BB6_130 Depth=2
	v_cmp_lt_i16_e32 vcc_lo, -1, v1
	v_cndmask_b32_e32 v6, 0xff800000, v62, vcc_lo
	v_cmp_eq_u32_e32 vcc_lo, 0, v8
	s_delay_alu instid0(VALU_DEP_2)
	v_cndmask_b32_e32 v6, 0x7f800001, v6, vcc_lo
; %bb.2187:                             ;   in Loop: Header=BB6_130 Depth=2
	s_or_b32 exec_lo, exec_lo, s42
.LBB6_2188:                             ;   in Loop: Header=BB6_130 Depth=2
	s_delay_alu instid0(SALU_CYCLE_1)
	s_or_b32 exec_lo, exec_lo, s15
.LBB6_2189:                             ;   in Loop: Header=BB6_130 Depth=2
	s_delay_alu instid0(SALU_CYCLE_1) | instskip(NEXT) | instid1(SALU_CYCLE_1)
	s_or_b32 exec_lo, exec_lo, s11
	s_mov_b32 s11, exec_lo
	v_cmpx_ne_u16_e32 0, v0
	s_cbranch_execz .LBB6_2199
; %bb.2190:                             ;   in Loop: Header=BB6_130 Depth=2
	v_bfrev_b32_e32 v7, 1
	s_mov_b32 s15, exec_lo
	v_cmpx_ne_u16_e32 0xff80, v0
	s_cbranch_execz .LBB6_2198
; %bb.2191:                             ;   in Loop: Header=BB6_130 Depth=2
	v_and_b32_e32 v7, 0x7c, v18
	v_and_b32_e32 v8, 3, v18
	s_delay_alu instid0(VALU_DEP_2) | instskip(SKIP_1) | instid1(SALU_CYCLE_1)
	v_cmp_ne_u32_e32 vcc_lo, 0x7c, v7
                                        ; implicit-def: $vgpr7
	s_and_saveexec_b32 s42, vcc_lo
	s_xor_b32 s42, exec_lo, s42
	s_cbranch_execz .LBB6_2195
; %bb.2192:                             ;   in Loop: Header=BB6_130 Depth=2
	v_bfe_u32 v7, v18, 2, 5
	s_mov_b32 s43, exec_lo
	s_delay_alu instid0(VALU_DEP_1)
	v_cmpx_eq_u32_e32 0, v7
; %bb.2193:                             ;   in Loop: Header=BB6_130 Depth=2
	v_clz_i32_u32_e32 v7, v8
	s_delay_alu instid0(VALU_DEP_1) | instskip(NEXT) | instid1(VALU_DEP_1)
	v_min_u32_e32 v7, 32, v7
	v_subrev_nc_u32_e32 v8, 29, v7
	s_delay_alu instid0(VALU_DEP_1) | instskip(NEXT) | instid1(VALU_DEP_1)
	v_lshlrev_b64_e32 v[8:9], v8, v[18:19]
	v_dual_sub_nc_u32 v7, 30, v7 :: v_dual_bitop2_b32 v8, 3, v8 bitop3:0x40
; %bb.2194:                             ;   in Loop: Header=BB6_130 Depth=2
	s_or_b32 exec_lo, exec_lo, s43
	v_lshlrev_b32_e32 v9, 24, v18
	s_delay_alu instid0(VALU_DEP_1) | instskip(NEXT) | instid1(VALU_DEP_1)
	v_and_b32_e32 v9, 0x80000000, v9
	v_lshl_add_u32 v7, v7, 23, v9
	s_delay_alu instid0(VALU_DEP_1) | instskip(NEXT) | instid1(VALU_DEP_1)
	v_lshl_or_b32 v7, v8, 21, v7
                                        ; implicit-def: $vgpr8
	v_add_nc_u32_e32 v7, 0x38000000, v7
.LBB6_2195:                             ;   in Loop: Header=BB6_130 Depth=2
	s_and_not1_saveexec_b32 s42, s42
; %bb.2196:                             ;   in Loop: Header=BB6_130 Depth=2
	v_cmp_lt_i16_e32 vcc_lo, -1, v0
	v_cndmask_b32_e32 v7, 0xff800000, v62, vcc_lo
	v_cmp_eq_u32_e32 vcc_lo, 0, v8
	s_delay_alu instid0(VALU_DEP_2)
	v_cndmask_b32_e32 v7, 0x7f800001, v7, vcc_lo
; %bb.2197:                             ;   in Loop: Header=BB6_130 Depth=2
	s_or_b32 exec_lo, exec_lo, s42
.LBB6_2198:                             ;   in Loop: Header=BB6_130 Depth=2
	s_delay_alu instid0(SALU_CYCLE_1)
	s_or_b32 exec_lo, exec_lo, s15
.LBB6_2199:                             ;   in Loop: Header=BB6_130 Depth=2
	s_delay_alu instid0(SALU_CYCLE_1) | instskip(NEXT) | instid1(VALU_DEP_1)
	s_or_b32 exec_lo, exec_lo, s11
	v_dual_max_num_f32 v7, v7, v7 :: v_dual_max_num_f32 v6, v6, v6
	s_mov_b32 s11, 0
	s_delay_alu instid0(VALU_DEP_1)
	v_max_num_f32_e32 v6, v6, v7
.LBB6_2200:                             ;   in Loop: Header=BB6_130 Depth=2
	s_and_b32 vcc_lo, exec_lo, s11
	s_cbranch_vccz .LBB6_2222
; %bb.2201:                             ;   in Loop: Header=BB6_130 Depth=2
	v_dual_mov_b32 v7, 0 :: v_dual_mov_b32 v6, 0
	s_and_saveexec_b32 s11, s10
	s_cbranch_execz .LBB6_2211
; %bb.2202:                             ;   in Loop: Header=BB6_130 Depth=2
	v_bfrev_b32_e32 v6, 1
	s_mov_b32 s10, exec_lo
	v_cmpx_ne_u16_e32 0xff80, v1
	s_cbranch_execz .LBB6_2210
; %bb.2203:                             ;   in Loop: Header=BB6_130 Depth=2
	v_and_b32_e32 v6, 0x7c, v2
	v_and_b32_e32 v8, 3, v2
	s_delay_alu instid0(VALU_DEP_2) | instskip(SKIP_1) | instid1(SALU_CYCLE_1)
	v_cmp_ne_u32_e32 vcc_lo, 0x7c, v6
                                        ; implicit-def: $vgpr6
	s_and_saveexec_b32 s15, vcc_lo
	s_xor_b32 s15, exec_lo, s15
	s_cbranch_execz .LBB6_2207
; %bb.2204:                             ;   in Loop: Header=BB6_130 Depth=2
	v_bfe_u32 v1, v2, 2, 5
	s_mov_b32 s42, exec_lo
	s_delay_alu instid0(VALU_DEP_1)
	v_cmpx_eq_u32_e32 0, v1
; %bb.2205:                             ;   in Loop: Header=BB6_130 Depth=2
	v_clz_i32_u32_e32 v1, v8
	s_delay_alu instid0(VALU_DEP_1) | instskip(NEXT) | instid1(VALU_DEP_1)
	v_min_u32_e32 v1, 32, v1
	v_subrev_nc_u32_e32 v6, 29, v1
	s_delay_alu instid0(VALU_DEP_1) | instskip(NEXT) | instid1(VALU_DEP_1)
	v_lshlrev_b64_e32 v[8:9], v6, v[2:3]
	v_dual_sub_nc_u32 v1, 30, v1 :: v_dual_bitop2_b32 v8, 3, v8 bitop3:0x40
; %bb.2206:                             ;   in Loop: Header=BB6_130 Depth=2
	s_or_b32 exec_lo, exec_lo, s42
	v_lshlrev_b32_e32 v6, 24, v2
	s_delay_alu instid0(VALU_DEP_1) | instskip(NEXT) | instid1(VALU_DEP_1)
	v_and_b32_e32 v6, 0x80000000, v6
	v_lshl_add_u32 v1, v1, 23, v6
	s_delay_alu instid0(VALU_DEP_1) | instskip(NEXT) | instid1(VALU_DEP_1)
	v_lshl_or_b32 v1, v8, 21, v1
                                        ; implicit-def: $vgpr8
	v_add_nc_u32_e32 v6, 0x38000000, v1
                                        ; implicit-def: $vgpr1
.LBB6_2207:                             ;   in Loop: Header=BB6_130 Depth=2
	s_and_not1_saveexec_b32 s15, s15
; %bb.2208:                             ;   in Loop: Header=BB6_130 Depth=2
	v_cmp_lt_i16_e32 vcc_lo, -1, v1
	v_cndmask_b32_e32 v1, 0xff800000, v62, vcc_lo
	v_cmp_eq_u32_e32 vcc_lo, 0, v8
	s_delay_alu instid0(VALU_DEP_2)
	v_cndmask_b32_e32 v6, 0x7f800001, v1, vcc_lo
; %bb.2209:                             ;   in Loop: Header=BB6_130 Depth=2
	s_or_b32 exec_lo, exec_lo, s15
.LBB6_2210:                             ;   in Loop: Header=BB6_130 Depth=2
	s_delay_alu instid0(SALU_CYCLE_1)
	s_or_b32 exec_lo, exec_lo, s10
.LBB6_2211:                             ;   in Loop: Header=BB6_130 Depth=2
	s_delay_alu instid0(SALU_CYCLE_1) | instskip(NEXT) | instid1(SALU_CYCLE_1)
	s_or_b32 exec_lo, exec_lo, s11
	s_mov_b32 s10, exec_lo
	v_cmpx_ne_u16_e32 0, v0
	s_cbranch_execz .LBB6_2221
; %bb.2212:                             ;   in Loop: Header=BB6_130 Depth=2
	v_bfrev_b32_e32 v7, 1
	s_mov_b32 s11, exec_lo
	v_cmpx_ne_u16_e32 0xff80, v0
	s_cbranch_execz .LBB6_2220
; %bb.2213:                             ;   in Loop: Header=BB6_130 Depth=2
	v_and_b32_e32 v7, 0x7c, v18
	v_and_b32_e32 v1, 3, v18
	s_delay_alu instid0(VALU_DEP_2) | instskip(SKIP_1) | instid1(SALU_CYCLE_1)
	v_cmp_ne_u32_e32 vcc_lo, 0x7c, v7
                                        ; implicit-def: $vgpr7
	s_and_saveexec_b32 s15, vcc_lo
	s_xor_b32 s15, exec_lo, s15
	s_cbranch_execz .LBB6_2217
; %bb.2214:                             ;   in Loop: Header=BB6_130 Depth=2
	v_bfe_u32 v0, v18, 2, 5
	s_mov_b32 s42, exec_lo
	s_delay_alu instid0(VALU_DEP_1)
	v_cmpx_eq_u32_e32 0, v0
; %bb.2215:                             ;   in Loop: Header=BB6_130 Depth=2
	v_clz_i32_u32_e32 v0, v1
	s_delay_alu instid0(VALU_DEP_1) | instskip(NEXT) | instid1(VALU_DEP_1)
	v_min_u32_e32 v0, 32, v0
	v_subrev_nc_u32_e32 v1, 29, v0
	v_sub_nc_u32_e32 v0, 30, v0
	s_delay_alu instid0(VALU_DEP_2) | instskip(NEXT) | instid1(VALU_DEP_1)
	v_lshlrev_b64_e32 v[8:9], v1, v[18:19]
	v_and_b32_e32 v1, 3, v8
; %bb.2216:                             ;   in Loop: Header=BB6_130 Depth=2
	s_or_b32 exec_lo, exec_lo, s42
	v_lshlrev_b32_e32 v7, 24, v18
	s_delay_alu instid0(VALU_DEP_1) | instskip(NEXT) | instid1(VALU_DEP_1)
	v_and_b32_e32 v7, 0x80000000, v7
	v_lshl_add_u32 v0, v0, 23, v7
	s_delay_alu instid0(VALU_DEP_1) | instskip(NEXT) | instid1(VALU_DEP_1)
	v_lshl_or_b32 v0, v1, 21, v0
                                        ; implicit-def: $vgpr1
	v_add_nc_u32_e32 v7, 0x38000000, v0
                                        ; implicit-def: $vgpr0
.LBB6_2217:                             ;   in Loop: Header=BB6_130 Depth=2
	s_and_not1_saveexec_b32 s15, s15
; %bb.2218:                             ;   in Loop: Header=BB6_130 Depth=2
	v_cmp_lt_i16_e32 vcc_lo, -1, v0
	v_cndmask_b32_e32 v0, 0xff800000, v62, vcc_lo
	v_cmp_eq_u32_e32 vcc_lo, 0, v1
	s_delay_alu instid0(VALU_DEP_2)
	v_cndmask_b32_e32 v7, 0x7f800001, v0, vcc_lo
; %bb.2219:                             ;   in Loop: Header=BB6_130 Depth=2
	s_or_b32 exec_lo, exec_lo, s15
.LBB6_2220:                             ;   in Loop: Header=BB6_130 Depth=2
	s_delay_alu instid0(SALU_CYCLE_1)
	s_or_b32 exec_lo, exec_lo, s11
.LBB6_2221:                             ;   in Loop: Header=BB6_130 Depth=2
	s_delay_alu instid0(SALU_CYCLE_1) | instskip(NEXT) | instid1(VALU_DEP_1)
	s_or_b32 exec_lo, exec_lo, s10
	v_dual_max_num_f32 v0, v7, v7 :: v_dual_max_num_f32 v1, v6, v6
	s_delay_alu instid0(VALU_DEP_1)
	v_min_num_f32_e32 v6, v1, v0
.LBB6_2222:                             ;   in Loop: Header=BB6_130 Depth=2
	s_delay_alu instid0(VALU_DEP_1) | instskip(SKIP_2) | instid1(VALU_DEP_2)
	v_and_b32_e32 v0, 0x7f800000, v6
	v_mov_b32_e32 v1, v25
	v_and_b32_e32 v24, 0x7fffff, v6
                                        ; implicit-def: $vgpr29
	v_cmp_ne_u64_e32 vcc_lo, 0x7f800000, v[0:1]
	v_lshrrev_b32_e32 v0, 24, v6
	s_and_saveexec_b32 s10, vcc_lo
	s_delay_alu instid0(SALU_CYCLE_1)
	s_xor_b32 s11, exec_lo, s10
	s_cbranch_execz .LBB6_2236
; %bb.2223:                             ;   in Loop: Header=BB6_130 Depth=2
	v_and_b32_e32 v8, 0x7fffffff, v6
	v_mov_b32_e32 v9, v25
                                        ; implicit-def: $vgpr29
	s_delay_alu instid0(VALU_DEP_1) | instskip(SKIP_2) | instid1(SALU_CYCLE_1)
	v_cmp_gt_u64_e32 vcc_lo, 0x47600001, v[8:9]
	v_and_b32_e32 v8, 0x80, v0
	s_and_saveexec_b32 s10, vcc_lo
	s_xor_b32 s15, exec_lo, s10
	s_cbranch_execz .LBB6_2233
; %bb.2224:                             ;   in Loop: Header=BB6_130 Depth=2
	v_mov_b32_e32 v29, 0
	s_mov_b32 s42, exec_lo
	v_cmpx_ne_u32_e32 0, v6
	s_cbranch_execz .LBB6_2232
; %bb.2225:                             ;   in Loop: Header=BB6_130 Depth=2
	v_bfe_u32 v9, v6, 23, 8
	v_or_b32_e32 v6, 0x800000, v24
	s_delay_alu instid0(VALU_DEP_2) | instskip(SKIP_1) | instid1(VALU_DEP_2)
	v_sub_nc_u32_e32 v0, 0x71, v9
	v_cmp_gt_u32_e32 vcc_lo, 0x72, v9
	v_cndmask_b32_e32 v0, 0, v0, vcc_lo
	v_cmp_eq_u32_e32 vcc_lo, 0, v9
	s_delay_alu instid0(VALU_DEP_2) | instskip(NEXT) | instid1(VALU_DEP_1)
	v_cndmask_b32_e64 v29, v0, 0x70, vcc_lo
	v_dual_cndmask_b32 v24, v6, v24, vcc_lo :: v_dual_add_nc_u32 v0, 21, v29
	v_add_nc_u32_e32 v7, 20, v29
	s_delay_alu instid0(VALU_DEP_2) | instskip(NEXT) | instid1(VALU_DEP_2)
	v_lshlrev_b64_e64 v[0:1], v0, -1
	v_lshlrev_b64_e64 v[6:7], v7, 1
	s_delay_alu instid0(VALU_DEP_2) | instskip(NEXT) | instid1(VALU_DEP_3)
	v_bfi_b32 v35, v1, 0, 0
	v_bfi_b32 v34, v0, 0, v24
	v_lshrrev_b64 v[0:1], v29, v[24:25]
	s_delay_alu instid0(VALU_DEP_2) | instskip(NEXT) | instid1(VALU_DEP_2)
	v_cmp_eq_u64_e64 s10, v[34:35], v[6:7]
	v_mov_b64_e32 v[6:7], v[0:1]
	s_and_saveexec_b32 s43, s10
; %bb.2226:                             ;   in Loop: Header=BB6_130 Depth=2
	v_bfe_u32 v24, v0, 21, 1
	s_delay_alu instid0(VALU_DEP_1) | instskip(NEXT) | instid1(VALU_DEP_1)
	v_add_nc_u64_e32 v[6:7], v[0:1], v[24:25]
	v_add_nc_u64_e32 v[6:7], -1, v[6:7]
; %bb.2227:                             ;   in Loop: Header=BB6_130 Depth=2
	s_or_b32 exec_lo, exec_lo, s43
	v_add_nc_u32_e32 v1, 0xffffff81, v9
	v_lshrrev_b32_e32 v7, 23, v0
	s_mov_b32 s10, exec_lo
	s_delay_alu instid0(VALU_DEP_2) | instskip(NEXT) | instid1(VALU_DEP_1)
	v_cndmask_b32_e64 v1, v1, 0xffffff82, vcc_lo
	v_add3_u32 v7, v29, v1, v7
	v_and_b32_e32 v1, 0x1fffff, v6
                                        ; implicit-def: $vgpr6
	s_delay_alu instid0(VALU_DEP_1) | instskip(NEXT) | instid1(VALU_DEP_1)
	v_dual_add_nc_u32 v9, 14, v7 :: v_dual_add_nc_u32 v24, v1, v0
                                        ; implicit-def: $vgpr0_vgpr1
	v_cmpx_ne_u32_e32 0, v9
	s_xor_b32 s10, exec_lo, s10
; %bb.2228:                             ;   in Loop: Header=BB6_130 Depth=2
	s_delay_alu instid0(VALU_DEP_2) | instskip(SKIP_1) | instid1(VALU_DEP_1)
	v_cmp_lt_u64_e32 vcc_lo, 0xffffff, v[24:25]
	v_add_nc_u32_e32 v0, 15, v7
	v_cndmask_b32_e32 v6, v9, v0, vcc_lo
	v_cndmask_b32_e64 v0, 0, 1, vcc_lo
	s_delay_alu instid0(VALU_DEP_1)
	v_lshrrev_b64 v[0:1], v0, v[24:25]
; %bb.2229:                             ;   in Loop: Header=BB6_130 Depth=2
	s_and_not1_saveexec_b32 s10, s10
; %bb.2230:                             ;   in Loop: Header=BB6_130 Depth=2
	v_mov_b64_e32 v[0:1], v[24:25]
	v_bfe_u32 v6, v24, 23, 1
; %bb.2231:                             ;   in Loop: Header=BB6_130 Depth=2
	s_or_b32 exec_lo, exec_lo, s10
	s_delay_alu instid0(VALU_DEP_2) | instskip(NEXT) | instid1(VALU_DEP_2)
	v_lshrrev_b64 v[0:1], 21, v[0:1]
	v_cmp_gt_i32_e32 vcc_lo, 32, v6
	v_min_i32_e32 v7, 31, v6
	v_cmp_eq_u32_e64 s10, 0, v6
	s_delay_alu instid0(VALU_DEP_2) | instskip(SKIP_1) | instid1(VALU_DEP_2)
	v_dual_cndmask_b32 v1, 0, v1, vcc_lo :: v_dual_lshlrev_b32 v7, 2, v7
	v_cndmask_b32_e32 v0, 3, v0, vcc_lo
	v_and_b32_e32 v7, 0xfc, v7
	s_delay_alu instid0(VALU_DEP_2) | instskip(NEXT) | instid1(VALU_DEP_2)
	v_cmp_eq_u64_e32 vcc_lo, 0, v[0:1]
	v_and_or_b32 v0, v0, 3, v7
	s_and_b32 s10, s10, vcc_lo
	s_delay_alu instid0(VALU_DEP_1) | instid1(SALU_CYCLE_1)
	v_cndmask_b32_e64 v0, v0, 0, s10
	s_delay_alu instid0(VALU_DEP_1)
	v_or_b32_e32 v29, v0, v8
.LBB6_2232:                             ;   in Loop: Header=BB6_130 Depth=2
	s_or_b32 exec_lo, exec_lo, s42
                                        ; implicit-def: $vgpr8
.LBB6_2233:                             ;   in Loop: Header=BB6_130 Depth=2
	s_and_not1_saveexec_b32 s10, s15
; %bb.2234:                             ;   in Loop: Header=BB6_130 Depth=2
	v_or_b32_e32 v29, 0x7b, v8
; %bb.2235:                             ;   in Loop: Header=BB6_130 Depth=2
	s_or_b32 exec_lo, exec_lo, s10
                                        ; implicit-def: $vgpr6
                                        ; implicit-def: $vgpr0
.LBB6_2236:                             ;   in Loop: Header=BB6_130 Depth=2
	s_and_not1_saveexec_b32 s10, s11
	s_cbranch_execz .LBB6_2242
; %bb.2237:                             ;   in Loop: Header=BB6_130 Depth=2
	s_mov_b32 s11, exec_lo
                                        ; implicit-def: $vgpr29
	v_cmpx_ne_u64_e32 0, v[24:25]
	s_xor_b32 s11, exec_lo, s11
; %bb.2238:                             ;   in Loop: Header=BB6_130 Depth=2
	v_or_b32_e32 v29, 0x7f, v0
                                        ; implicit-def: $vgpr6
; %bb.2239:                             ;   in Loop: Header=BB6_130 Depth=2
	s_and_not1_saveexec_b32 s11, s11
; %bb.2240:                             ;   in Loop: Header=BB6_130 Depth=2
	v_cmp_lt_i32_e32 vcc_lo, -1, v6
	v_cndmask_b32_e32 v29, 0xfc, v93, vcc_lo
; %bb.2241:                             ;   in Loop: Header=BB6_130 Depth=2
	s_or_b32 exec_lo, exec_lo, s11
.LBB6_2242:                             ;   in Loop: Header=BB6_130 Depth=2
	s_delay_alu instid0(SALU_CYCLE_1) | instskip(SKIP_4) | instid1(VALU_DEP_2)
	s_or_b32 exec_lo, exec_lo, s10
	v_lshrrev_b16 v24, 8, v2
	v_lshrrev_b16 v0, 8, v18
	s_and_not1_b32 vcc_lo, exec_lo, s14
	s_mov_b32 s11, -1
                                        ; implicit-def: $vgpr1
	v_and_b32_e32 v6, 0xffff, v24
	v_cmp_ne_u16_e64 s10, 0, v24
	s_cbranch_vccnz .LBB6_2264
; %bb.2243:                             ;   in Loop: Header=BB6_130 Depth=2
	v_dual_mov_b32 v1, 0 :: v_dual_mov_b32 v7, 0
	s_and_saveexec_b32 s11, s10
	s_cbranch_execz .LBB6_2253
; %bb.2244:                             ;   in Loop: Header=BB6_130 Depth=2
	v_bfrev_b32_e32 v7, 1
	s_mov_b32 s15, exec_lo
	v_cmpx_ne_u16_e32 0x80, v24
	s_cbranch_execz .LBB6_2252
; %bb.2245:                             ;   in Loop: Header=BB6_130 Depth=2
	v_and_b32_e32 v7, 0x7c, v6
	v_and_b32_e32 v8, 3, v6
	s_delay_alu instid0(VALU_DEP_2) | instskip(SKIP_1) | instid1(SALU_CYCLE_1)
	v_cmp_ne_u32_e32 vcc_lo, 0x7c, v7
                                        ; implicit-def: $vgpr7
	s_and_saveexec_b32 s42, vcc_lo
	s_xor_b32 s42, exec_lo, s42
	s_cbranch_execz .LBB6_2249
; %bb.2246:                             ;   in Loop: Header=BB6_130 Depth=2
	v_bfe_u32 v7, v6, 2, 5
	s_mov_b32 s43, exec_lo
	s_delay_alu instid0(VALU_DEP_1)
	v_cmpx_eq_u32_e32 0, v7
; %bb.2247:                             ;   in Loop: Header=BB6_130 Depth=2
	v_clz_i32_u32_e32 v7, v8
	s_delay_alu instid0(VALU_DEP_1) | instskip(NEXT) | instid1(VALU_DEP_1)
	v_min_u32_e32 v7, 32, v7
	v_subrev_nc_u32_e32 v8, 29, v7
	s_delay_alu instid0(VALU_DEP_1) | instskip(NEXT) | instid1(VALU_DEP_1)
	v_lshlrev_b64_e32 v[8:9], v8, v[24:25]
	v_dual_sub_nc_u32 v7, 30, v7 :: v_dual_bitop2_b32 v8, 3, v8 bitop3:0x40
; %bb.2248:                             ;   in Loop: Header=BB6_130 Depth=2
	s_or_b32 exec_lo, exec_lo, s43
	v_lshlrev_b32_e32 v9, 16, v2
	s_delay_alu instid0(VALU_DEP_1) | instskip(NEXT) | instid1(VALU_DEP_1)
	v_and_b32_e32 v9, 0x80000000, v9
	v_lshl_add_u32 v7, v7, 23, v9
	s_delay_alu instid0(VALU_DEP_1) | instskip(NEXT) | instid1(VALU_DEP_1)
	v_lshl_or_b32 v7, v8, 21, v7
                                        ; implicit-def: $vgpr8
	v_add_nc_u32_e32 v7, 0x38000000, v7
.LBB6_2249:                             ;   in Loop: Header=BB6_130 Depth=2
	s_and_not1_saveexec_b32 s42, s42
; %bb.2250:                             ;   in Loop: Header=BB6_130 Depth=2
	v_cmp_lt_i16_e32 vcc_lo, -1, v2
	v_cndmask_b32_e32 v7, 0xff800000, v62, vcc_lo
	v_cmp_eq_u32_e32 vcc_lo, 0, v8
	s_delay_alu instid0(VALU_DEP_2)
	v_cndmask_b32_e32 v7, 0x7f800001, v7, vcc_lo
; %bb.2251:                             ;   in Loop: Header=BB6_130 Depth=2
	s_or_b32 exec_lo, exec_lo, s42
.LBB6_2252:                             ;   in Loop: Header=BB6_130 Depth=2
	s_delay_alu instid0(SALU_CYCLE_1)
	s_or_b32 exec_lo, exec_lo, s15
.LBB6_2253:                             ;   in Loop: Header=BB6_130 Depth=2
	s_delay_alu instid0(SALU_CYCLE_1) | instskip(NEXT) | instid1(SALU_CYCLE_1)
	s_or_b32 exec_lo, exec_lo, s11
	s_mov_b32 s11, exec_lo
	v_cmpx_ne_u16_e32 0, v0
	s_cbranch_execz .LBB6_2263
; %bb.2254:                             ;   in Loop: Header=BB6_130 Depth=2
	v_bfrev_b32_e32 v1, 1
	s_mov_b32 s15, exec_lo
	v_cmpx_ne_u16_e32 0x80, v0
	s_cbranch_execz .LBB6_2262
; %bb.2255:                             ;   in Loop: Header=BB6_130 Depth=2
	v_and_b32_e32 v9, 0xffff, v0
	s_delay_alu instid0(VALU_DEP_1) | instskip(SKIP_1) | instid1(VALU_DEP_2)
	v_and_b32_e32 v1, 0x7c, v9
	v_and_b32_e32 v8, 3, v9
	v_cmp_ne_u32_e32 vcc_lo, 0x7c, v1
                                        ; implicit-def: $vgpr1
	s_and_saveexec_b32 s42, vcc_lo
	s_delay_alu instid0(SALU_CYCLE_1)
	s_xor_b32 s42, exec_lo, s42
	s_cbranch_execz .LBB6_2259
; %bb.2256:                             ;   in Loop: Header=BB6_130 Depth=2
	v_bfe_u32 v1, v9, 2, 5
	s_mov_b32 s43, exec_lo
	s_delay_alu instid0(VALU_DEP_1)
	v_cmpx_eq_u32_e32 0, v1
; %bb.2257:                             ;   in Loop: Header=BB6_130 Depth=2
	v_clz_i32_u32_e32 v1, v8
	s_delay_alu instid0(VALU_DEP_1) | instskip(SKIP_1) | instid1(VALU_DEP_2)
	v_min_u32_e32 v34, 32, v1
	v_mov_b32_e32 v1, v25
	v_subrev_nc_u32_e32 v8, 29, v34
	s_delay_alu instid0(VALU_DEP_1) | instskip(NEXT) | instid1(VALU_DEP_1)
	v_lshlrev_b64_e32 v[8:9], v8, v[0:1]
	v_dual_sub_nc_u32 v1, 30, v34 :: v_dual_bitop2_b32 v8, 3, v8 bitop3:0x40
; %bb.2258:                             ;   in Loop: Header=BB6_130 Depth=2
	s_or_b32 exec_lo, exec_lo, s43
	v_lshlrev_b32_e32 v9, 16, v18
	s_delay_alu instid0(VALU_DEP_1) | instskip(NEXT) | instid1(VALU_DEP_1)
	v_and_b32_e32 v9, 0x80000000, v9
	v_lshl_add_u32 v1, v1, 23, v9
	s_delay_alu instid0(VALU_DEP_1) | instskip(NEXT) | instid1(VALU_DEP_1)
	v_lshl_or_b32 v1, v8, 21, v1
                                        ; implicit-def: $vgpr8
	v_add_nc_u32_e32 v1, 0x38000000, v1
.LBB6_2259:                             ;   in Loop: Header=BB6_130 Depth=2
	s_and_not1_saveexec_b32 s42, s42
; %bb.2260:                             ;   in Loop: Header=BB6_130 Depth=2
	v_cmp_lt_i16_e32 vcc_lo, -1, v18
	v_cndmask_b32_e32 v1, 0xff800000, v62, vcc_lo
	v_cmp_eq_u32_e32 vcc_lo, 0, v8
	s_delay_alu instid0(VALU_DEP_2)
	v_cndmask_b32_e32 v1, 0x7f800001, v1, vcc_lo
; %bb.2261:                             ;   in Loop: Header=BB6_130 Depth=2
	s_or_b32 exec_lo, exec_lo, s42
.LBB6_2262:                             ;   in Loop: Header=BB6_130 Depth=2
	s_delay_alu instid0(SALU_CYCLE_1)
	s_or_b32 exec_lo, exec_lo, s15
.LBB6_2263:                             ;   in Loop: Header=BB6_130 Depth=2
	s_delay_alu instid0(SALU_CYCLE_1) | instskip(NEXT) | instid1(VALU_DEP_1)
	s_or_b32 exec_lo, exec_lo, s11
	v_dual_max_num_f32 v1, v1, v1 :: v_dual_max_num_f32 v7, v7, v7
	s_mov_b32 s11, 0
	s_delay_alu instid0(VALU_DEP_1)
	v_max_num_f32_e32 v1, v7, v1
.LBB6_2264:                             ;   in Loop: Header=BB6_130 Depth=2
	s_and_b32 vcc_lo, exec_lo, s11
	s_cbranch_vccz .LBB6_2286
; %bb.2265:                             ;   in Loop: Header=BB6_130 Depth=2
	v_dual_mov_b32 v1, 0 :: v_dual_mov_b32 v7, 0
	s_and_saveexec_b32 s11, s10
	s_cbranch_execz .LBB6_2275
; %bb.2266:                             ;   in Loop: Header=BB6_130 Depth=2
	v_bfrev_b32_e32 v7, 1
	s_mov_b32 s10, exec_lo
	v_cmpx_ne_u16_e32 0x80, v24
	s_cbranch_execz .LBB6_2274
; %bb.2267:                             ;   in Loop: Header=BB6_130 Depth=2
	v_and_b32_e32 v7, 0x7c, v6
	v_and_b32_e32 v8, 3, v6
	s_delay_alu instid0(VALU_DEP_2) | instskip(SKIP_1) | instid1(SALU_CYCLE_1)
	v_cmp_ne_u32_e32 vcc_lo, 0x7c, v7
                                        ; implicit-def: $vgpr7
	s_and_saveexec_b32 s15, vcc_lo
	s_xor_b32 s15, exec_lo, s15
	s_cbranch_execz .LBB6_2271
; %bb.2268:                             ;   in Loop: Header=BB6_130 Depth=2
	v_bfe_u32 v6, v6, 2, 5
	s_mov_b32 s42, exec_lo
	s_delay_alu instid0(VALU_DEP_1)
	v_cmpx_eq_u32_e32 0, v6
; %bb.2269:                             ;   in Loop: Header=BB6_130 Depth=2
	v_clz_i32_u32_e32 v6, v8
	s_delay_alu instid0(VALU_DEP_1) | instskip(NEXT) | instid1(VALU_DEP_1)
	v_min_u32_e32 v6, 32, v6
	v_subrev_nc_u32_e32 v7, 29, v6
	s_delay_alu instid0(VALU_DEP_1) | instskip(NEXT) | instid1(VALU_DEP_1)
	v_lshlrev_b64_e32 v[8:9], v7, v[24:25]
	v_dual_sub_nc_u32 v6, 30, v6 :: v_dual_bitop2_b32 v8, 3, v8 bitop3:0x40
; %bb.2270:                             ;   in Loop: Header=BB6_130 Depth=2
	s_or_b32 exec_lo, exec_lo, s42
	v_lshlrev_b32_e32 v7, 16, v2
	s_delay_alu instid0(VALU_DEP_1) | instskip(NEXT) | instid1(VALU_DEP_1)
	v_and_b32_e32 v7, 0x80000000, v7
	v_lshl_add_u32 v6, v6, 23, v7
	s_delay_alu instid0(VALU_DEP_1) | instskip(NEXT) | instid1(VALU_DEP_1)
	v_lshl_or_b32 v6, v8, 21, v6
                                        ; implicit-def: $vgpr8
	v_add_nc_u32_e32 v7, 0x38000000, v6
.LBB6_2271:                             ;   in Loop: Header=BB6_130 Depth=2
	s_and_not1_saveexec_b32 s15, s15
; %bb.2272:                             ;   in Loop: Header=BB6_130 Depth=2
	v_cmp_lt_i16_e32 vcc_lo, -1, v2
	v_cndmask_b32_e32 v6, 0xff800000, v62, vcc_lo
	v_cmp_eq_u32_e32 vcc_lo, 0, v8
	s_delay_alu instid0(VALU_DEP_2)
	v_cndmask_b32_e32 v7, 0x7f800001, v6, vcc_lo
; %bb.2273:                             ;   in Loop: Header=BB6_130 Depth=2
	s_or_b32 exec_lo, exec_lo, s15
.LBB6_2274:                             ;   in Loop: Header=BB6_130 Depth=2
	s_delay_alu instid0(SALU_CYCLE_1)
	s_or_b32 exec_lo, exec_lo, s10
.LBB6_2275:                             ;   in Loop: Header=BB6_130 Depth=2
	s_delay_alu instid0(SALU_CYCLE_1) | instskip(NEXT) | instid1(SALU_CYCLE_1)
	s_or_b32 exec_lo, exec_lo, s11
	s_mov_b32 s10, exec_lo
	v_cmpx_ne_u16_e32 0, v0
	s_cbranch_execz .LBB6_2285
; %bb.2276:                             ;   in Loop: Header=BB6_130 Depth=2
	v_bfrev_b32_e32 v1, 1
	s_mov_b32 s11, exec_lo
	v_cmpx_ne_u16_e32 0x80, v0
	s_cbranch_execz .LBB6_2284
; %bb.2277:                             ;   in Loop: Header=BB6_130 Depth=2
	v_and_b32_e32 v8, 0xffff, v0
	s_delay_alu instid0(VALU_DEP_1) | instskip(SKIP_1) | instid1(VALU_DEP_2)
	v_and_b32_e32 v1, 0x7c, v8
	v_and_b32_e32 v6, 3, v8
	v_cmp_ne_u32_e32 vcc_lo, 0x7c, v1
                                        ; implicit-def: $vgpr1
	s_and_saveexec_b32 s15, vcc_lo
	s_delay_alu instid0(SALU_CYCLE_1)
	s_xor_b32 s15, exec_lo, s15
	s_cbranch_execz .LBB6_2281
; %bb.2278:                             ;   in Loop: Header=BB6_130 Depth=2
	v_bfe_u32 v1, v8, 2, 5
	s_mov_b32 s42, exec_lo
	s_delay_alu instid0(VALU_DEP_1)
	v_cmpx_eq_u32_e32 0, v1
; %bb.2279:                             ;   in Loop: Header=BB6_130 Depth=2
	v_clz_i32_u32_e32 v1, v6
	s_delay_alu instid0(VALU_DEP_1) | instskip(SKIP_1) | instid1(VALU_DEP_2)
	v_min_u32_e32 v6, 32, v1
	v_mov_b32_e32 v1, v25
	v_subrev_nc_u32_e32 v8, 29, v6
	s_delay_alu instid0(VALU_DEP_1) | instskip(NEXT) | instid1(VALU_DEP_1)
	v_lshlrev_b64_e32 v[0:1], v8, v[0:1]
	v_dual_sub_nc_u32 v1, 30, v6 :: v_dual_bitop2_b32 v6, 3, v0 bitop3:0x40
; %bb.2280:                             ;   in Loop: Header=BB6_130 Depth=2
	s_or_b32 exec_lo, exec_lo, s42
	v_lshlrev_b32_e32 v0, 16, v18
	s_delay_alu instid0(VALU_DEP_1) | instskip(NEXT) | instid1(VALU_DEP_1)
	v_and_b32_e32 v0, 0x80000000, v0
	v_lshl_add_u32 v0, v1, 23, v0
	s_delay_alu instid0(VALU_DEP_1) | instskip(NEXT) | instid1(VALU_DEP_1)
	v_lshl_or_b32 v0, v6, 21, v0
                                        ; implicit-def: $vgpr6
	v_add_nc_u32_e32 v1, 0x38000000, v0
.LBB6_2281:                             ;   in Loop: Header=BB6_130 Depth=2
	s_and_not1_saveexec_b32 s15, s15
; %bb.2282:                             ;   in Loop: Header=BB6_130 Depth=2
	v_cmp_lt_i16_e32 vcc_lo, -1, v18
	v_cndmask_b32_e32 v0, 0xff800000, v62, vcc_lo
	v_cmp_eq_u32_e32 vcc_lo, 0, v6
	s_delay_alu instid0(VALU_DEP_2)
	v_cndmask_b32_e32 v1, 0x7f800001, v0, vcc_lo
; %bb.2283:                             ;   in Loop: Header=BB6_130 Depth=2
	s_or_b32 exec_lo, exec_lo, s15
.LBB6_2284:                             ;   in Loop: Header=BB6_130 Depth=2
	s_delay_alu instid0(SALU_CYCLE_1)
	s_or_b32 exec_lo, exec_lo, s11
.LBB6_2285:                             ;   in Loop: Header=BB6_130 Depth=2
	s_delay_alu instid0(SALU_CYCLE_1) | instskip(NEXT) | instid1(VALU_DEP_1)
	s_or_b32 exec_lo, exec_lo, s10
	v_dual_max_num_f32 v0, v1, v1 :: v_dual_max_num_f32 v1, v7, v7
	s_delay_alu instid0(VALU_DEP_1)
	v_min_num_f32_e32 v1, v1, v0
.LBB6_2286:                             ;   in Loop: Header=BB6_130 Depth=2
	s_delay_alu instid0(VALU_DEP_1) | instskip(SKIP_3) | instid1(VALU_DEP_2)
	v_and_b32_e32 v6, 0x7f800000, v1
	v_dual_mov_b32 v7, v25 :: v_dual_lshrrev_b32 v0, 24, v1
	v_and_b32_e32 v24, 0x7fffff, v1
                                        ; implicit-def: $vgpr34
	s_mov_b32 s10, exec_lo
	v_cmpx_ne_u64_e32 0x7f800000, v[6:7]
	s_xor_b32 s11, exec_lo, s10
	s_cbranch_execz .LBB6_2300
; %bb.2287:                             ;   in Loop: Header=BB6_130 Depth=2
	v_and_b32_e32 v6, 0x7fffffff, v1
	v_mov_b32_e32 v7, v25
	v_and_b32_e32 v8, 0x80, v0
                                        ; implicit-def: $vgpr34
	s_mov_b32 s10, exec_lo
	s_delay_alu instid0(VALU_DEP_2)
	v_cmpx_gt_u64_e32 0x47600001, v[6:7]
	s_xor_b32 s15, exec_lo, s10
	s_cbranch_execz .LBB6_2297
; %bb.2288:                             ;   in Loop: Header=BB6_130 Depth=2
	v_mov_b32_e32 v34, 0
	s_mov_b32 s42, exec_lo
	v_cmpx_ne_u32_e32 0, v1
	s_cbranch_execz .LBB6_2296
; %bb.2289:                             ;   in Loop: Header=BB6_130 Depth=2
	v_bfe_u32 v9, v1, 23, 8
	v_or_b32_e32 v6, 0x800000, v24
	s_delay_alu instid0(VALU_DEP_2) | instskip(SKIP_1) | instid1(VALU_DEP_2)
	v_sub_nc_u32_e32 v0, 0x71, v9
	v_cmp_gt_u32_e32 vcc_lo, 0x72, v9
	v_cndmask_b32_e32 v0, 0, v0, vcc_lo
	v_cmp_eq_u32_e32 vcc_lo, 0, v9
	s_delay_alu instid0(VALU_DEP_2) | instskip(NEXT) | instid1(VALU_DEP_1)
	v_cndmask_b32_e64 v34, v0, 0x70, vcc_lo
	v_dual_cndmask_b32 v24, v6, v24, vcc_lo :: v_dual_add_nc_u32 v0, 21, v34
	v_add_nc_u32_e32 v7, 20, v34
	s_delay_alu instid0(VALU_DEP_2) | instskip(NEXT) | instid1(VALU_DEP_2)
	v_lshlrev_b64_e64 v[0:1], v0, -1
	v_lshlrev_b64_e64 v[6:7], v7, 1
	s_delay_alu instid0(VALU_DEP_2) | instskip(NEXT) | instid1(VALU_DEP_3)
	v_bfi_b32 v85, v1, 0, 0
	v_bfi_b32 v84, v0, 0, v24
	v_lshrrev_b64 v[0:1], v34, v[24:25]
	s_delay_alu instid0(VALU_DEP_2) | instskip(NEXT) | instid1(VALU_DEP_2)
	v_cmp_eq_u64_e64 s10, v[84:85], v[6:7]
	v_mov_b64_e32 v[6:7], v[0:1]
	s_and_saveexec_b32 s43, s10
; %bb.2290:                             ;   in Loop: Header=BB6_130 Depth=2
	v_bfe_u32 v24, v0, 21, 1
	s_delay_alu instid0(VALU_DEP_1) | instskip(NEXT) | instid1(VALU_DEP_1)
	v_add_nc_u64_e32 v[6:7], v[0:1], v[24:25]
	v_add_nc_u64_e32 v[6:7], -1, v[6:7]
; %bb.2291:                             ;   in Loop: Header=BB6_130 Depth=2
	s_or_b32 exec_lo, exec_lo, s43
	v_add_nc_u32_e32 v1, 0xffffff81, v9
	v_lshrrev_b32_e32 v7, 23, v0
	s_mov_b32 s10, exec_lo
	s_delay_alu instid0(VALU_DEP_2) | instskip(NEXT) | instid1(VALU_DEP_1)
	v_cndmask_b32_e64 v1, v1, 0xffffff82, vcc_lo
	v_add3_u32 v7, v34, v1, v7
	v_and_b32_e32 v1, 0x1fffff, v6
                                        ; implicit-def: $vgpr6
	s_delay_alu instid0(VALU_DEP_1) | instskip(NEXT) | instid1(VALU_DEP_1)
	v_dual_add_nc_u32 v9, 14, v7 :: v_dual_add_nc_u32 v24, v1, v0
                                        ; implicit-def: $vgpr0_vgpr1
	v_cmpx_ne_u32_e32 0, v9
	s_xor_b32 s10, exec_lo, s10
; %bb.2292:                             ;   in Loop: Header=BB6_130 Depth=2
	s_delay_alu instid0(VALU_DEP_2) | instskip(SKIP_1) | instid1(VALU_DEP_1)
	v_cmp_lt_u64_e32 vcc_lo, 0xffffff, v[24:25]
	v_add_nc_u32_e32 v0, 15, v7
	v_cndmask_b32_e32 v6, v9, v0, vcc_lo
	v_cndmask_b32_e64 v0, 0, 1, vcc_lo
	s_delay_alu instid0(VALU_DEP_1)
	v_lshrrev_b64 v[0:1], v0, v[24:25]
; %bb.2293:                             ;   in Loop: Header=BB6_130 Depth=2
	s_and_not1_saveexec_b32 s10, s10
; %bb.2294:                             ;   in Loop: Header=BB6_130 Depth=2
	v_mov_b64_e32 v[0:1], v[24:25]
	v_bfe_u32 v6, v24, 23, 1
; %bb.2295:                             ;   in Loop: Header=BB6_130 Depth=2
	s_or_b32 exec_lo, exec_lo, s10
	s_delay_alu instid0(VALU_DEP_2) | instskip(NEXT) | instid1(VALU_DEP_2)
	v_lshrrev_b64 v[0:1], 21, v[0:1]
	v_cmp_gt_i32_e32 vcc_lo, 32, v6
	v_min_i32_e32 v7, 31, v6
	v_cmp_eq_u32_e64 s10, 0, v6
	s_delay_alu instid0(VALU_DEP_2) | instskip(SKIP_1) | instid1(VALU_DEP_2)
	v_dual_cndmask_b32 v1, 0, v1, vcc_lo :: v_dual_lshlrev_b32 v7, 2, v7
	v_cndmask_b32_e32 v0, 3, v0, vcc_lo
	v_and_b32_e32 v7, 0xfc, v7
	s_delay_alu instid0(VALU_DEP_2) | instskip(NEXT) | instid1(VALU_DEP_2)
	v_cmp_eq_u64_e32 vcc_lo, 0, v[0:1]
	v_and_or_b32 v0, v0, 3, v7
	s_and_b32 s10, s10, vcc_lo
	s_delay_alu instid0(VALU_DEP_1) | instid1(SALU_CYCLE_1)
	v_cndmask_b32_e64 v0, v0, 0, s10
	s_delay_alu instid0(VALU_DEP_1)
	v_or_b32_e32 v34, v0, v8
.LBB6_2296:                             ;   in Loop: Header=BB6_130 Depth=2
	s_or_b32 exec_lo, exec_lo, s42
                                        ; implicit-def: $vgpr8
.LBB6_2297:                             ;   in Loop: Header=BB6_130 Depth=2
	s_and_not1_saveexec_b32 s10, s15
; %bb.2298:                             ;   in Loop: Header=BB6_130 Depth=2
	v_or_b32_e32 v34, 0x7b, v8
; %bb.2299:                             ;   in Loop: Header=BB6_130 Depth=2
	s_or_b32 exec_lo, exec_lo, s10
                                        ; implicit-def: $vgpr1
                                        ; implicit-def: $vgpr0
.LBB6_2300:                             ;   in Loop: Header=BB6_130 Depth=2
	s_and_not1_saveexec_b32 s10, s11
	s_cbranch_execz .LBB6_2306
; %bb.2301:                             ;   in Loop: Header=BB6_130 Depth=2
	s_mov_b32 s11, exec_lo
                                        ; implicit-def: $vgpr34
	v_cmpx_ne_u64_e32 0, v[24:25]
	s_xor_b32 s11, exec_lo, s11
; %bb.2302:                             ;   in Loop: Header=BB6_130 Depth=2
	v_or_b32_e32 v34, 0x7f, v0
                                        ; implicit-def: $vgpr1
; %bb.2303:                             ;   in Loop: Header=BB6_130 Depth=2
	s_and_not1_saveexec_b32 s11, s11
; %bb.2304:                             ;   in Loop: Header=BB6_130 Depth=2
	v_cmp_lt_i32_e32 vcc_lo, -1, v1
	v_cndmask_b32_e32 v34, 0xfc, v93, vcc_lo
; %bb.2305:                             ;   in Loop: Header=BB6_130 Depth=2
	s_or_b32 exec_lo, exec_lo, s11
.LBB6_2306:                             ;   in Loop: Header=BB6_130 Depth=2
	s_delay_alu instid0(SALU_CYCLE_1) | instskip(SKIP_4) | instid1(VALU_DEP_2)
	s_or_b32 exec_lo, exec_lo, s10
	v_lshrrev_b32_e32 v6, 16, v2
	v_lshrrev_b32_e32 v0, 16, v18
	s_and_not1_b32 vcc_lo, exec_lo, s14
	s_mov_b32 s11, -1
                                        ; implicit-def: $vgpr7
	v_and_b32_e32 v1, 0xff, v6
	s_delay_alu instid0(VALU_DEP_1)
	v_cmp_ne_u16_e64 s10, 0, v1
	s_cbranch_vccnz .LBB6_2328
; %bb.2307:                             ;   in Loop: Header=BB6_130 Depth=2
	v_dual_mov_b32 v8, 0 :: v_dual_mov_b32 v7, 0
	s_and_saveexec_b32 s11, s10
	s_cbranch_execz .LBB6_2317
; %bb.2308:                             ;   in Loop: Header=BB6_130 Depth=2
	v_bfrev_b32_e32 v7, 1
	s_mov_b32 s15, exec_lo
	v_cmpx_ne_u16_e32 0x80, v1
	s_cbranch_execz .LBB6_2316
; %bb.2309:                             ;   in Loop: Header=BB6_130 Depth=2
	v_and_b32_e32 v7, 0x7c0000, v2
	v_bfe_u32 v9, v2, 16, 2
	s_delay_alu instid0(VALU_DEP_2) | instskip(SKIP_1) | instid1(SALU_CYCLE_1)
	v_cmp_ne_u32_e32 vcc_lo, 0x7c0000, v7
                                        ; implicit-def: $vgpr7
	s_and_saveexec_b32 s42, vcc_lo
	s_xor_b32 s42, exec_lo, s42
	s_cbranch_execz .LBB6_2313
; %bb.2310:                             ;   in Loop: Header=BB6_130 Depth=2
	v_bfe_u32 v7, v2, 18, 5
	s_mov_b32 s43, exec_lo
	s_delay_alu instid0(VALU_DEP_1)
	v_cmpx_eq_u32_e32 0, v7
; %bb.2311:                             ;   in Loop: Header=BB6_130 Depth=2
	v_clz_i32_u32_e32 v7, v9
	s_delay_alu instid0(VALU_DEP_1) | instskip(NEXT) | instid1(VALU_DEP_1)
	v_min_u32_e32 v7, 32, v7
	v_subrev_nc_u32_e32 v9, 29, v7
	s_delay_alu instid0(VALU_DEP_1) | instskip(NEXT) | instid1(VALU_DEP_1)
	v_lshlrev_b64_e32 v[84:85], v9, v[6:7]
	v_dual_sub_nc_u32 v7, 30, v7 :: v_dual_bitop2_b32 v9, 3, v84 bitop3:0x40
; %bb.2312:                             ;   in Loop: Header=BB6_130 Depth=2
	s_or_b32 exec_lo, exec_lo, s43
	v_lshlrev_b32_e32 v24, 24, v6
	s_delay_alu instid0(VALU_DEP_1) | instskip(NEXT) | instid1(VALU_DEP_1)
	v_and_b32_e32 v24, 0x80000000, v24
	v_lshl_add_u32 v7, v7, 23, v24
	s_delay_alu instid0(VALU_DEP_1) | instskip(NEXT) | instid1(VALU_DEP_1)
	v_lshl_or_b32 v7, v9, 21, v7
                                        ; implicit-def: $vgpr9
	v_add_nc_u32_e32 v7, 0x38000000, v7
.LBB6_2313:                             ;   in Loop: Header=BB6_130 Depth=2
	s_and_not1_saveexec_b32 s42, s42
; %bb.2314:                             ;   in Loop: Header=BB6_130 Depth=2
	v_bfe_i32 v7, v6, 0, 8
	s_delay_alu instid0(VALU_DEP_1) | instskip(SKIP_2) | instid1(VALU_DEP_2)
	v_cmp_lt_i16_e32 vcc_lo, -1, v7
	v_cndmask_b32_e32 v7, 0xff800000, v62, vcc_lo
	v_cmp_eq_u32_e32 vcc_lo, 0, v9
	v_cndmask_b32_e32 v7, 0x7f800001, v7, vcc_lo
; %bb.2315:                             ;   in Loop: Header=BB6_130 Depth=2
	s_or_b32 exec_lo, exec_lo, s42
.LBB6_2316:                             ;   in Loop: Header=BB6_130 Depth=2
	s_delay_alu instid0(SALU_CYCLE_1)
	s_or_b32 exec_lo, exec_lo, s15
.LBB6_2317:                             ;   in Loop: Header=BB6_130 Depth=2
	s_delay_alu instid0(SALU_CYCLE_1) | instskip(SKIP_2) | instid1(VALU_DEP_1)
	s_or_b32 exec_lo, exec_lo, s11
	v_and_b32_e32 v9, 0xff, v0
	s_mov_b32 s11, exec_lo
	v_cmpx_ne_u16_e32 0, v9
	s_cbranch_execz .LBB6_2327
; %bb.2318:                             ;   in Loop: Header=BB6_130 Depth=2
	v_bfrev_b32_e32 v8, 1
	s_mov_b32 s15, exec_lo
	v_cmpx_ne_u16_e32 0x80, v9
	s_cbranch_execz .LBB6_2326
; %bb.2319:                             ;   in Loop: Header=BB6_130 Depth=2
	v_and_b32_e32 v8, 0x7c0000, v18
	v_bfe_u32 v9, v18, 16, 2
	s_delay_alu instid0(VALU_DEP_2) | instskip(SKIP_1) | instid1(SALU_CYCLE_1)
	v_cmp_ne_u32_e32 vcc_lo, 0x7c0000, v8
                                        ; implicit-def: $vgpr8
	s_and_saveexec_b32 s42, vcc_lo
	s_xor_b32 s42, exec_lo, s42
	s_cbranch_execz .LBB6_2323
; %bb.2320:                             ;   in Loop: Header=BB6_130 Depth=2
	v_bfe_u32 v8, v18, 18, 5
	s_mov_b32 s43, exec_lo
	s_delay_alu instid0(VALU_DEP_1)
	v_cmpx_eq_u32_e32 0, v8
; %bb.2321:                             ;   in Loop: Header=BB6_130 Depth=2
	v_clz_i32_u32_e32 v8, v9
	s_delay_alu instid0(VALU_DEP_1) | instskip(NEXT) | instid1(VALU_DEP_1)
	v_min_u32_e32 v8, 32, v8
	v_subrev_nc_u32_e32 v9, 29, v8
	v_sub_nc_u32_e32 v8, 30, v8
	s_delay_alu instid0(VALU_DEP_2) | instskip(NEXT) | instid1(VALU_DEP_1)
	v_lshlrev_b64_e32 v[84:85], v9, v[0:1]
	v_and_b32_e32 v9, 3, v84
; %bb.2322:                             ;   in Loop: Header=BB6_130 Depth=2
	s_or_b32 exec_lo, exec_lo, s43
	v_lshlrev_b32_e32 v24, 24, v0
	s_delay_alu instid0(VALU_DEP_1) | instskip(NEXT) | instid1(VALU_DEP_1)
	v_and_b32_e32 v24, 0x80000000, v24
	v_lshl_add_u32 v8, v8, 23, v24
	s_delay_alu instid0(VALU_DEP_1) | instskip(NEXT) | instid1(VALU_DEP_1)
	v_lshl_or_b32 v8, v9, 21, v8
                                        ; implicit-def: $vgpr9
	v_add_nc_u32_e32 v8, 0x38000000, v8
.LBB6_2323:                             ;   in Loop: Header=BB6_130 Depth=2
	s_and_not1_saveexec_b32 s42, s42
; %bb.2324:                             ;   in Loop: Header=BB6_130 Depth=2
	v_bfe_i32 v8, v0, 0, 8
	s_delay_alu instid0(VALU_DEP_1) | instskip(SKIP_2) | instid1(VALU_DEP_2)
	v_cmp_lt_i16_e32 vcc_lo, -1, v8
	v_cndmask_b32_e32 v8, 0xff800000, v62, vcc_lo
	v_cmp_eq_u32_e32 vcc_lo, 0, v9
	v_cndmask_b32_e32 v8, 0x7f800001, v8, vcc_lo
; %bb.2325:                             ;   in Loop: Header=BB6_130 Depth=2
	s_or_b32 exec_lo, exec_lo, s42
.LBB6_2326:                             ;   in Loop: Header=BB6_130 Depth=2
	s_delay_alu instid0(SALU_CYCLE_1)
	s_or_b32 exec_lo, exec_lo, s15
.LBB6_2327:                             ;   in Loop: Header=BB6_130 Depth=2
	s_delay_alu instid0(SALU_CYCLE_1) | instskip(NEXT) | instid1(VALU_DEP_1)
	s_or_b32 exec_lo, exec_lo, s11
	v_dual_max_num_f32 v8, v8, v8 :: v_dual_max_num_f32 v7, v7, v7
	s_mov_b32 s11, 0
	s_delay_alu instid0(VALU_DEP_1)
	v_max_num_f32_e32 v7, v7, v8
.LBB6_2328:                             ;   in Loop: Header=BB6_130 Depth=2
	s_and_b32 vcc_lo, exec_lo, s11
	s_cbranch_vccz .LBB6_2350
; %bb.2329:                             ;   in Loop: Header=BB6_130 Depth=2
	v_dual_mov_b32 v8, 0 :: v_dual_mov_b32 v7, 0
	s_and_saveexec_b32 s11, s10
	s_cbranch_execz .LBB6_2339
; %bb.2330:                             ;   in Loop: Header=BB6_130 Depth=2
	v_bfrev_b32_e32 v7, 1
	s_mov_b32 s10, exec_lo
	v_cmpx_ne_u16_e32 0x80, v1
	s_cbranch_execz .LBB6_2338
; %bb.2331:                             ;   in Loop: Header=BB6_130 Depth=2
	v_and_b32_e32 v7, 0x7c0000, v2
	v_bfe_u32 v1, v2, 16, 2
	s_delay_alu instid0(VALU_DEP_2) | instskip(SKIP_1) | instid1(SALU_CYCLE_1)
	v_cmp_ne_u32_e32 vcc_lo, 0x7c0000, v7
                                        ; implicit-def: $vgpr7
	s_and_saveexec_b32 s15, vcc_lo
	s_xor_b32 s15, exec_lo, s15
	s_cbranch_execz .LBB6_2335
; %bb.2332:                             ;   in Loop: Header=BB6_130 Depth=2
	v_bfe_u32 v7, v2, 18, 5
	s_mov_b32 s42, exec_lo
	s_delay_alu instid0(VALU_DEP_1)
	v_cmpx_eq_u32_e32 0, v7
; %bb.2333:                             ;   in Loop: Header=BB6_130 Depth=2
	v_clz_i32_u32_e32 v1, v1
	s_delay_alu instid0(VALU_DEP_1) | instskip(NEXT) | instid1(VALU_DEP_1)
	v_min_u32_e32 v1, 32, v1
	v_subrev_nc_u32_e32 v7, 29, v1
	s_delay_alu instid0(VALU_DEP_1) | instskip(NEXT) | instid1(VALU_DEP_1)
	v_lshlrev_b64_e32 v[84:85], v7, v[6:7]
	v_dual_sub_nc_u32 v7, 30, v1 :: v_dual_bitop2_b32 v1, 3, v84 bitop3:0x40
; %bb.2334:                             ;   in Loop: Header=BB6_130 Depth=2
	s_or_b32 exec_lo, exec_lo, s42
	v_lshlrev_b32_e32 v6, 24, v6
	s_delay_alu instid0(VALU_DEP_1) | instskip(NEXT) | instid1(VALU_DEP_1)
	v_and_b32_e32 v6, 0x80000000, v6
	v_lshl_add_u32 v6, v7, 23, v6
	s_delay_alu instid0(VALU_DEP_1) | instskip(NEXT) | instid1(VALU_DEP_1)
	v_lshl_or_b32 v1, v1, 21, v6
                                        ; implicit-def: $vgpr6
	v_add_nc_u32_e32 v7, 0x38000000, v1
                                        ; implicit-def: $vgpr1
.LBB6_2335:                             ;   in Loop: Header=BB6_130 Depth=2
	s_and_not1_saveexec_b32 s15, s15
; %bb.2336:                             ;   in Loop: Header=BB6_130 Depth=2
	v_bfe_i32 v6, v6, 0, 8
	s_delay_alu instid0(VALU_DEP_1) | instskip(SKIP_2) | instid1(VALU_DEP_2)
	v_cmp_lt_i16_e32 vcc_lo, -1, v6
	v_cndmask_b32_e32 v6, 0xff800000, v62, vcc_lo
	v_cmp_eq_u32_e32 vcc_lo, 0, v1
	v_cndmask_b32_e32 v7, 0x7f800001, v6, vcc_lo
; %bb.2337:                             ;   in Loop: Header=BB6_130 Depth=2
	s_or_b32 exec_lo, exec_lo, s15
.LBB6_2338:                             ;   in Loop: Header=BB6_130 Depth=2
	s_delay_alu instid0(SALU_CYCLE_1)
	s_or_b32 exec_lo, exec_lo, s10
.LBB6_2339:                             ;   in Loop: Header=BB6_130 Depth=2
	s_delay_alu instid0(SALU_CYCLE_1) | instskip(SKIP_2) | instid1(VALU_DEP_1)
	s_or_b32 exec_lo, exec_lo, s11
	v_and_b32_e32 v1, 0xff, v0
	s_mov_b32 s10, exec_lo
	v_cmpx_ne_u16_e32 0, v1
	s_cbranch_execz .LBB6_2349
; %bb.2340:                             ;   in Loop: Header=BB6_130 Depth=2
	v_bfrev_b32_e32 v8, 1
	s_mov_b32 s11, exec_lo
	v_cmpx_ne_u16_e32 0x80, v1
	s_cbranch_execz .LBB6_2348
; %bb.2341:                             ;   in Loop: Header=BB6_130 Depth=2
	v_and_b32_e32 v6, 0x7c0000, v18
	v_bfe_u32 v1, v18, 16, 2
	s_mov_b32 s15, exec_lo
                                        ; implicit-def: $vgpr8
	s_delay_alu instid0(VALU_DEP_2)
	v_cmpx_ne_u32_e32 0x7c0000, v6
	s_xor_b32 s15, exec_lo, s15
	s_cbranch_execz .LBB6_2345
; %bb.2342:                             ;   in Loop: Header=BB6_130 Depth=2
	v_bfe_u32 v6, v18, 18, 5
	s_mov_b32 s42, exec_lo
	s_delay_alu instid0(VALU_DEP_1)
	v_cmpx_eq_u32_e32 0, v6
; %bb.2343:                             ;   in Loop: Header=BB6_130 Depth=2
	v_clz_i32_u32_e32 v1, v1
	s_delay_alu instid0(VALU_DEP_1) | instskip(NEXT) | instid1(VALU_DEP_1)
	v_min_u32_e32 v1, 32, v1
	v_subrev_nc_u32_e32 v6, 29, v1
	s_delay_alu instid0(VALU_DEP_1) | instskip(NEXT) | instid1(VALU_DEP_1)
	v_lshlrev_b64_e32 v[8:9], v6, v[0:1]
	v_dual_sub_nc_u32 v6, 30, v1 :: v_dual_bitop2_b32 v1, 3, v8 bitop3:0x40
; %bb.2344:                             ;   in Loop: Header=BB6_130 Depth=2
	s_or_b32 exec_lo, exec_lo, s42
	v_lshlrev_b32_e32 v0, 24, v0
	s_delay_alu instid0(VALU_DEP_1) | instskip(NEXT) | instid1(VALU_DEP_1)
	v_and_b32_e32 v0, 0x80000000, v0
	v_lshl_add_u32 v0, v6, 23, v0
	s_delay_alu instid0(VALU_DEP_1) | instskip(NEXT) | instid1(VALU_DEP_1)
	v_lshl_or_b32 v0, v1, 21, v0
                                        ; implicit-def: $vgpr1
	v_add_nc_u32_e32 v8, 0x38000000, v0
                                        ; implicit-def: $vgpr0
.LBB6_2345:                             ;   in Loop: Header=BB6_130 Depth=2
	s_and_not1_saveexec_b32 s15, s15
; %bb.2346:                             ;   in Loop: Header=BB6_130 Depth=2
	v_bfe_i32 v0, v0, 0, 8
	s_delay_alu instid0(VALU_DEP_1) | instskip(SKIP_2) | instid1(VALU_DEP_2)
	v_cmp_lt_i16_e32 vcc_lo, -1, v0
	v_cndmask_b32_e32 v0, 0xff800000, v62, vcc_lo
	v_cmp_eq_u32_e32 vcc_lo, 0, v1
	v_cndmask_b32_e32 v8, 0x7f800001, v0, vcc_lo
; %bb.2347:                             ;   in Loop: Header=BB6_130 Depth=2
	s_or_b32 exec_lo, exec_lo, s15
.LBB6_2348:                             ;   in Loop: Header=BB6_130 Depth=2
	s_delay_alu instid0(SALU_CYCLE_1)
	s_or_b32 exec_lo, exec_lo, s11
.LBB6_2349:                             ;   in Loop: Header=BB6_130 Depth=2
	s_delay_alu instid0(SALU_CYCLE_1) | instskip(NEXT) | instid1(VALU_DEP_1)
	s_or_b32 exec_lo, exec_lo, s10
	v_dual_max_num_f32 v0, v8, v8 :: v_dual_max_num_f32 v1, v7, v7
	s_delay_alu instid0(VALU_DEP_1)
	v_min_num_f32_e32 v7, v1, v0
.LBB6_2350:                             ;   in Loop: Header=BB6_130 Depth=2
	s_delay_alu instid0(VALU_DEP_1) | instskip(SKIP_2) | instid1(VALU_DEP_2)
	v_and_b32_e32 v0, 0x7f800000, v7
	v_mov_b32_e32 v1, v25
	v_and_b32_e32 v24, 0x7fffff, v7
                                        ; implicit-def: $vgpr35
	v_cmp_ne_u64_e32 vcc_lo, 0x7f800000, v[0:1]
	v_lshrrev_b32_e32 v0, 24, v7
	s_and_saveexec_b32 s10, vcc_lo
	s_delay_alu instid0(SALU_CYCLE_1)
	s_xor_b32 s11, exec_lo, s10
	s_cbranch_execz .LBB6_2364
; %bb.2351:                             ;   in Loop: Header=BB6_130 Depth=2
	v_and_b32_e32 v8, 0x7fffffff, v7
	v_mov_b32_e32 v9, v25
                                        ; implicit-def: $vgpr35
	s_delay_alu instid0(VALU_DEP_1) | instskip(SKIP_2) | instid1(SALU_CYCLE_1)
	v_cmp_gt_u64_e32 vcc_lo, 0x47600001, v[8:9]
	v_and_b32_e32 v8, 0x80, v0
	s_and_saveexec_b32 s10, vcc_lo
	s_xor_b32 s15, exec_lo, s10
	s_cbranch_execz .LBB6_2361
; %bb.2352:                             ;   in Loop: Header=BB6_130 Depth=2
	v_mov_b32_e32 v35, 0
	s_mov_b32 s42, exec_lo
	v_cmpx_ne_u32_e32 0, v7
	s_cbranch_execz .LBB6_2360
; %bb.2353:                             ;   in Loop: Header=BB6_130 Depth=2
	v_bfe_u32 v9, v7, 23, 8
	v_or_b32_e32 v1, 0x800000, v24
	s_delay_alu instid0(VALU_DEP_2) | instskip(SKIP_2) | instid1(VALU_DEP_2)
	v_cmp_gt_u32_e64 s10, 0x72, v9
	v_sub_nc_u32_e32 v0, 0x71, v9
	v_cmp_eq_u32_e32 vcc_lo, 0, v9
	v_cndmask_b32_e64 v0, 0, v0, s10
	s_delay_alu instid0(VALU_DEP_1) | instskip(NEXT) | instid1(VALU_DEP_1)
	v_cndmask_b32_e64 v35, v0, 0x70, vcc_lo
	v_dual_cndmask_b32 v24, v1, v24, vcc_lo :: v_dual_add_nc_u32 v0, 21, v35
	v_add_nc_u32_e32 v6, 20, v35
	s_delay_alu instid0(VALU_DEP_2) | instskip(NEXT) | instid1(VALU_DEP_2)
	v_lshlrev_b64_e64 v[0:1], v0, -1
	v_lshlrev_b64_e64 v[6:7], v6, 1
	s_delay_alu instid0(VALU_DEP_2) | instskip(NEXT) | instid1(VALU_DEP_3)
	v_bfi_b32 v1, v1, 0, 0
	v_bfi_b32 v0, v0, 0, v24
	s_delay_alu instid0(VALU_DEP_1) | instskip(SKIP_1) | instid1(VALU_DEP_1)
	v_cmp_eq_u64_e64 s10, v[0:1], v[6:7]
	v_lshrrev_b64 v[0:1], v35, v[24:25]
	v_mov_b64_e32 v[6:7], v[0:1]
	s_and_saveexec_b32 s43, s10
; %bb.2354:                             ;   in Loop: Header=BB6_130 Depth=2
	v_bfe_u32 v24, v0, 21, 1
	s_delay_alu instid0(VALU_DEP_1) | instskip(NEXT) | instid1(VALU_DEP_1)
	v_add_nc_u64_e32 v[6:7], v[0:1], v[24:25]
	v_add_nc_u64_e32 v[6:7], -1, v[6:7]
; %bb.2355:                             ;   in Loop: Header=BB6_130 Depth=2
	s_or_b32 exec_lo, exec_lo, s43
	v_add_nc_u32_e32 v1, 0xffffff81, v9
	v_lshrrev_b32_e32 v7, 23, v0
	s_mov_b32 s10, exec_lo
	s_delay_alu instid0(VALU_DEP_2) | instskip(NEXT) | instid1(VALU_DEP_1)
	v_cndmask_b32_e64 v1, v1, 0xffffff82, vcc_lo
	v_add3_u32 v7, v35, v1, v7
	v_and_b32_e32 v1, 0x1fffff, v6
                                        ; implicit-def: $vgpr6
	s_delay_alu instid0(VALU_DEP_1) | instskip(NEXT) | instid1(VALU_DEP_1)
	v_dual_add_nc_u32 v9, 14, v7 :: v_dual_add_nc_u32 v24, v1, v0
                                        ; implicit-def: $vgpr0_vgpr1
	v_cmpx_ne_u32_e32 0, v9
	s_xor_b32 s10, exec_lo, s10
; %bb.2356:                             ;   in Loop: Header=BB6_130 Depth=2
	s_delay_alu instid0(VALU_DEP_2) | instskip(SKIP_1) | instid1(VALU_DEP_1)
	v_cmp_lt_u64_e32 vcc_lo, 0xffffff, v[24:25]
	v_add_nc_u32_e32 v0, 15, v7
	v_cndmask_b32_e32 v6, v9, v0, vcc_lo
	v_cndmask_b32_e64 v0, 0, 1, vcc_lo
	s_delay_alu instid0(VALU_DEP_1)
	v_lshrrev_b64 v[0:1], v0, v[24:25]
; %bb.2357:                             ;   in Loop: Header=BB6_130 Depth=2
	s_and_not1_saveexec_b32 s10, s10
; %bb.2358:                             ;   in Loop: Header=BB6_130 Depth=2
	v_mov_b64_e32 v[0:1], v[24:25]
	v_bfe_u32 v6, v24, 23, 1
; %bb.2359:                             ;   in Loop: Header=BB6_130 Depth=2
	s_or_b32 exec_lo, exec_lo, s10
	s_delay_alu instid0(VALU_DEP_2) | instskip(NEXT) | instid1(VALU_DEP_2)
	v_lshrrev_b64 v[0:1], 21, v[0:1]
	v_cmp_gt_i32_e32 vcc_lo, 32, v6
	v_min_i32_e32 v7, 31, v6
	v_cmp_eq_u32_e64 s10, 0, v6
	s_delay_alu instid0(VALU_DEP_2) | instskip(SKIP_1) | instid1(VALU_DEP_2)
	v_dual_cndmask_b32 v1, 0, v1, vcc_lo :: v_dual_lshlrev_b32 v7, 2, v7
	v_cndmask_b32_e32 v0, 3, v0, vcc_lo
	v_and_b32_e32 v7, 0xfc, v7
	s_delay_alu instid0(VALU_DEP_2) | instskip(NEXT) | instid1(VALU_DEP_2)
	v_cmp_eq_u64_e32 vcc_lo, 0, v[0:1]
	v_and_or_b32 v0, v0, 3, v7
	s_and_b32 s10, s10, vcc_lo
	s_delay_alu instid0(VALU_DEP_1) | instid1(SALU_CYCLE_1)
	v_cndmask_b32_e64 v0, v0, 0, s10
	s_delay_alu instid0(VALU_DEP_1)
	v_or_b32_e32 v35, v0, v8
.LBB6_2360:                             ;   in Loop: Header=BB6_130 Depth=2
	s_or_b32 exec_lo, exec_lo, s42
                                        ; implicit-def: $vgpr8
.LBB6_2361:                             ;   in Loop: Header=BB6_130 Depth=2
	s_and_not1_saveexec_b32 s10, s15
; %bb.2362:                             ;   in Loop: Header=BB6_130 Depth=2
	v_or_b32_e32 v35, 0x7b, v8
; %bb.2363:                             ;   in Loop: Header=BB6_130 Depth=2
	s_or_b32 exec_lo, exec_lo, s10
                                        ; implicit-def: $vgpr7
                                        ; implicit-def: $vgpr0
.LBB6_2364:                             ;   in Loop: Header=BB6_130 Depth=2
	s_and_not1_saveexec_b32 s10, s11
	s_cbranch_execz .LBB6_2370
; %bb.2365:                             ;   in Loop: Header=BB6_130 Depth=2
	s_mov_b32 s11, exec_lo
                                        ; implicit-def: $vgpr35
	v_cmpx_ne_u64_e32 0, v[24:25]
	s_xor_b32 s11, exec_lo, s11
; %bb.2366:                             ;   in Loop: Header=BB6_130 Depth=2
	v_or_b32_e32 v35, 0x7f, v0
                                        ; implicit-def: $vgpr7
; %bb.2367:                             ;   in Loop: Header=BB6_130 Depth=2
	s_and_not1_saveexec_b32 s11, s11
; %bb.2368:                             ;   in Loop: Header=BB6_130 Depth=2
	v_cmp_lt_i32_e32 vcc_lo, -1, v7
	v_cndmask_b32_e32 v35, 0xfc, v93, vcc_lo
; %bb.2369:                             ;   in Loop: Header=BB6_130 Depth=2
	s_or_b32 exec_lo, exec_lo, s11
.LBB6_2370:                             ;   in Loop: Header=BB6_130 Depth=2
	s_delay_alu instid0(SALU_CYCLE_1)
	s_or_b32 exec_lo, exec_lo, s10
	v_lshrrev_b32_e32 v6, 24, v2
	v_lshrrev_b32_e32 v0, 24, v18
	v_cmp_lt_u32_e64 s10, 0xffffff, v2
	s_and_not1_b32 vcc_lo, exec_lo, s14
	s_mov_b32 s11, -1
                                        ; implicit-def: $vgpr1
	s_cbranch_vccnz .LBB6_2392
; %bb.2371:                             ;   in Loop: Header=BB6_130 Depth=2
	v_dual_mov_b32 v7, 0 :: v_dual_mov_b32 v1, 0
	s_and_saveexec_b32 s11, s10
	s_cbranch_execz .LBB6_2381
; %bb.2372:                             ;   in Loop: Header=BB6_130 Depth=2
	v_bfrev_b32_e32 v1, 1
	s_mov_b32 s15, exec_lo
	v_cmpx_ne_u32_e32 0x80, v6
	s_cbranch_execz .LBB6_2380
; %bb.2373:                             ;   in Loop: Header=BB6_130 Depth=2
	v_and_b32_e32 v1, 0x7c000000, v2
	v_bfe_u32 v8, v2, 24, 2
	s_delay_alu instid0(VALU_DEP_2) | instskip(SKIP_1) | instid1(SALU_CYCLE_1)
	v_cmp_ne_u32_e32 vcc_lo, 0x7c000000, v1
                                        ; implicit-def: $vgpr1
	s_and_saveexec_b32 s42, vcc_lo
	s_xor_b32 s42, exec_lo, s42
	s_cbranch_execz .LBB6_2377
; %bb.2374:                             ;   in Loop: Header=BB6_130 Depth=2
	v_bfe_u32 v1, v2, 26, 5
	s_mov_b32 s43, exec_lo
	s_delay_alu instid0(VALU_DEP_1)
	v_cmpx_eq_u32_e32 0, v1
; %bb.2375:                             ;   in Loop: Header=BB6_130 Depth=2
	v_clz_i32_u32_e32 v1, v8
	s_delay_alu instid0(VALU_DEP_1) | instskip(NEXT) | instid1(VALU_DEP_1)
	v_min_u32_e32 v1, 32, v1
	v_subrev_nc_u32_e32 v8, 29, v1
	s_delay_alu instid0(VALU_DEP_1) | instskip(NEXT) | instid1(VALU_DEP_1)
	v_lshlrev_b64_e32 v[8:9], v8, v[6:7]
	v_dual_sub_nc_u32 v1, 30, v1 :: v_dual_bitop2_b32 v8, 3, v8 bitop3:0x40
; %bb.2376:                             ;   in Loop: Header=BB6_130 Depth=2
	s_or_b32 exec_lo, exec_lo, s43
	v_and_b32_e32 v9, 0x80000000, v2
	s_delay_alu instid0(VALU_DEP_1) | instskip(NEXT) | instid1(VALU_DEP_1)
	v_lshl_add_u32 v1, v1, 23, v9
	v_lshl_or_b32 v1, v8, 21, v1
                                        ; implicit-def: $vgpr8
	s_delay_alu instid0(VALU_DEP_1)
	v_add_nc_u32_e32 v1, 0x38000000, v1
.LBB6_2377:                             ;   in Loop: Header=BB6_130 Depth=2
	s_and_not1_saveexec_b32 s42, s42
; %bb.2378:                             ;   in Loop: Header=BB6_130 Depth=2
	v_cmp_lt_i32_e32 vcc_lo, -1, v2
	v_cndmask_b32_e32 v1, 0xff800000, v62, vcc_lo
	v_cmp_eq_u32_e32 vcc_lo, 0, v8
	s_delay_alu instid0(VALU_DEP_2)
	v_cndmask_b32_e32 v1, 0x7f800001, v1, vcc_lo
; %bb.2379:                             ;   in Loop: Header=BB6_130 Depth=2
	s_or_b32 exec_lo, exec_lo, s42
.LBB6_2380:                             ;   in Loop: Header=BB6_130 Depth=2
	s_delay_alu instid0(SALU_CYCLE_1)
	s_or_b32 exec_lo, exec_lo, s15
.LBB6_2381:                             ;   in Loop: Header=BB6_130 Depth=2
	s_delay_alu instid0(SALU_CYCLE_1) | instskip(NEXT) | instid1(SALU_CYCLE_1)
	s_or_b32 exec_lo, exec_lo, s11
	s_mov_b32 s11, exec_lo
	v_cmpx_lt_u32_e32 0xffffff, v18
	s_cbranch_execz .LBB6_2391
; %bb.2382:                             ;   in Loop: Header=BB6_130 Depth=2
	v_bfrev_b32_e32 v7, 1
	s_mov_b32 s15, exec_lo
	v_cmpx_ne_u32_e32 0x80, v0
	s_cbranch_execz .LBB6_2390
; %bb.2383:                             ;   in Loop: Header=BB6_130 Depth=2
	v_and_b32_e32 v7, 0x7c000000, v18
	v_bfe_u32 v8, v18, 24, 2
	s_delay_alu instid0(VALU_DEP_2) | instskip(SKIP_1) | instid1(SALU_CYCLE_1)
	v_cmp_ne_u32_e32 vcc_lo, 0x7c000000, v7
                                        ; implicit-def: $vgpr7
	s_and_saveexec_b32 s42, vcc_lo
	s_xor_b32 s42, exec_lo, s42
	s_cbranch_execz .LBB6_2387
; %bb.2384:                             ;   in Loop: Header=BB6_130 Depth=2
	v_bfe_u32 v7, v18, 26, 5
	s_mov_b32 s43, exec_lo
	s_delay_alu instid0(VALU_DEP_1)
	v_cmpx_eq_u32_e32 0, v7
; %bb.2385:                             ;   in Loop: Header=BB6_130 Depth=2
	v_clz_i32_u32_e32 v7, v8
	s_delay_alu instid0(VALU_DEP_1) | instskip(NEXT) | instid1(VALU_DEP_1)
	v_min_u32_e32 v7, 32, v7
	v_subrev_nc_u32_e32 v8, 29, v7
	s_delay_alu instid0(VALU_DEP_1) | instskip(NEXT) | instid1(VALU_DEP_1)
	v_lshlrev_b64_e32 v[8:9], v8, v[0:1]
	v_dual_sub_nc_u32 v7, 30, v7 :: v_dual_bitop2_b32 v8, 3, v8 bitop3:0x40
; %bb.2386:                             ;   in Loop: Header=BB6_130 Depth=2
	s_or_b32 exec_lo, exec_lo, s43
	v_and_b32_e32 v9, 0x80000000, v18
	s_delay_alu instid0(VALU_DEP_1) | instskip(NEXT) | instid1(VALU_DEP_1)
	v_lshl_add_u32 v7, v7, 23, v9
	v_lshl_or_b32 v7, v8, 21, v7
                                        ; implicit-def: $vgpr8
	s_delay_alu instid0(VALU_DEP_1)
	v_add_nc_u32_e32 v7, 0x38000000, v7
.LBB6_2387:                             ;   in Loop: Header=BB6_130 Depth=2
	s_and_not1_saveexec_b32 s42, s42
; %bb.2388:                             ;   in Loop: Header=BB6_130 Depth=2
	v_cmp_lt_i32_e32 vcc_lo, -1, v18
	v_cndmask_b32_e32 v7, 0xff800000, v62, vcc_lo
	v_cmp_eq_u32_e32 vcc_lo, 0, v8
	s_delay_alu instid0(VALU_DEP_2)
	v_cndmask_b32_e32 v7, 0x7f800001, v7, vcc_lo
; %bb.2389:                             ;   in Loop: Header=BB6_130 Depth=2
	s_or_b32 exec_lo, exec_lo, s42
.LBB6_2390:                             ;   in Loop: Header=BB6_130 Depth=2
	s_delay_alu instid0(SALU_CYCLE_1)
	s_or_b32 exec_lo, exec_lo, s15
.LBB6_2391:                             ;   in Loop: Header=BB6_130 Depth=2
	s_delay_alu instid0(SALU_CYCLE_1) | instskip(NEXT) | instid1(VALU_DEP_1)
	s_or_b32 exec_lo, exec_lo, s11
	v_dual_max_num_f32 v7, v7, v7 :: v_dual_max_num_f32 v1, v1, v1
	s_mov_b32 s11, 0
	s_delay_alu instid0(VALU_DEP_1)
	v_max_num_f32_e32 v1, v1, v7
.LBB6_2392:                             ;   in Loop: Header=BB6_130 Depth=2
	s_and_b32 vcc_lo, exec_lo, s11
	s_cbranch_vccz .LBB6_2414
; %bb.2393:                             ;   in Loop: Header=BB6_130 Depth=2
	v_dual_mov_b32 v7, 0 :: v_dual_mov_b32 v1, 0
	s_and_saveexec_b32 s11, s10
	s_cbranch_execz .LBB6_2403
; %bb.2394:                             ;   in Loop: Header=BB6_130 Depth=2
	v_bfrev_b32_e32 v1, 1
	s_mov_b32 s10, exec_lo
	v_cmpx_ne_u32_e32 0x80, v6
	s_cbranch_execz .LBB6_2402
; %bb.2395:                             ;   in Loop: Header=BB6_130 Depth=2
	v_and_b32_e32 v1, 0x7c000000, v2
	v_bfe_u32 v8, v2, 24, 2
	s_delay_alu instid0(VALU_DEP_2) | instskip(SKIP_1) | instid1(SALU_CYCLE_1)
	v_cmp_ne_u32_e32 vcc_lo, 0x7c000000, v1
                                        ; implicit-def: $vgpr1
	s_and_saveexec_b32 s15, vcc_lo
	s_xor_b32 s15, exec_lo, s15
	s_cbranch_execz .LBB6_2399
; %bb.2396:                             ;   in Loop: Header=BB6_130 Depth=2
	v_bfe_u32 v1, v2, 26, 5
	s_mov_b32 s42, exec_lo
	s_delay_alu instid0(VALU_DEP_1)
	v_cmpx_eq_u32_e32 0, v1
; %bb.2397:                             ;   in Loop: Header=BB6_130 Depth=2
	v_clz_i32_u32_e32 v1, v8
	s_delay_alu instid0(VALU_DEP_1) | instskip(NEXT) | instid1(VALU_DEP_1)
	v_min_u32_e32 v1, 32, v1
	v_subrev_nc_u32_e32 v8, 29, v1
	s_delay_alu instid0(VALU_DEP_1) | instskip(NEXT) | instid1(VALU_DEP_1)
	v_lshlrev_b64_e32 v[8:9], v8, v[6:7]
	v_dual_sub_nc_u32 v1, 30, v1 :: v_dual_bitop2_b32 v8, 3, v8 bitop3:0x40
; %bb.2398:                             ;   in Loop: Header=BB6_130 Depth=2
	s_or_b32 exec_lo, exec_lo, s42
	v_and_b32_e32 v6, 0x80000000, v2
	s_delay_alu instid0(VALU_DEP_1) | instskip(NEXT) | instid1(VALU_DEP_1)
	v_lshl_add_u32 v1, v1, 23, v6
	v_lshl_or_b32 v1, v8, 21, v1
                                        ; implicit-def: $vgpr8
	s_delay_alu instid0(VALU_DEP_1)
	v_add_nc_u32_e32 v1, 0x38000000, v1
.LBB6_2399:                             ;   in Loop: Header=BB6_130 Depth=2
	s_and_not1_saveexec_b32 s15, s15
; %bb.2400:                             ;   in Loop: Header=BB6_130 Depth=2
	v_cmp_lt_i32_e32 vcc_lo, -1, v2
	v_cndmask_b32_e32 v1, 0xff800000, v62, vcc_lo
	v_cmp_eq_u32_e32 vcc_lo, 0, v8
	s_delay_alu instid0(VALU_DEP_2)
	v_cndmask_b32_e32 v1, 0x7f800001, v1, vcc_lo
; %bb.2401:                             ;   in Loop: Header=BB6_130 Depth=2
	s_or_b32 exec_lo, exec_lo, s15
.LBB6_2402:                             ;   in Loop: Header=BB6_130 Depth=2
	s_delay_alu instid0(SALU_CYCLE_1)
	s_or_b32 exec_lo, exec_lo, s10
.LBB6_2403:                             ;   in Loop: Header=BB6_130 Depth=2
	s_delay_alu instid0(SALU_CYCLE_1) | instskip(NEXT) | instid1(SALU_CYCLE_1)
	s_or_b32 exec_lo, exec_lo, s11
	s_mov_b32 s10, exec_lo
	v_cmpx_lt_u32_e32 0xffffff, v18
	s_cbranch_execz .LBB6_2413
; %bb.2404:                             ;   in Loop: Header=BB6_130 Depth=2
	v_bfrev_b32_e32 v7, 1
	s_mov_b32 s11, exec_lo
	v_cmpx_ne_u32_e32 0x80, v0
	s_cbranch_execz .LBB6_2412
; %bb.2405:                             ;   in Loop: Header=BB6_130 Depth=2
	v_and_b32_e32 v7, 0x7c000000, v18
	v_bfe_u32 v6, v18, 24, 2
	s_delay_alu instid0(VALU_DEP_2) | instskip(SKIP_1) | instid1(SALU_CYCLE_1)
	v_cmp_ne_u32_e32 vcc_lo, 0x7c000000, v7
                                        ; implicit-def: $vgpr7
	s_and_saveexec_b32 s15, vcc_lo
	s_xor_b32 s15, exec_lo, s15
	s_cbranch_execz .LBB6_2409
; %bb.2406:                             ;   in Loop: Header=BB6_130 Depth=2
	v_bfe_u32 v7, v18, 26, 5
	s_mov_b32 s42, exec_lo
	s_delay_alu instid0(VALU_DEP_1)
	v_cmpx_eq_u32_e32 0, v7
; %bb.2407:                             ;   in Loop: Header=BB6_130 Depth=2
	v_clz_i32_u32_e32 v6, v6
	s_delay_alu instid0(VALU_DEP_1) | instskip(NEXT) | instid1(VALU_DEP_1)
	v_min_u32_e32 v8, 32, v6
	v_subrev_nc_u32_e32 v6, 29, v8
	s_delay_alu instid0(VALU_DEP_1) | instskip(NEXT) | instid1(VALU_DEP_1)
	v_lshlrev_b64_e32 v[6:7], v6, v[0:1]
	v_dual_sub_nc_u32 v7, 30, v8 :: v_dual_bitop2_b32 v6, 3, v6 bitop3:0x40
; %bb.2408:                             ;   in Loop: Header=BB6_130 Depth=2
	s_or_b32 exec_lo, exec_lo, s42
	v_and_b32_e32 v0, 0x80000000, v18
	s_delay_alu instid0(VALU_DEP_1) | instskip(NEXT) | instid1(VALU_DEP_1)
	v_lshl_add_u32 v0, v7, 23, v0
	v_lshl_or_b32 v0, v6, 21, v0
                                        ; implicit-def: $vgpr6
	s_delay_alu instid0(VALU_DEP_1)
	v_add_nc_u32_e32 v7, 0x38000000, v0
.LBB6_2409:                             ;   in Loop: Header=BB6_130 Depth=2
	s_and_not1_saveexec_b32 s15, s15
; %bb.2410:                             ;   in Loop: Header=BB6_130 Depth=2
	v_cmp_lt_i32_e32 vcc_lo, -1, v18
	v_cndmask_b32_e32 v0, 0xff800000, v62, vcc_lo
	v_cmp_eq_u32_e32 vcc_lo, 0, v6
	s_delay_alu instid0(VALU_DEP_2)
	v_cndmask_b32_e32 v7, 0x7f800001, v0, vcc_lo
; %bb.2411:                             ;   in Loop: Header=BB6_130 Depth=2
	s_or_b32 exec_lo, exec_lo, s15
.LBB6_2412:                             ;   in Loop: Header=BB6_130 Depth=2
	s_delay_alu instid0(SALU_CYCLE_1)
	s_or_b32 exec_lo, exec_lo, s11
.LBB6_2413:                             ;   in Loop: Header=BB6_130 Depth=2
	s_delay_alu instid0(SALU_CYCLE_1) | instskip(NEXT) | instid1(VALU_DEP_1)
	s_or_b32 exec_lo, exec_lo, s10
	v_dual_max_num_f32 v0, v7, v7 :: v_dual_max_num_f32 v1, v1, v1
	s_delay_alu instid0(VALU_DEP_1)
	v_min_num_f32_e32 v1, v1, v0
.LBB6_2414:                             ;   in Loop: Header=BB6_130 Depth=2
	s_delay_alu instid0(VALU_DEP_1) | instskip(SKIP_3) | instid1(VALU_DEP_2)
	v_and_b32_e32 v6, 0x7f800000, v1
	v_dual_mov_b32 v7, v25 :: v_dual_lshrrev_b32 v0, 24, v1
	v_and_b32_e32 v24, 0x7fffff, v1
                                        ; implicit-def: $vgpr84
	s_mov_b32 s10, exec_lo
	v_cmpx_ne_u64_e32 0x7f800000, v[6:7]
	s_xor_b32 s11, exec_lo, s10
	s_cbranch_execz .LBB6_2428
; %bb.2415:                             ;   in Loop: Header=BB6_130 Depth=2
	v_and_b32_e32 v6, 0x7fffffff, v1
	v_mov_b32_e32 v7, v25
	v_and_b32_e32 v8, 0x80, v0
                                        ; implicit-def: $vgpr84
	s_mov_b32 s10, exec_lo
	s_delay_alu instid0(VALU_DEP_2)
	v_cmpx_gt_u64_e32 0x47600001, v[6:7]
	s_xor_b32 s15, exec_lo, s10
	s_cbranch_execz .LBB6_2425
; %bb.2416:                             ;   in Loop: Header=BB6_130 Depth=2
	v_mov_b32_e32 v84, 0
	s_mov_b32 s42, exec_lo
	v_cmpx_ne_u32_e32 0, v1
	s_cbranch_execz .LBB6_2424
; %bb.2417:                             ;   in Loop: Header=BB6_130 Depth=2
	v_bfe_u32 v9, v1, 23, 8
	v_or_b32_e32 v1, 0x800000, v24
	s_delay_alu instid0(VALU_DEP_2) | instskip(SKIP_2) | instid1(VALU_DEP_2)
	v_cmp_gt_u32_e64 s10, 0x72, v9
	v_sub_nc_u32_e32 v0, 0x71, v9
	v_cmp_eq_u32_e32 vcc_lo, 0, v9
	v_cndmask_b32_e64 v0, 0, v0, s10
	v_cndmask_b32_e32 v24, v1, v24, vcc_lo
	s_delay_alu instid0(VALU_DEP_2) | instskip(NEXT) | instid1(VALU_DEP_1)
	v_cndmask_b32_e64 v84, v0, 0x70, vcc_lo
	v_dual_add_nc_u32 v0, 21, v84 :: v_dual_add_nc_u32 v6, 20, v84
	s_delay_alu instid0(VALU_DEP_1) | instskip(NEXT) | instid1(VALU_DEP_2)
	v_lshlrev_b64_e64 v[0:1], v0, -1
	v_lshlrev_b64_e64 v[6:7], v6, 1
	s_delay_alu instid0(VALU_DEP_2) | instskip(NEXT) | instid1(VALU_DEP_3)
	v_bfi_b32 v1, v1, 0, 0
	v_bfi_b32 v0, v0, 0, v24
	s_delay_alu instid0(VALU_DEP_1) | instskip(SKIP_1) | instid1(VALU_DEP_1)
	v_cmp_eq_u64_e64 s10, v[0:1], v[6:7]
	v_lshrrev_b64 v[0:1], v84, v[24:25]
	v_mov_b64_e32 v[6:7], v[0:1]
	s_and_saveexec_b32 s43, s10
; %bb.2418:                             ;   in Loop: Header=BB6_130 Depth=2
	v_bfe_u32 v24, v0, 21, 1
	s_delay_alu instid0(VALU_DEP_1) | instskip(NEXT) | instid1(VALU_DEP_1)
	v_add_nc_u64_e32 v[6:7], v[0:1], v[24:25]
	v_add_nc_u64_e32 v[6:7], -1, v[6:7]
; %bb.2419:                             ;   in Loop: Header=BB6_130 Depth=2
	s_or_b32 exec_lo, exec_lo, s43
	v_add_nc_u32_e32 v1, 0xffffff81, v9
	v_lshrrev_b32_e32 v7, 23, v0
	s_mov_b32 s10, exec_lo
	s_delay_alu instid0(VALU_DEP_2) | instskip(NEXT) | instid1(VALU_DEP_1)
	v_cndmask_b32_e64 v1, v1, 0xffffff82, vcc_lo
	v_add3_u32 v7, v84, v1, v7
	v_and_b32_e32 v1, 0x1fffff, v6
                                        ; implicit-def: $vgpr6
	s_delay_alu instid0(VALU_DEP_1) | instskip(NEXT) | instid1(VALU_DEP_1)
	v_dual_add_nc_u32 v9, 14, v7 :: v_dual_add_nc_u32 v24, v1, v0
                                        ; implicit-def: $vgpr0_vgpr1
	v_cmpx_ne_u32_e32 0, v9
	s_xor_b32 s10, exec_lo, s10
; %bb.2420:                             ;   in Loop: Header=BB6_130 Depth=2
	s_delay_alu instid0(VALU_DEP_2) | instskip(SKIP_1) | instid1(VALU_DEP_1)
	v_cmp_lt_u64_e32 vcc_lo, 0xffffff, v[24:25]
	v_add_nc_u32_e32 v0, 15, v7
	v_cndmask_b32_e32 v6, v9, v0, vcc_lo
	v_cndmask_b32_e64 v0, 0, 1, vcc_lo
	s_delay_alu instid0(VALU_DEP_1)
	v_lshrrev_b64 v[0:1], v0, v[24:25]
; %bb.2421:                             ;   in Loop: Header=BB6_130 Depth=2
	s_and_not1_saveexec_b32 s10, s10
; %bb.2422:                             ;   in Loop: Header=BB6_130 Depth=2
	v_mov_b64_e32 v[0:1], v[24:25]
	v_bfe_u32 v6, v24, 23, 1
; %bb.2423:                             ;   in Loop: Header=BB6_130 Depth=2
	s_or_b32 exec_lo, exec_lo, s10
	s_delay_alu instid0(VALU_DEP_2) | instskip(NEXT) | instid1(VALU_DEP_2)
	v_lshrrev_b64 v[0:1], 21, v[0:1]
	v_cmp_gt_i32_e32 vcc_lo, 32, v6
	v_min_i32_e32 v7, 31, v6
	v_cmp_eq_u32_e64 s10, 0, v6
	s_delay_alu instid0(VALU_DEP_2) | instskip(SKIP_1) | instid1(VALU_DEP_2)
	v_dual_cndmask_b32 v1, 0, v1, vcc_lo :: v_dual_lshlrev_b32 v7, 2, v7
	v_cndmask_b32_e32 v0, 3, v0, vcc_lo
	v_and_b32_e32 v7, 0xfc, v7
	s_delay_alu instid0(VALU_DEP_2) | instskip(NEXT) | instid1(VALU_DEP_2)
	v_cmp_eq_u64_e32 vcc_lo, 0, v[0:1]
	v_and_or_b32 v0, v0, 3, v7
	s_and_b32 s10, s10, vcc_lo
	s_delay_alu instid0(VALU_DEP_1) | instid1(SALU_CYCLE_1)
	v_cndmask_b32_e64 v0, v0, 0, s10
	s_delay_alu instid0(VALU_DEP_1)
	v_or_b32_e32 v84, v0, v8
.LBB6_2424:                             ;   in Loop: Header=BB6_130 Depth=2
	s_or_b32 exec_lo, exec_lo, s42
                                        ; implicit-def: $vgpr8
.LBB6_2425:                             ;   in Loop: Header=BB6_130 Depth=2
	s_and_not1_saveexec_b32 s10, s15
; %bb.2426:                             ;   in Loop: Header=BB6_130 Depth=2
	v_or_b32_e32 v84, 0x7b, v8
; %bb.2427:                             ;   in Loop: Header=BB6_130 Depth=2
	s_or_b32 exec_lo, exec_lo, s10
                                        ; implicit-def: $vgpr1
                                        ; implicit-def: $vgpr0
.LBB6_2428:                             ;   in Loop: Header=BB6_130 Depth=2
	s_and_not1_saveexec_b32 s10, s11
	s_cbranch_execz .LBB6_2434
; %bb.2429:                             ;   in Loop: Header=BB6_130 Depth=2
	s_mov_b32 s11, exec_lo
                                        ; implicit-def: $vgpr84
	v_cmpx_ne_u64_e32 0, v[24:25]
	s_xor_b32 s11, exec_lo, s11
; %bb.2430:                             ;   in Loop: Header=BB6_130 Depth=2
	v_or_b32_e32 v84, 0x7f, v0
                                        ; implicit-def: $vgpr1
; %bb.2431:                             ;   in Loop: Header=BB6_130 Depth=2
	s_and_not1_saveexec_b32 s11, s11
; %bb.2432:                             ;   in Loop: Header=BB6_130 Depth=2
	v_cmp_lt_i32_e32 vcc_lo, -1, v1
	v_cndmask_b32_e32 v84, 0xfc, v93, vcc_lo
; %bb.2433:                             ;   in Loop: Header=BB6_130 Depth=2
	s_or_b32 exec_lo, exec_lo, s11
.LBB6_2434:                             ;   in Loop: Header=BB6_130 Depth=2
	s_delay_alu instid0(SALU_CYCLE_1) | instskip(SKIP_4) | instid1(VALU_DEP_3)
	s_or_b32 exec_lo, exec_lo, s10
	v_and_b32_e32 v6, 0xff, v3
	v_dual_mov_b32 v24, v3 :: v_dual_mov_b32 v0, v19
	v_mov_b32_e32 v1, v25
	s_and_not1_b32 vcc_lo, exec_lo, s14
	v_cmp_ne_u16_e64 s10, 0, v6
	s_mov_b32 s11, -1
                                        ; implicit-def: $vgpr8
	s_cbranch_vccnz .LBB6_2456
; %bb.2435:                             ;   in Loop: Header=BB6_130 Depth=2
	v_dual_mov_b32 v8, 0 :: v_dual_mov_b32 v7, 0
	s_and_saveexec_b32 s11, s10
	s_cbranch_execz .LBB6_2445
; %bb.2436:                             ;   in Loop: Header=BB6_130 Depth=2
	v_bfrev_b32_e32 v7, 1
	s_mov_b32 s15, exec_lo
	v_cmpx_ne_u16_e32 0x80, v6
	s_cbranch_execz .LBB6_2444
; %bb.2437:                             ;   in Loop: Header=BB6_130 Depth=2
	v_and_b32_e32 v7, 0x7c, v3
	v_and_b32_e32 v9, 3, v3
	s_delay_alu instid0(VALU_DEP_2) | instskip(SKIP_1) | instid1(SALU_CYCLE_1)
	v_cmp_ne_u32_e32 vcc_lo, 0x7c, v7
                                        ; implicit-def: $vgpr7
	s_and_saveexec_b32 s42, vcc_lo
	s_xor_b32 s42, exec_lo, s42
	s_cbranch_execz .LBB6_2441
; %bb.2438:                             ;   in Loop: Header=BB6_130 Depth=2
	v_bfe_u32 v7, v3, 2, 5
	s_mov_b32 s43, exec_lo
	s_delay_alu instid0(VALU_DEP_1)
	v_cmpx_eq_u32_e32 0, v7
; %bb.2439:                             ;   in Loop: Header=BB6_130 Depth=2
	v_clz_i32_u32_e32 v7, v9
	s_delay_alu instid0(VALU_DEP_1) | instskip(NEXT) | instid1(VALU_DEP_1)
	v_min_u32_e32 v7, 32, v7
	v_subrev_nc_u32_e32 v9, 29, v7
	s_delay_alu instid0(VALU_DEP_1) | instskip(NEXT) | instid1(VALU_DEP_1)
	v_lshlrev_b64_e32 v[86:87], v9, v[24:25]
	v_dual_sub_nc_u32 v7, 30, v7 :: v_dual_bitop2_b32 v9, 3, v86 bitop3:0x40
; %bb.2440:                             ;   in Loop: Header=BB6_130 Depth=2
	s_or_b32 exec_lo, exec_lo, s43
	v_lshlrev_b32_e32 v85, 24, v3
	s_delay_alu instid0(VALU_DEP_1) | instskip(NEXT) | instid1(VALU_DEP_1)
	v_and_b32_e32 v85, 0x80000000, v85
	v_lshl_add_u32 v7, v7, 23, v85
	s_delay_alu instid0(VALU_DEP_1) | instskip(NEXT) | instid1(VALU_DEP_1)
	v_lshl_or_b32 v7, v9, 21, v7
                                        ; implicit-def: $vgpr9
	v_add_nc_u32_e32 v7, 0x38000000, v7
.LBB6_2441:                             ;   in Loop: Header=BB6_130 Depth=2
	s_and_not1_saveexec_b32 s42, s42
; %bb.2442:                             ;   in Loop: Header=BB6_130 Depth=2
	v_bfe_i32 v7, v3, 0, 8
	s_delay_alu instid0(VALU_DEP_1) | instskip(SKIP_2) | instid1(VALU_DEP_2)
	v_cmp_lt_i16_e32 vcc_lo, -1, v7
	v_cndmask_b32_e32 v7, 0xff800000, v62, vcc_lo
	v_cmp_eq_u32_e32 vcc_lo, 0, v9
	v_cndmask_b32_e32 v7, 0x7f800001, v7, vcc_lo
; %bb.2443:                             ;   in Loop: Header=BB6_130 Depth=2
	s_or_b32 exec_lo, exec_lo, s42
.LBB6_2444:                             ;   in Loop: Header=BB6_130 Depth=2
	s_delay_alu instid0(SALU_CYCLE_1)
	s_or_b32 exec_lo, exec_lo, s15
.LBB6_2445:                             ;   in Loop: Header=BB6_130 Depth=2
	s_delay_alu instid0(SALU_CYCLE_1) | instskip(SKIP_2) | instid1(VALU_DEP_1)
	s_or_b32 exec_lo, exec_lo, s11
	v_and_b32_e32 v9, 0xff, v19
	s_mov_b32 s11, exec_lo
	v_cmpx_ne_u16_e32 0, v9
	s_cbranch_execz .LBB6_2455
; %bb.2446:                             ;   in Loop: Header=BB6_130 Depth=2
	v_bfrev_b32_e32 v8, 1
	s_mov_b32 s15, exec_lo
	v_cmpx_ne_u16_e32 0x80, v9
	s_cbranch_execz .LBB6_2454
; %bb.2447:                             ;   in Loop: Header=BB6_130 Depth=2
	v_and_b32_e32 v8, 0x7c, v19
	v_and_b32_e32 v9, 3, v19
	s_delay_alu instid0(VALU_DEP_2) | instskip(SKIP_1) | instid1(SALU_CYCLE_1)
	v_cmp_ne_u32_e32 vcc_lo, 0x7c, v8
                                        ; implicit-def: $vgpr8
	s_and_saveexec_b32 s42, vcc_lo
	s_xor_b32 s42, exec_lo, s42
	s_cbranch_execz .LBB6_2451
; %bb.2448:                             ;   in Loop: Header=BB6_130 Depth=2
	v_bfe_u32 v8, v19, 2, 5
	s_mov_b32 s43, exec_lo
	s_delay_alu instid0(VALU_DEP_1)
	v_cmpx_eq_u32_e32 0, v8
; %bb.2449:                             ;   in Loop: Header=BB6_130 Depth=2
	v_clz_i32_u32_e32 v8, v9
	s_delay_alu instid0(VALU_DEP_1) | instskip(NEXT) | instid1(VALU_DEP_1)
	v_min_u32_e32 v8, 32, v8
	v_subrev_nc_u32_e32 v9, 29, v8
	s_delay_alu instid0(VALU_DEP_1) | instskip(NEXT) | instid1(VALU_DEP_1)
	v_lshlrev_b64_e32 v[86:87], v9, v[0:1]
	v_dual_sub_nc_u32 v8, 30, v8 :: v_dual_bitop2_b32 v9, 3, v86 bitop3:0x40
; %bb.2450:                             ;   in Loop: Header=BB6_130 Depth=2
	s_or_b32 exec_lo, exec_lo, s43
	v_lshlrev_b32_e32 v85, 24, v19
	s_delay_alu instid0(VALU_DEP_1) | instskip(NEXT) | instid1(VALU_DEP_1)
	v_and_b32_e32 v85, 0x80000000, v85
	v_lshl_add_u32 v8, v8, 23, v85
	s_delay_alu instid0(VALU_DEP_1) | instskip(NEXT) | instid1(VALU_DEP_1)
	v_lshl_or_b32 v8, v9, 21, v8
                                        ; implicit-def: $vgpr9
	v_add_nc_u32_e32 v8, 0x38000000, v8
.LBB6_2451:                             ;   in Loop: Header=BB6_130 Depth=2
	s_and_not1_saveexec_b32 s42, s42
; %bb.2452:                             ;   in Loop: Header=BB6_130 Depth=2
	v_bfe_i32 v8, v19, 0, 8
	s_delay_alu instid0(VALU_DEP_1) | instskip(SKIP_2) | instid1(VALU_DEP_2)
	v_cmp_lt_i16_e32 vcc_lo, -1, v8
	v_cndmask_b32_e32 v8, 0xff800000, v62, vcc_lo
	v_cmp_eq_u32_e32 vcc_lo, 0, v9
	v_cndmask_b32_e32 v8, 0x7f800001, v8, vcc_lo
; %bb.2453:                             ;   in Loop: Header=BB6_130 Depth=2
	s_or_b32 exec_lo, exec_lo, s42
.LBB6_2454:                             ;   in Loop: Header=BB6_130 Depth=2
	s_delay_alu instid0(SALU_CYCLE_1)
	s_or_b32 exec_lo, exec_lo, s15
.LBB6_2455:                             ;   in Loop: Header=BB6_130 Depth=2
	s_delay_alu instid0(SALU_CYCLE_1) | instskip(NEXT) | instid1(VALU_DEP_1)
	s_or_b32 exec_lo, exec_lo, s11
	v_dual_max_num_f32 v8, v8, v8 :: v_dual_max_num_f32 v7, v7, v7
	s_mov_b32 s11, 0
	s_delay_alu instid0(VALU_DEP_1)
	v_max_num_f32_e32 v8, v7, v8
.LBB6_2456:                             ;   in Loop: Header=BB6_130 Depth=2
	s_and_b32 vcc_lo, exec_lo, s11
	s_cbranch_vccz .LBB6_2478
; %bb.2457:                             ;   in Loop: Header=BB6_130 Depth=2
	v_dual_mov_b32 v8, 0 :: v_dual_mov_b32 v7, 0
	s_and_saveexec_b32 s11, s10
	s_cbranch_execz .LBB6_2467
; %bb.2458:                             ;   in Loop: Header=BB6_130 Depth=2
	v_bfrev_b32_e32 v7, 1
	s_mov_b32 s10, exec_lo
	v_cmpx_ne_u16_e32 0x80, v6
	s_cbranch_execz .LBB6_2466
; %bb.2459:                             ;   in Loop: Header=BB6_130 Depth=2
	v_and_b32_e32 v7, 0x7c, v3
	v_and_b32_e32 v6, 3, v3
	s_delay_alu instid0(VALU_DEP_2) | instskip(SKIP_1) | instid1(SALU_CYCLE_1)
	v_cmp_ne_u32_e32 vcc_lo, 0x7c, v7
                                        ; implicit-def: $vgpr7
	s_and_saveexec_b32 s15, vcc_lo
	s_xor_b32 s15, exec_lo, s15
	s_cbranch_execz .LBB6_2463
; %bb.2460:                             ;   in Loop: Header=BB6_130 Depth=2
	v_bfe_u32 v7, v3, 2, 5
	s_mov_b32 s42, exec_lo
	s_delay_alu instid0(VALU_DEP_1)
	v_cmpx_eq_u32_e32 0, v7
; %bb.2461:                             ;   in Loop: Header=BB6_130 Depth=2
	v_clz_i32_u32_e32 v6, v6
	s_delay_alu instid0(VALU_DEP_1) | instskip(NEXT) | instid1(VALU_DEP_1)
	v_min_u32_e32 v9, 32, v6
	v_subrev_nc_u32_e32 v6, 29, v9
	s_delay_alu instid0(VALU_DEP_1) | instskip(NEXT) | instid1(VALU_DEP_1)
	v_lshlrev_b64_e32 v[6:7], v6, v[24:25]
	v_dual_sub_nc_u32 v7, 30, v9 :: v_dual_bitop2_b32 v6, 3, v6 bitop3:0x40
; %bb.2462:                             ;   in Loop: Header=BB6_130 Depth=2
	s_or_b32 exec_lo, exec_lo, s42
	v_lshlrev_b32_e32 v9, 24, v3
	s_delay_alu instid0(VALU_DEP_1) | instskip(NEXT) | instid1(VALU_DEP_1)
	v_and_b32_e32 v9, 0x80000000, v9
	v_lshl_add_u32 v7, v7, 23, v9
	s_delay_alu instid0(VALU_DEP_1) | instskip(NEXT) | instid1(VALU_DEP_1)
	v_lshl_or_b32 v6, v6, 21, v7
	v_add_nc_u32_e32 v7, 0x38000000, v6
                                        ; implicit-def: $vgpr6
.LBB6_2463:                             ;   in Loop: Header=BB6_130 Depth=2
	s_and_not1_saveexec_b32 s15, s15
; %bb.2464:                             ;   in Loop: Header=BB6_130 Depth=2
	v_bfe_i32 v7, v3, 0, 8
	s_delay_alu instid0(VALU_DEP_1) | instskip(SKIP_2) | instid1(VALU_DEP_2)
	v_cmp_lt_i16_e32 vcc_lo, -1, v7
	v_cndmask_b32_e32 v7, 0xff800000, v62, vcc_lo
	v_cmp_eq_u32_e32 vcc_lo, 0, v6
	v_cndmask_b32_e32 v7, 0x7f800001, v7, vcc_lo
; %bb.2465:                             ;   in Loop: Header=BB6_130 Depth=2
	s_or_b32 exec_lo, exec_lo, s15
.LBB6_2466:                             ;   in Loop: Header=BB6_130 Depth=2
	s_delay_alu instid0(SALU_CYCLE_1)
	s_or_b32 exec_lo, exec_lo, s10
.LBB6_2467:                             ;   in Loop: Header=BB6_130 Depth=2
	s_delay_alu instid0(SALU_CYCLE_1) | instskip(SKIP_2) | instid1(VALU_DEP_1)
	s_or_b32 exec_lo, exec_lo, s11
	v_and_b32_e32 v6, 0xff, v19
	s_mov_b32 s10, exec_lo
	v_cmpx_ne_u16_e32 0, v6
	s_cbranch_execz .LBB6_2477
; %bb.2468:                             ;   in Loop: Header=BB6_130 Depth=2
	v_bfrev_b32_e32 v8, 1
	s_mov_b32 s11, exec_lo
	v_cmpx_ne_u16_e32 0x80, v6
	s_cbranch_execz .LBB6_2476
; %bb.2469:                             ;   in Loop: Header=BB6_130 Depth=2
	v_and_b32_e32 v8, 0x7c, v19
	v_and_b32_e32 v6, 3, v19
	s_delay_alu instid0(VALU_DEP_2) | instskip(SKIP_1) | instid1(SALU_CYCLE_1)
	v_cmp_ne_u32_e32 vcc_lo, 0x7c, v8
                                        ; implicit-def: $vgpr8
	s_and_saveexec_b32 s15, vcc_lo
	s_xor_b32 s15, exec_lo, s15
	s_cbranch_execz .LBB6_2473
; %bb.2470:                             ;   in Loop: Header=BB6_130 Depth=2
	v_bfe_u32 v8, v19, 2, 5
	s_mov_b32 s42, exec_lo
	s_delay_alu instid0(VALU_DEP_1)
	v_cmpx_eq_u32_e32 0, v8
; %bb.2471:                             ;   in Loop: Header=BB6_130 Depth=2
	v_clz_i32_u32_e32 v6, v6
	s_delay_alu instid0(VALU_DEP_1) | instskip(NEXT) | instid1(VALU_DEP_1)
	v_min_u32_e32 v6, 32, v6
	v_subrev_nc_u32_e32 v8, 29, v6
	s_delay_alu instid0(VALU_DEP_1) | instskip(SKIP_1) | instid1(VALU_DEP_2)
	v_lshlrev_b64_e32 v[86:87], v8, v[0:1]
	v_sub_nc_u32_e32 v8, 30, v6
	v_and_b32_e32 v6, 3, v86
; %bb.2472:                             ;   in Loop: Header=BB6_130 Depth=2
	s_or_b32 exec_lo, exec_lo, s42
	v_lshlrev_b32_e32 v1, 24, v19
	s_delay_alu instid0(VALU_DEP_1) | instskip(NEXT) | instid1(VALU_DEP_1)
	v_and_b32_e32 v1, 0x80000000, v1
	v_lshl_add_u32 v1, v8, 23, v1
	s_delay_alu instid0(VALU_DEP_1) | instskip(NEXT) | instid1(VALU_DEP_1)
	v_lshl_or_b32 v1, v6, 21, v1
                                        ; implicit-def: $vgpr6
	v_add_nc_u32_e32 v8, 0x38000000, v1
.LBB6_2473:                             ;   in Loop: Header=BB6_130 Depth=2
	s_and_not1_saveexec_b32 s15, s15
; %bb.2474:                             ;   in Loop: Header=BB6_130 Depth=2
	v_bfe_i32 v1, v19, 0, 8
	s_delay_alu instid0(VALU_DEP_1) | instskip(SKIP_2) | instid1(VALU_DEP_2)
	v_cmp_lt_i16_e32 vcc_lo, -1, v1
	v_cndmask_b32_e32 v1, 0xff800000, v62, vcc_lo
	v_cmp_eq_u32_e32 vcc_lo, 0, v6
	v_cndmask_b32_e32 v8, 0x7f800001, v1, vcc_lo
; %bb.2475:                             ;   in Loop: Header=BB6_130 Depth=2
	s_or_b32 exec_lo, exec_lo, s15
.LBB6_2476:                             ;   in Loop: Header=BB6_130 Depth=2
	s_delay_alu instid0(SALU_CYCLE_1)
	s_or_b32 exec_lo, exec_lo, s11
.LBB6_2477:                             ;   in Loop: Header=BB6_130 Depth=2
	s_delay_alu instid0(SALU_CYCLE_1) | instskip(NEXT) | instid1(VALU_DEP_1)
	s_or_b32 exec_lo, exec_lo, s10
	v_dual_max_num_f32 v1, v8, v8 :: v_dual_max_num_f32 v6, v7, v7
	s_delay_alu instid0(VALU_DEP_1)
	v_min_num_f32_e32 v8, v6, v1
.LBB6_2478:                             ;   in Loop: Header=BB6_130 Depth=2
	s_delay_alu instid0(VALU_DEP_1) | instskip(SKIP_4) | instid1(VALU_DEP_3)
	v_and_b32_e32 v86, 0x7f800000, v8
	v_dual_mov_b32 v87, v25 :: v_dual_mov_b32 v7, v25
	v_and_b32_e32 v6, 0x7fffff, v8
	v_lshrrev_b32_e32 v1, 24, v8
                                        ; implicit-def: $vgpr85
	s_mov_b32 s10, exec_lo
	v_cmpx_ne_u64_e32 0x7f800000, v[86:87]
	s_xor_b32 s11, exec_lo, s10
	s_cbranch_execz .LBB6_2492
; %bb.2479:                             ;   in Loop: Header=BB6_130 Depth=2
	v_and_b32_e32 v86, 0x7fffffff, v8
	v_mov_b32_e32 v87, v25
	v_and_b32_e32 v1, 0x80, v1
                                        ; implicit-def: $vgpr85
	s_mov_b32 s10, exec_lo
	s_delay_alu instid0(VALU_DEP_2)
	v_cmpx_gt_u64_e32 0x47600001, v[86:87]
	s_xor_b32 s15, exec_lo, s10
	s_cbranch_execz .LBB6_2489
; %bb.2480:                             ;   in Loop: Header=BB6_130 Depth=2
	v_mov_b32_e32 v85, 0
	s_mov_b32 s42, exec_lo
	v_cmpx_ne_u32_e32 0, v8
	s_cbranch_execz .LBB6_2488
; %bb.2481:                             ;   in Loop: Header=BB6_130 Depth=2
	v_bfe_u32 v85, v8, 23, 8
	v_or_b32_e32 v9, 0x800000, v6
	s_delay_alu instid0(VALU_DEP_2) | instskip(SKIP_2) | instid1(VALU_DEP_2)
	v_cmp_gt_u32_e64 s10, 0x72, v85
	v_sub_nc_u32_e32 v8, 0x71, v85
	v_cmp_eq_u32_e32 vcc_lo, 0, v85
	v_dual_cndmask_b32 v8, 0, v8, s10 :: v_dual_cndmask_b32 v6, v9, v6, vcc_lo
	s_delay_alu instid0(VALU_DEP_1) | instskip(NEXT) | instid1(VALU_DEP_1)
	v_cndmask_b32_e64 v86, v8, 0x70, vcc_lo
	v_dual_add_nc_u32 v8, 21, v86 :: v_dual_add_nc_u32 v87, 20, v86
	s_delay_alu instid0(VALU_DEP_1) | instskip(NEXT) | instid1(VALU_DEP_2)
	v_lshlrev_b64_e64 v[8:9], v8, -1
	v_lshlrev_b64_e64 v[96:97], v87, 1
	s_delay_alu instid0(VALU_DEP_2) | instskip(SKIP_1) | instid1(VALU_DEP_4)
	v_bfi_b32 v8, v8, 0, v6
	v_lshrrev_b64 v[6:7], v86, v[6:7]
	v_bfi_b32 v9, v9, 0, 0
	s_delay_alu instid0(VALU_DEP_1) | instskip(NEXT) | instid1(VALU_DEP_3)
	v_cmp_eq_u64_e64 s10, v[8:9], v[96:97]
	v_mov_b64_e32 v[8:9], v[6:7]
	s_and_saveexec_b32 s43, s10
; %bb.2482:                             ;   in Loop: Header=BB6_130 Depth=2
	v_bfe_u32 v8, v6, 21, 1
	v_mov_b32_e32 v9, v25
	s_delay_alu instid0(VALU_DEP_1) | instskip(NEXT) | instid1(VALU_DEP_1)
	v_add_nc_u64_e32 v[8:9], v[6:7], v[8:9]
	v_add_nc_u64_e32 v[8:9], -1, v[8:9]
; %bb.2483:                             ;   in Loop: Header=BB6_130 Depth=2
	s_or_b32 exec_lo, exec_lo, s43
	v_add_nc_u32_e32 v7, 0xffffff81, v85
	v_lshrrev_b32_e32 v9, 23, v6
	s_mov_b32 s10, exec_lo
	s_delay_alu instid0(VALU_DEP_2) | instskip(NEXT) | instid1(VALU_DEP_1)
	v_cndmask_b32_e64 v7, v7, 0xffffff82, vcc_lo
	v_add3_u32 v85, v86, v7, v9
	v_and_b32_e32 v7, 0x1fffff, v8
                                        ; implicit-def: $vgpr8
	s_delay_alu instid0(VALU_DEP_1) | instskip(SKIP_1) | instid1(VALU_DEP_2)
	v_dual_add_nc_u32 v9, 14, v85 :: v_dual_add_nc_u32 v6, v7, v6
	v_mov_b32_e32 v7, v25
	v_cmpx_ne_u32_e32 0, v9
	s_xor_b32 s10, exec_lo, s10
; %bb.2484:                             ;   in Loop: Header=BB6_130 Depth=2
	s_delay_alu instid0(VALU_DEP_2) | instskip(SKIP_1) | instid1(VALU_DEP_1)
	v_cmp_lt_u64_e32 vcc_lo, 0xffffff, v[6:7]
	v_add_nc_u32_e32 v8, 15, v85
	v_cndmask_b32_e32 v8, v9, v8, vcc_lo
	v_cndmask_b32_e64 v9, 0, 1, vcc_lo
	s_delay_alu instid0(VALU_DEP_1)
	v_lshrrev_b64 v[6:7], v9, v[6:7]
; %bb.2485:                             ;   in Loop: Header=BB6_130 Depth=2
	s_and_not1_saveexec_b32 s10, s10
; %bb.2486:                             ;   in Loop: Header=BB6_130 Depth=2
	s_delay_alu instid0(VALU_DEP_1)
	v_bfe_u32 v8, v6, 23, 1
; %bb.2487:                             ;   in Loop: Header=BB6_130 Depth=2
	s_or_b32 exec_lo, exec_lo, s10
	s_delay_alu instid0(VALU_DEP_2) | instskip(NEXT) | instid1(VALU_DEP_2)
	v_lshrrev_b64 v[6:7], 21, v[6:7]
	v_cmp_gt_i32_e32 vcc_lo, 32, v8
	v_min_i32_e32 v9, 31, v8
	v_cmp_eq_u32_e64 s10, 0, v8
	s_delay_alu instid0(VALU_DEP_2) | instskip(SKIP_1) | instid1(VALU_DEP_2)
	v_dual_cndmask_b32 v7, 0, v7, vcc_lo :: v_dual_lshlrev_b32 v9, 2, v9
	v_cndmask_b32_e32 v6, 3, v6, vcc_lo
	v_and_b32_e32 v9, 0xfc, v9
	s_delay_alu instid0(VALU_DEP_2) | instskip(NEXT) | instid1(VALU_DEP_2)
	v_cmp_eq_u64_e32 vcc_lo, 0, v[6:7]
	v_and_or_b32 v6, v6, 3, v9
	s_and_b32 s10, s10, vcc_lo
	s_delay_alu instid0(VALU_DEP_1) | instid1(SALU_CYCLE_1)
	v_cndmask_b32_e64 v6, v6, 0, s10
	s_delay_alu instid0(VALU_DEP_1)
	v_or_b32_e32 v85, v6, v1
.LBB6_2488:                             ;   in Loop: Header=BB6_130 Depth=2
	s_or_b32 exec_lo, exec_lo, s42
                                        ; implicit-def: $vgpr1
.LBB6_2489:                             ;   in Loop: Header=BB6_130 Depth=2
	s_and_not1_saveexec_b32 s10, s15
; %bb.2490:                             ;   in Loop: Header=BB6_130 Depth=2
	v_or_b32_e32 v85, 0x7b, v1
; %bb.2491:                             ;   in Loop: Header=BB6_130 Depth=2
	s_or_b32 exec_lo, exec_lo, s10
                                        ; implicit-def: $vgpr8
                                        ; implicit-def: $vgpr6_vgpr7
                                        ; implicit-def: $vgpr1
.LBB6_2492:                             ;   in Loop: Header=BB6_130 Depth=2
	s_and_not1_saveexec_b32 s10, s11
	s_cbranch_execz .LBB6_2498
; %bb.2493:                             ;   in Loop: Header=BB6_130 Depth=2
	s_mov_b32 s11, exec_lo
                                        ; implicit-def: $vgpr85
	v_cmpx_ne_u64_e32 0, v[6:7]
	s_xor_b32 s11, exec_lo, s11
; %bb.2494:                             ;   in Loop: Header=BB6_130 Depth=2
	v_or_b32_e32 v85, 0x7f, v1
                                        ; implicit-def: $vgpr8
; %bb.2495:                             ;   in Loop: Header=BB6_130 Depth=2
	s_and_not1_saveexec_b32 s11, s11
; %bb.2496:                             ;   in Loop: Header=BB6_130 Depth=2
	v_cmp_lt_i32_e32 vcc_lo, -1, v8
	v_cndmask_b32_e32 v85, 0xfc, v93, vcc_lo
; %bb.2497:                             ;   in Loop: Header=BB6_130 Depth=2
	s_or_b32 exec_lo, exec_lo, s11
.LBB6_2498:                             ;   in Loop: Header=BB6_130 Depth=2
	s_delay_alu instid0(SALU_CYCLE_1) | instskip(SKIP_4) | instid1(VALU_DEP_2)
	s_or_b32 exec_lo, exec_lo, s10
	v_lshrrev_b16 v8, 8, v24
	v_lshrrev_b16 v6, 8, v0
	s_and_not1_b32 vcc_lo, exec_lo, s14
	s_mov_b32 s11, -1
                                        ; implicit-def: $vgpr7
	v_and_b32_e32 v1, 0xffff, v8
	v_cmp_ne_u16_e64 s10, 0, v8
	s_cbranch_vccnz .LBB6_2520
; %bb.2499:                             ;   in Loop: Header=BB6_130 Depth=2
	v_dual_mov_b32 v7, 0 :: v_dual_mov_b32 v9, 0
	s_and_saveexec_b32 s15, s10
	s_cbranch_execz .LBB6_2509
; %bb.2500:                             ;   in Loop: Header=BB6_130 Depth=2
	v_bfrev_b32_e32 v9, 1
	s_mov_b32 s42, exec_lo
	v_cmpx_ne_u16_e32 0x80, v8
	s_cbranch_execz .LBB6_2508
; %bb.2501:                             ;   in Loop: Header=BB6_130 Depth=2
	v_and_b32_e32 v9, 0x7c, v1
	v_and_b32_e32 v86, 3, v1
	s_delay_alu instid0(VALU_DEP_2) | instskip(SKIP_1) | instid1(SALU_CYCLE_1)
	v_cmp_ne_u32_e32 vcc_lo, 0x7c, v9
                                        ; implicit-def: $vgpr9
	s_and_saveexec_b32 s11, vcc_lo
	s_xor_b32 s11, exec_lo, s11
	s_cbranch_execz .LBB6_2505
; %bb.2502:                             ;   in Loop: Header=BB6_130 Depth=2
	v_bfe_u32 v9, v1, 2, 5
	s_mov_b32 s43, exec_lo
	s_delay_alu instid0(VALU_DEP_1)
	v_cmpx_eq_u32_e32 0, v9
; %bb.2503:                             ;   in Loop: Header=BB6_130 Depth=2
	v_clz_i32_u32_e32 v9, v86
	s_delay_alu instid0(VALU_DEP_1) | instskip(SKIP_1) | instid1(VALU_DEP_2)
	v_min_u32_e32 v96, 32, v9
	v_mov_b32_e32 v9, v25
	v_subrev_nc_u32_e32 v86, 29, v96
	s_delay_alu instid0(VALU_DEP_1) | instskip(NEXT) | instid1(VALU_DEP_1)
	v_lshlrev_b64_e32 v[86:87], v86, v[8:9]
	v_dual_sub_nc_u32 v9, 30, v96 :: v_dual_bitop2_b32 v86, 3, v86 bitop3:0x40
; %bb.2504:                             ;   in Loop: Header=BB6_130 Depth=2
	s_or_b32 exec_lo, exec_lo, s43
	v_lshlrev_b32_e32 v87, 16, v24
	s_delay_alu instid0(VALU_DEP_1) | instskip(NEXT) | instid1(VALU_DEP_1)
	v_and_b32_e32 v87, 0x80000000, v87
	v_lshl_add_u32 v9, v9, 23, v87
	s_delay_alu instid0(VALU_DEP_1) | instskip(NEXT) | instid1(VALU_DEP_1)
	v_lshl_or_b32 v9, v86, 21, v9
                                        ; implicit-def: $vgpr86
	v_add_nc_u32_e32 v9, 0x38000000, v9
.LBB6_2505:                             ;   in Loop: Header=BB6_130 Depth=2
	s_and_not1_saveexec_b32 s43, s11
; %bb.2506:                             ;   in Loop: Header=BB6_130 Depth=2
	v_cmp_lt_i16_e64 s11, -1, v24
	v_cmp_eq_u32_e32 vcc_lo, 0, v86
	s_delay_alu instid0(VALU_DEP_2) | instskip(NEXT) | instid1(VALU_DEP_1)
	v_cndmask_b32_e64 v9, 0xff800000, v62, s11
	v_cndmask_b32_e32 v9, 0x7f800001, v9, vcc_lo
; %bb.2507:                             ;   in Loop: Header=BB6_130 Depth=2
	s_or_b32 exec_lo, exec_lo, s43
.LBB6_2508:                             ;   in Loop: Header=BB6_130 Depth=2
	s_delay_alu instid0(SALU_CYCLE_1)
	s_or_b32 exec_lo, exec_lo, s42
.LBB6_2509:                             ;   in Loop: Header=BB6_130 Depth=2
	s_delay_alu instid0(SALU_CYCLE_1) | instskip(NEXT) | instid1(SALU_CYCLE_1)
	s_or_b32 exec_lo, exec_lo, s15
	s_mov_b32 s15, exec_lo
	v_cmpx_ne_u16_e32 0, v6
	s_cbranch_execz .LBB6_2519
; %bb.2510:                             ;   in Loop: Header=BB6_130 Depth=2
	v_bfrev_b32_e32 v7, 1
	s_mov_b32 s42, exec_lo
	v_cmpx_ne_u16_e32 0x80, v6
	s_cbranch_execz .LBB6_2518
; %bb.2511:                             ;   in Loop: Header=BB6_130 Depth=2
	v_and_b32_e32 v87, 0xffff, v6
	s_delay_alu instid0(VALU_DEP_1) | instskip(SKIP_1) | instid1(VALU_DEP_2)
	v_and_b32_e32 v7, 0x7c, v87
	v_and_b32_e32 v86, 3, v87
	v_cmp_ne_u32_e32 vcc_lo, 0x7c, v7
                                        ; implicit-def: $vgpr7
	s_and_saveexec_b32 s11, vcc_lo
	s_delay_alu instid0(SALU_CYCLE_1)
	s_xor_b32 s11, exec_lo, s11
	s_cbranch_execz .LBB6_2515
; %bb.2512:                             ;   in Loop: Header=BB6_130 Depth=2
	v_bfe_u32 v7, v87, 2, 5
	s_mov_b32 s43, exec_lo
	s_delay_alu instid0(VALU_DEP_1)
	v_cmpx_eq_u32_e32 0, v7
; %bb.2513:                             ;   in Loop: Header=BB6_130 Depth=2
	v_clz_i32_u32_e32 v7, v86
	s_delay_alu instid0(VALU_DEP_1) | instskip(SKIP_1) | instid1(VALU_DEP_2)
	v_min_u32_e32 v96, 32, v7
	v_mov_b32_e32 v7, v25
	v_subrev_nc_u32_e32 v86, 29, v96
	s_delay_alu instid0(VALU_DEP_1) | instskip(NEXT) | instid1(VALU_DEP_1)
	v_lshlrev_b64_e32 v[86:87], v86, v[6:7]
	v_dual_sub_nc_u32 v7, 30, v96 :: v_dual_bitop2_b32 v86, 3, v86 bitop3:0x40
; %bb.2514:                             ;   in Loop: Header=BB6_130 Depth=2
	s_or_b32 exec_lo, exec_lo, s43
	v_lshlrev_b32_e32 v87, 16, v0
	s_delay_alu instid0(VALU_DEP_1) | instskip(NEXT) | instid1(VALU_DEP_1)
	v_and_b32_e32 v87, 0x80000000, v87
	v_lshl_add_u32 v7, v7, 23, v87
	s_delay_alu instid0(VALU_DEP_1) | instskip(NEXT) | instid1(VALU_DEP_1)
	v_lshl_or_b32 v7, v86, 21, v7
                                        ; implicit-def: $vgpr86
	v_add_nc_u32_e32 v7, 0x38000000, v7
.LBB6_2515:                             ;   in Loop: Header=BB6_130 Depth=2
	s_and_not1_saveexec_b32 s43, s11
; %bb.2516:                             ;   in Loop: Header=BB6_130 Depth=2
	v_cmp_lt_i16_e64 s11, -1, v0
	v_cmp_eq_u32_e32 vcc_lo, 0, v86
	s_delay_alu instid0(VALU_DEP_2) | instskip(NEXT) | instid1(VALU_DEP_1)
	v_cndmask_b32_e64 v7, 0xff800000, v62, s11
	v_cndmask_b32_e32 v7, 0x7f800001, v7, vcc_lo
; %bb.2517:                             ;   in Loop: Header=BB6_130 Depth=2
	s_or_b32 exec_lo, exec_lo, s43
.LBB6_2518:                             ;   in Loop: Header=BB6_130 Depth=2
	s_delay_alu instid0(SALU_CYCLE_1)
	s_or_b32 exec_lo, exec_lo, s42
.LBB6_2519:                             ;   in Loop: Header=BB6_130 Depth=2
	s_delay_alu instid0(SALU_CYCLE_1) | instskip(NEXT) | instid1(VALU_DEP_1)
	s_or_b32 exec_lo, exec_lo, s15
	v_dual_max_num_f32 v7, v7, v7 :: v_dual_max_num_f32 v9, v9, v9
	s_mov_b32 s11, 0
	s_delay_alu instid0(VALU_DEP_1)
	v_max_num_f32_e32 v7, v9, v7
.LBB6_2520:                             ;   in Loop: Header=BB6_130 Depth=2
	s_and_b32 vcc_lo, exec_lo, s11
	s_cbranch_vccz .LBB6_2542
; %bb.2521:                             ;   in Loop: Header=BB6_130 Depth=2
	v_dual_mov_b32 v7, 0 :: v_dual_mov_b32 v9, 0
	s_and_saveexec_b32 s11, s10
	s_cbranch_execz .LBB6_2531
; %bb.2522:                             ;   in Loop: Header=BB6_130 Depth=2
	v_bfrev_b32_e32 v9, 1
	s_mov_b32 s10, exec_lo
	v_cmpx_ne_u16_e32 0x80, v8
	s_cbranch_execz .LBB6_2530
; %bb.2523:                             ;   in Loop: Header=BB6_130 Depth=2
	v_and_b32_e32 v9, 0x7c, v1
	v_and_b32_e32 v86, 3, v1
	s_delay_alu instid0(VALU_DEP_2) | instskip(SKIP_1) | instid1(SALU_CYCLE_1)
	v_cmp_ne_u32_e32 vcc_lo, 0x7c, v9
                                        ; implicit-def: $vgpr9
	s_and_saveexec_b32 s15, vcc_lo
	s_xor_b32 s15, exec_lo, s15
	s_cbranch_execz .LBB6_2527
; %bb.2524:                             ;   in Loop: Header=BB6_130 Depth=2
	v_bfe_u32 v1, v1, 2, 5
	s_mov_b32 s42, exec_lo
	s_delay_alu instid0(VALU_DEP_1)
	v_cmpx_eq_u32_e32 0, v1
	s_cbranch_execz .LBB6_2526
; %bb.2525:                             ;   in Loop: Header=BB6_130 Depth=2
	v_clz_i32_u32_e32 v1, v86
	s_delay_alu instid0(VALU_DEP_1) | instskip(SKIP_1) | instid1(VALU_DEP_2)
	v_min_u32_e32 v1, 32, v1
	v_mov_b32_e32 v9, v25
	v_subrev_nc_u32_e32 v86, 29, v1
	v_sub_nc_u32_e32 v1, 30, v1
	s_delay_alu instid0(VALU_DEP_2) | instskip(NEXT) | instid1(VALU_DEP_1)
	v_lshlrev_b64_e32 v[8:9], v86, v[8:9]
	v_and_b32_e32 v86, 3, v8
.LBB6_2526:                             ;   in Loop: Header=BB6_130 Depth=2
	s_or_b32 exec_lo, exec_lo, s42
	v_lshlrev_b32_e32 v8, 16, v24
	s_delay_alu instid0(VALU_DEP_1) | instskip(NEXT) | instid1(VALU_DEP_1)
	v_and_b32_e32 v8, 0x80000000, v8
	v_lshl_add_u32 v1, v1, 23, v8
	s_delay_alu instid0(VALU_DEP_1) | instskip(NEXT) | instid1(VALU_DEP_1)
	v_lshl_or_b32 v1, v86, 21, v1
                                        ; implicit-def: $vgpr86
	v_add_nc_u32_e32 v9, 0x38000000, v1
.LBB6_2527:                             ;   in Loop: Header=BB6_130 Depth=2
	s_and_not1_saveexec_b32 s15, s15
; %bb.2528:                             ;   in Loop: Header=BB6_130 Depth=2
	v_cmp_lt_i16_e32 vcc_lo, -1, v24
	v_cndmask_b32_e32 v1, 0xff800000, v62, vcc_lo
	v_cmp_eq_u32_e32 vcc_lo, 0, v86
	s_delay_alu instid0(VALU_DEP_2)
	v_cndmask_b32_e32 v9, 0x7f800001, v1, vcc_lo
; %bb.2529:                             ;   in Loop: Header=BB6_130 Depth=2
	s_or_b32 exec_lo, exec_lo, s15
.LBB6_2530:                             ;   in Loop: Header=BB6_130 Depth=2
	s_delay_alu instid0(SALU_CYCLE_1)
	s_or_b32 exec_lo, exec_lo, s10
.LBB6_2531:                             ;   in Loop: Header=BB6_130 Depth=2
	s_delay_alu instid0(SALU_CYCLE_1) | instskip(NEXT) | instid1(SALU_CYCLE_1)
	s_or_b32 exec_lo, exec_lo, s11
	s_mov_b32 s10, exec_lo
	v_cmpx_ne_u16_e32 0, v6
	s_cbranch_execz .LBB6_2541
; %bb.2532:                             ;   in Loop: Header=BB6_130 Depth=2
	v_bfrev_b32_e32 v7, 1
	s_mov_b32 s11, exec_lo
	v_cmpx_ne_u16_e32 0x80, v6
	s_cbranch_execz .LBB6_2540
; %bb.2533:                             ;   in Loop: Header=BB6_130 Depth=2
	v_and_b32_e32 v1, 0xffff, v6
	s_delay_alu instid0(VALU_DEP_1) | instskip(SKIP_1) | instid1(VALU_DEP_2)
	v_and_b32_e32 v7, 0x7c, v1
	v_and_b32_e32 v8, 3, v1
	v_cmp_ne_u32_e32 vcc_lo, 0x7c, v7
                                        ; implicit-def: $vgpr7
	s_and_saveexec_b32 s15, vcc_lo
	s_delay_alu instid0(SALU_CYCLE_1)
	s_xor_b32 s15, exec_lo, s15
	s_cbranch_execz .LBB6_2537
; %bb.2534:                             ;   in Loop: Header=BB6_130 Depth=2
	v_bfe_u32 v1, v1, 2, 5
	s_mov_b32 s42, exec_lo
	s_delay_alu instid0(VALU_DEP_1)
	v_cmpx_eq_u32_e32 0, v1
	s_cbranch_execz .LBB6_2536
; %bb.2535:                             ;   in Loop: Header=BB6_130 Depth=2
	v_clz_i32_u32_e32 v1, v8
	s_delay_alu instid0(VALU_DEP_1) | instskip(SKIP_1) | instid1(VALU_DEP_2)
	v_min_u32_e32 v1, 32, v1
	v_mov_b32_e32 v7, v25
	v_subrev_nc_u32_e32 v8, 29, v1
	v_sub_nc_u32_e32 v1, 30, v1
	s_delay_alu instid0(VALU_DEP_2) | instskip(NEXT) | instid1(VALU_DEP_1)
	v_lshlrev_b64_e32 v[6:7], v8, v[6:7]
	v_and_b32_e32 v8, 3, v6
.LBB6_2536:                             ;   in Loop: Header=BB6_130 Depth=2
	s_or_b32 exec_lo, exec_lo, s42
	v_lshlrev_b32_e32 v0, 16, v0
	s_delay_alu instid0(VALU_DEP_1) | instskip(NEXT) | instid1(VALU_DEP_1)
	v_and_b32_e32 v0, 0x80000000, v0
	v_lshl_add_u32 v0, v1, 23, v0
	s_delay_alu instid0(VALU_DEP_1) | instskip(NEXT) | instid1(VALU_DEP_1)
	v_lshl_or_b32 v0, v8, 21, v0
                                        ; implicit-def: $vgpr8
	v_add_nc_u32_e32 v7, 0x38000000, v0
                                        ; implicit-def: $vgpr0_vgpr1
.LBB6_2537:                             ;   in Loop: Header=BB6_130 Depth=2
	s_and_not1_saveexec_b32 s15, s15
; %bb.2538:                             ;   in Loop: Header=BB6_130 Depth=2
	v_cmp_lt_i16_e32 vcc_lo, -1, v0
	v_cndmask_b32_e32 v0, 0xff800000, v62, vcc_lo
	v_cmp_eq_u32_e32 vcc_lo, 0, v8
	s_delay_alu instid0(VALU_DEP_2)
	v_cndmask_b32_e32 v7, 0x7f800001, v0, vcc_lo
; %bb.2539:                             ;   in Loop: Header=BB6_130 Depth=2
	s_or_b32 exec_lo, exec_lo, s15
.LBB6_2540:                             ;   in Loop: Header=BB6_130 Depth=2
	s_delay_alu instid0(SALU_CYCLE_1)
	s_or_b32 exec_lo, exec_lo, s11
.LBB6_2541:                             ;   in Loop: Header=BB6_130 Depth=2
	s_delay_alu instid0(SALU_CYCLE_1) | instskip(NEXT) | instid1(VALU_DEP_1)
	s_or_b32 exec_lo, exec_lo, s10
	v_dual_max_num_f32 v0, v7, v7 :: v_dual_max_num_f32 v1, v9, v9
	s_delay_alu instid0(VALU_DEP_1)
	v_min_num_f32_e32 v7, v1, v0
.LBB6_2542:                             ;   in Loop: Header=BB6_130 Depth=2
	s_delay_alu instid0(VALU_DEP_1) | instskip(SKIP_2) | instid1(VALU_DEP_2)
	v_and_b32_e32 v0, 0x7f800000, v7
	v_mov_b32_e32 v1, v25
	v_and_b32_e32 v24, 0x7fffff, v7
                                        ; implicit-def: $vgpr8
	v_cmp_ne_u64_e32 vcc_lo, 0x7f800000, v[0:1]
	v_lshrrev_b32_e32 v0, 24, v7
	s_and_saveexec_b32 s10, vcc_lo
	s_delay_alu instid0(SALU_CYCLE_1)
	s_xor_b32 s11, exec_lo, s10
	s_cbranch_execz .LBB6_2556
; %bb.2543:                             ;   in Loop: Header=BB6_130 Depth=2
	v_and_b32_e32 v8, 0x7fffffff, v7
	v_mov_b32_e32 v9, v25
	s_delay_alu instid0(VALU_DEP_1) | instskip(SKIP_2) | instid1(SALU_CYCLE_1)
	v_cmp_gt_u64_e32 vcc_lo, 0x47600001, v[8:9]
	v_and_b32_e32 v9, 0x80, v0
                                        ; implicit-def: $vgpr8
	s_and_saveexec_b32 s10, vcc_lo
	s_xor_b32 s15, exec_lo, s10
	s_cbranch_execz .LBB6_2553
; %bb.2544:                             ;   in Loop: Header=BB6_130 Depth=2
	v_mov_b32_e32 v8, 0
	s_mov_b32 s42, exec_lo
	v_cmpx_ne_u32_e32 0, v7
	s_cbranch_execz .LBB6_2552
; %bb.2545:                             ;   in Loop: Header=BB6_130 Depth=2
	v_bfe_u32 v8, v7, 23, 8
	v_or_b32_e32 v1, 0x800000, v24
	s_delay_alu instid0(VALU_DEP_2) | instskip(SKIP_2) | instid1(VALU_DEP_2)
	v_cmp_gt_u32_e64 s10, 0x72, v8
	v_sub_nc_u32_e32 v0, 0x71, v8
	v_cmp_eq_u32_e32 vcc_lo, 0, v8
	v_cndmask_b32_e64 v0, 0, v0, s10
	s_delay_alu instid0(VALU_DEP_1) | instskip(NEXT) | instid1(VALU_DEP_1)
	v_cndmask_b32_e64 v86, v0, 0x70, vcc_lo
	v_dual_cndmask_b32 v24, v1, v24, vcc_lo :: v_dual_add_nc_u32 v0, 21, v86
	v_add_nc_u32_e32 v6, 20, v86
	s_delay_alu instid0(VALU_DEP_2) | instskip(NEXT) | instid1(VALU_DEP_2)
	v_lshlrev_b64_e64 v[0:1], v0, -1
	v_lshlrev_b64_e64 v[6:7], v6, 1
	s_delay_alu instid0(VALU_DEP_2) | instskip(NEXT) | instid1(VALU_DEP_3)
	v_bfi_b32 v1, v1, 0, 0
	v_bfi_b32 v0, v0, 0, v24
	s_delay_alu instid0(VALU_DEP_1) | instskip(SKIP_1) | instid1(VALU_DEP_1)
	v_cmp_eq_u64_e64 s10, v[0:1], v[6:7]
	v_lshrrev_b64 v[0:1], v86, v[24:25]
	v_mov_b64_e32 v[6:7], v[0:1]
	s_and_saveexec_b32 s43, s10
; %bb.2546:                             ;   in Loop: Header=BB6_130 Depth=2
	v_bfe_u32 v24, v0, 21, 1
	s_delay_alu instid0(VALU_DEP_1) | instskip(NEXT) | instid1(VALU_DEP_1)
	v_add_nc_u64_e32 v[6:7], v[0:1], v[24:25]
	v_add_nc_u64_e32 v[6:7], -1, v[6:7]
; %bb.2547:                             ;   in Loop: Header=BB6_130 Depth=2
	s_or_b32 exec_lo, exec_lo, s43
	v_add_nc_u32_e32 v1, 0xffffff81, v8
	v_lshrrev_b32_e32 v7, 23, v0
	s_mov_b32 s10, exec_lo
	s_delay_alu instid0(VALU_DEP_2) | instskip(NEXT) | instid1(VALU_DEP_1)
	v_cndmask_b32_e64 v1, v1, 0xffffff82, vcc_lo
	v_add3_u32 v7, v86, v1, v7
	v_and_b32_e32 v1, 0x1fffff, v6
                                        ; implicit-def: $vgpr6
	s_delay_alu instid0(VALU_DEP_1) | instskip(NEXT) | instid1(VALU_DEP_1)
	v_dual_add_nc_u32 v8, 14, v7 :: v_dual_add_nc_u32 v24, v1, v0
                                        ; implicit-def: $vgpr0_vgpr1
	v_cmpx_ne_u32_e32 0, v8
	s_xor_b32 s10, exec_lo, s10
; %bb.2548:                             ;   in Loop: Header=BB6_130 Depth=2
	s_delay_alu instid0(VALU_DEP_2) | instskip(SKIP_1) | instid1(VALU_DEP_1)
	v_cmp_lt_u64_e32 vcc_lo, 0xffffff, v[24:25]
	v_add_nc_u32_e32 v0, 15, v7
	v_cndmask_b32_e32 v6, v8, v0, vcc_lo
	v_cndmask_b32_e64 v0, 0, 1, vcc_lo
	s_delay_alu instid0(VALU_DEP_1)
	v_lshrrev_b64 v[0:1], v0, v[24:25]
; %bb.2549:                             ;   in Loop: Header=BB6_130 Depth=2
	s_and_not1_saveexec_b32 s10, s10
; %bb.2550:                             ;   in Loop: Header=BB6_130 Depth=2
	v_mov_b64_e32 v[0:1], v[24:25]
	v_bfe_u32 v6, v24, 23, 1
; %bb.2551:                             ;   in Loop: Header=BB6_130 Depth=2
	s_or_b32 exec_lo, exec_lo, s10
	s_delay_alu instid0(VALU_DEP_2) | instskip(NEXT) | instid1(VALU_DEP_2)
	v_lshrrev_b64 v[0:1], 21, v[0:1]
	v_cmp_gt_i32_e32 vcc_lo, 32, v6
	v_min_i32_e32 v7, 31, v6
	v_cmp_eq_u32_e64 s10, 0, v6
	s_delay_alu instid0(VALU_DEP_2) | instskip(SKIP_1) | instid1(VALU_DEP_2)
	v_dual_cndmask_b32 v1, 0, v1, vcc_lo :: v_dual_lshlrev_b32 v7, 2, v7
	v_cndmask_b32_e32 v0, 3, v0, vcc_lo
	v_and_b32_e32 v7, 0xfc, v7
	s_delay_alu instid0(VALU_DEP_2) | instskip(NEXT) | instid1(VALU_DEP_2)
	v_cmp_eq_u64_e32 vcc_lo, 0, v[0:1]
	v_and_or_b32 v0, v0, 3, v7
	s_and_b32 s10, s10, vcc_lo
	s_delay_alu instid0(VALU_DEP_1) | instid1(SALU_CYCLE_1)
	v_cndmask_b32_e64 v0, v0, 0, s10
	s_delay_alu instid0(VALU_DEP_1)
	v_or_b32_e32 v8, v0, v9
.LBB6_2552:                             ;   in Loop: Header=BB6_130 Depth=2
	s_or_b32 exec_lo, exec_lo, s42
                                        ; implicit-def: $vgpr9
.LBB6_2553:                             ;   in Loop: Header=BB6_130 Depth=2
	s_and_not1_saveexec_b32 s10, s15
; %bb.2554:                             ;   in Loop: Header=BB6_130 Depth=2
	v_or_b32_e32 v8, 0x7b, v9
; %bb.2555:                             ;   in Loop: Header=BB6_130 Depth=2
	s_or_b32 exec_lo, exec_lo, s10
                                        ; implicit-def: $vgpr7
                                        ; implicit-def: $vgpr0
.LBB6_2556:                             ;   in Loop: Header=BB6_130 Depth=2
	s_and_not1_saveexec_b32 s10, s11
	s_cbranch_execz .LBB6_2562
; %bb.2557:                             ;   in Loop: Header=BB6_130 Depth=2
	s_mov_b32 s11, exec_lo
                                        ; implicit-def: $vgpr8
	v_cmpx_ne_u64_e32 0, v[24:25]
	s_xor_b32 s11, exec_lo, s11
; %bb.2558:                             ;   in Loop: Header=BB6_130 Depth=2
	v_or_b32_e32 v8, 0x7f, v0
                                        ; implicit-def: $vgpr7
; %bb.2559:                             ;   in Loop: Header=BB6_130 Depth=2
	s_and_not1_saveexec_b32 s11, s11
; %bb.2560:                             ;   in Loop: Header=BB6_130 Depth=2
	v_cmp_lt_i32_e32 vcc_lo, -1, v7
	v_cndmask_b32_e32 v8, 0xfc, v93, vcc_lo
; %bb.2561:                             ;   in Loop: Header=BB6_130 Depth=2
	s_or_b32 exec_lo, exec_lo, s11
.LBB6_2562:                             ;   in Loop: Header=BB6_130 Depth=2
	s_delay_alu instid0(SALU_CYCLE_1) | instskip(SKIP_4) | instid1(VALU_DEP_2)
	s_or_b32 exec_lo, exec_lo, s10
	v_lshrrev_b32_e32 v6, 16, v3
	v_lshrrev_b32_e32 v0, 16, v19
	s_and_not1_b32 vcc_lo, exec_lo, s14
	s_mov_b32 s11, -1
                                        ; implicit-def: $vgpr7
	v_and_b32_e32 v1, 0xff, v6
	s_delay_alu instid0(VALU_DEP_1)
	v_cmp_ne_u16_e64 s10, 0, v1
	s_cbranch_vccnz .LBB6_2584
; %bb.2563:                             ;   in Loop: Header=BB6_130 Depth=2
	v_dual_mov_b32 v9, 0 :: v_dual_mov_b32 v7, 0
	s_and_saveexec_b32 s15, s10
	s_cbranch_execz .LBB6_2573
; %bb.2564:                             ;   in Loop: Header=BB6_130 Depth=2
	v_bfrev_b32_e32 v7, 1
	s_mov_b32 s42, exec_lo
	v_cmpx_ne_u16_e32 0x80, v1
	s_cbranch_execz .LBB6_2572
; %bb.2565:                             ;   in Loop: Header=BB6_130 Depth=2
	v_and_b32_e32 v7, 0x7c0000, v3
	v_bfe_u32 v24, v3, 16, 2
	s_delay_alu instid0(VALU_DEP_2) | instskip(SKIP_1) | instid1(SALU_CYCLE_1)
	v_cmp_ne_u32_e32 vcc_lo, 0x7c0000, v7
                                        ; implicit-def: $vgpr7
	s_and_saveexec_b32 s11, vcc_lo
	s_xor_b32 s11, exec_lo, s11
	s_cbranch_execz .LBB6_2569
; %bb.2566:                             ;   in Loop: Header=BB6_130 Depth=2
	v_bfe_u32 v7, v3, 18, 5
	s_mov_b32 s43, exec_lo
	s_delay_alu instid0(VALU_DEP_1)
	v_cmpx_eq_u32_e32 0, v7
; %bb.2567:                             ;   in Loop: Header=BB6_130 Depth=2
	v_clz_i32_u32_e32 v7, v24
	s_delay_alu instid0(VALU_DEP_1) | instskip(NEXT) | instid1(VALU_DEP_1)
	v_min_u32_e32 v7, 32, v7
	v_subrev_nc_u32_e32 v24, 29, v7
	s_delay_alu instid0(VALU_DEP_1) | instskip(NEXT) | instid1(VALU_DEP_1)
	v_lshlrev_b64_e32 v[86:87], v24, v[6:7]
	v_dual_sub_nc_u32 v7, 30, v7 :: v_dual_bitop2_b32 v24, 3, v86 bitop3:0x40
; %bb.2568:                             ;   in Loop: Header=BB6_130 Depth=2
	s_or_b32 exec_lo, exec_lo, s43
	v_lshlrev_b32_e32 v86, 24, v6
	s_delay_alu instid0(VALU_DEP_1) | instskip(NEXT) | instid1(VALU_DEP_1)
	v_and_b32_e32 v86, 0x80000000, v86
	v_lshl_add_u32 v7, v7, 23, v86
	s_delay_alu instid0(VALU_DEP_1) | instskip(NEXT) | instid1(VALU_DEP_1)
	v_lshl_or_b32 v7, v24, 21, v7
                                        ; implicit-def: $vgpr24
	v_add_nc_u32_e32 v7, 0x38000000, v7
.LBB6_2569:                             ;   in Loop: Header=BB6_130 Depth=2
	s_and_not1_saveexec_b32 s43, s11
; %bb.2570:                             ;   in Loop: Header=BB6_130 Depth=2
	v_bfe_i32 v7, v6, 0, 8
	v_cmp_eq_u32_e32 vcc_lo, 0, v24
	s_delay_alu instid0(VALU_DEP_2) | instskip(NEXT) | instid1(VALU_DEP_1)
	v_cmp_lt_i16_e64 s11, -1, v7
	v_cndmask_b32_e64 v7, 0xff800000, v62, s11
	s_delay_alu instid0(VALU_DEP_1)
	v_cndmask_b32_e32 v7, 0x7f800001, v7, vcc_lo
; %bb.2571:                             ;   in Loop: Header=BB6_130 Depth=2
	s_or_b32 exec_lo, exec_lo, s43
.LBB6_2572:                             ;   in Loop: Header=BB6_130 Depth=2
	s_delay_alu instid0(SALU_CYCLE_1)
	s_or_b32 exec_lo, exec_lo, s42
.LBB6_2573:                             ;   in Loop: Header=BB6_130 Depth=2
	s_delay_alu instid0(SALU_CYCLE_1) | instskip(SKIP_2) | instid1(VALU_DEP_1)
	s_or_b32 exec_lo, exec_lo, s15
	v_and_b32_e32 v24, 0xff, v0
	s_mov_b32 s15, exec_lo
	v_cmpx_ne_u16_e32 0, v24
	s_cbranch_execz .LBB6_2583
; %bb.2574:                             ;   in Loop: Header=BB6_130 Depth=2
	v_bfrev_b32_e32 v9, 1
	s_mov_b32 s42, exec_lo
	v_cmpx_ne_u16_e32 0x80, v24
	s_cbranch_execz .LBB6_2582
; %bb.2575:                             ;   in Loop: Header=BB6_130 Depth=2
	v_and_b32_e32 v9, 0x7c0000, v19
	v_bfe_u32 v24, v19, 16, 2
	s_delay_alu instid0(VALU_DEP_2) | instskip(SKIP_1) | instid1(SALU_CYCLE_1)
	v_cmp_ne_u32_e32 vcc_lo, 0x7c0000, v9
                                        ; implicit-def: $vgpr9
	s_and_saveexec_b32 s11, vcc_lo
	s_xor_b32 s11, exec_lo, s11
	s_cbranch_execz .LBB6_2579
; %bb.2576:                             ;   in Loop: Header=BB6_130 Depth=2
	v_bfe_u32 v9, v19, 18, 5
	s_mov_b32 s43, exec_lo
	s_delay_alu instid0(VALU_DEP_1)
	v_cmpx_eq_u32_e32 0, v9
; %bb.2577:                             ;   in Loop: Header=BB6_130 Depth=2
	v_clz_i32_u32_e32 v9, v24
	s_delay_alu instid0(VALU_DEP_1) | instskip(NEXT) | instid1(VALU_DEP_1)
	v_min_u32_e32 v9, 32, v9
	v_subrev_nc_u32_e32 v24, 29, v9
	s_delay_alu instid0(VALU_DEP_1) | instskip(NEXT) | instid1(VALU_DEP_1)
	v_lshlrev_b64_e32 v[86:87], v24, v[0:1]
	v_dual_sub_nc_u32 v9, 30, v9 :: v_dual_bitop2_b32 v24, 3, v86 bitop3:0x40
; %bb.2578:                             ;   in Loop: Header=BB6_130 Depth=2
	s_or_b32 exec_lo, exec_lo, s43
	v_lshlrev_b32_e32 v86, 24, v0
	s_delay_alu instid0(VALU_DEP_1) | instskip(NEXT) | instid1(VALU_DEP_1)
	v_and_b32_e32 v86, 0x80000000, v86
	v_lshl_add_u32 v9, v9, 23, v86
	s_delay_alu instid0(VALU_DEP_1) | instskip(NEXT) | instid1(VALU_DEP_1)
	v_lshl_or_b32 v9, v24, 21, v9
                                        ; implicit-def: $vgpr24
	v_add_nc_u32_e32 v9, 0x38000000, v9
.LBB6_2579:                             ;   in Loop: Header=BB6_130 Depth=2
	s_and_not1_saveexec_b32 s43, s11
; %bb.2580:                             ;   in Loop: Header=BB6_130 Depth=2
	v_bfe_i32 v9, v0, 0, 8
	v_cmp_eq_u32_e32 vcc_lo, 0, v24
	s_delay_alu instid0(VALU_DEP_2) | instskip(NEXT) | instid1(VALU_DEP_1)
	v_cmp_lt_i16_e64 s11, -1, v9
	v_cndmask_b32_e64 v9, 0xff800000, v62, s11
	s_delay_alu instid0(VALU_DEP_1)
	v_cndmask_b32_e32 v9, 0x7f800001, v9, vcc_lo
; %bb.2581:                             ;   in Loop: Header=BB6_130 Depth=2
	s_or_b32 exec_lo, exec_lo, s43
.LBB6_2582:                             ;   in Loop: Header=BB6_130 Depth=2
	s_delay_alu instid0(SALU_CYCLE_1)
	s_or_b32 exec_lo, exec_lo, s42
.LBB6_2583:                             ;   in Loop: Header=BB6_130 Depth=2
	s_delay_alu instid0(SALU_CYCLE_1) | instskip(NEXT) | instid1(VALU_DEP_1)
	s_or_b32 exec_lo, exec_lo, s15
	v_dual_max_num_f32 v9, v9, v9 :: v_dual_max_num_f32 v7, v7, v7
	s_mov_b32 s11, 0
	s_delay_alu instid0(VALU_DEP_1)
	v_max_num_f32_e32 v7, v7, v9
.LBB6_2584:                             ;   in Loop: Header=BB6_130 Depth=2
	s_and_b32 vcc_lo, exec_lo, s11
	s_cbranch_vccz .LBB6_2606
; %bb.2585:                             ;   in Loop: Header=BB6_130 Depth=2
	v_dual_mov_b32 v9, 0 :: v_dual_mov_b32 v7, 0
	s_and_saveexec_b32 s11, s10
	s_cbranch_execz .LBB6_2595
; %bb.2586:                             ;   in Loop: Header=BB6_130 Depth=2
	v_bfrev_b32_e32 v7, 1
	s_mov_b32 s10, exec_lo
	v_cmpx_ne_u16_e32 0x80, v1
	s_cbranch_execz .LBB6_2594
; %bb.2587:                             ;   in Loop: Header=BB6_130 Depth=2
	v_and_b32_e32 v7, 0x7c0000, v3
	v_bfe_u32 v1, v3, 16, 2
	s_delay_alu instid0(VALU_DEP_2) | instskip(SKIP_1) | instid1(SALU_CYCLE_1)
	v_cmp_ne_u32_e32 vcc_lo, 0x7c0000, v7
                                        ; implicit-def: $vgpr7
	s_and_saveexec_b32 s15, vcc_lo
	s_xor_b32 s15, exec_lo, s15
	s_cbranch_execz .LBB6_2591
; %bb.2588:                             ;   in Loop: Header=BB6_130 Depth=2
	v_bfe_u32 v7, v3, 18, 5
	s_mov_b32 s42, exec_lo
	s_delay_alu instid0(VALU_DEP_1)
	v_cmpx_eq_u32_e32 0, v7
; %bb.2589:                             ;   in Loop: Header=BB6_130 Depth=2
	v_clz_i32_u32_e32 v1, v1
	s_delay_alu instid0(VALU_DEP_1) | instskip(NEXT) | instid1(VALU_DEP_1)
	v_min_u32_e32 v1, 32, v1
	v_subrev_nc_u32_e32 v7, 29, v1
	s_delay_alu instid0(VALU_DEP_1) | instskip(NEXT) | instid1(VALU_DEP_1)
	v_lshlrev_b64_e32 v[86:87], v7, v[6:7]
	v_dual_sub_nc_u32 v7, 30, v1 :: v_dual_bitop2_b32 v1, 3, v86 bitop3:0x40
; %bb.2590:                             ;   in Loop: Header=BB6_130 Depth=2
	s_or_b32 exec_lo, exec_lo, s42
	v_lshlrev_b32_e32 v6, 24, v6
	s_delay_alu instid0(VALU_DEP_1) | instskip(NEXT) | instid1(VALU_DEP_1)
	v_and_b32_e32 v6, 0x80000000, v6
	v_lshl_add_u32 v6, v7, 23, v6
	s_delay_alu instid0(VALU_DEP_1) | instskip(NEXT) | instid1(VALU_DEP_1)
	v_lshl_or_b32 v1, v1, 21, v6
                                        ; implicit-def: $vgpr6
	v_add_nc_u32_e32 v7, 0x38000000, v1
                                        ; implicit-def: $vgpr1
.LBB6_2591:                             ;   in Loop: Header=BB6_130 Depth=2
	s_and_not1_saveexec_b32 s15, s15
; %bb.2592:                             ;   in Loop: Header=BB6_130 Depth=2
	v_bfe_i32 v6, v6, 0, 8
	s_delay_alu instid0(VALU_DEP_1) | instskip(SKIP_2) | instid1(VALU_DEP_2)
	v_cmp_lt_i16_e32 vcc_lo, -1, v6
	v_cndmask_b32_e32 v6, 0xff800000, v62, vcc_lo
	v_cmp_eq_u32_e32 vcc_lo, 0, v1
	v_cndmask_b32_e32 v7, 0x7f800001, v6, vcc_lo
; %bb.2593:                             ;   in Loop: Header=BB6_130 Depth=2
	s_or_b32 exec_lo, exec_lo, s15
.LBB6_2594:                             ;   in Loop: Header=BB6_130 Depth=2
	s_delay_alu instid0(SALU_CYCLE_1)
	s_or_b32 exec_lo, exec_lo, s10
.LBB6_2595:                             ;   in Loop: Header=BB6_130 Depth=2
	s_delay_alu instid0(SALU_CYCLE_1) | instskip(SKIP_2) | instid1(VALU_DEP_1)
	s_or_b32 exec_lo, exec_lo, s11
	v_and_b32_e32 v1, 0xff, v0
	s_mov_b32 s10, exec_lo
	v_cmpx_ne_u16_e32 0, v1
	s_cbranch_execz .LBB6_2605
; %bb.2596:                             ;   in Loop: Header=BB6_130 Depth=2
	v_bfrev_b32_e32 v9, 1
	s_mov_b32 s11, exec_lo
	v_cmpx_ne_u16_e32 0x80, v1
	s_cbranch_execz .LBB6_2604
; %bb.2597:                             ;   in Loop: Header=BB6_130 Depth=2
	v_and_b32_e32 v6, 0x7c0000, v19
	v_bfe_u32 v1, v19, 16, 2
	s_mov_b32 s15, exec_lo
                                        ; implicit-def: $vgpr9
	s_delay_alu instid0(VALU_DEP_2)
	v_cmpx_ne_u32_e32 0x7c0000, v6
	s_xor_b32 s15, exec_lo, s15
	s_cbranch_execz .LBB6_2601
; %bb.2598:                             ;   in Loop: Header=BB6_130 Depth=2
	v_bfe_u32 v6, v19, 18, 5
	s_mov_b32 s42, exec_lo
	s_delay_alu instid0(VALU_DEP_1)
	v_cmpx_eq_u32_e32 0, v6
; %bb.2599:                             ;   in Loop: Header=BB6_130 Depth=2
	v_clz_i32_u32_e32 v1, v1
	s_delay_alu instid0(VALU_DEP_1) | instskip(NEXT) | instid1(VALU_DEP_1)
	v_min_u32_e32 v1, 32, v1
	v_subrev_nc_u32_e32 v6, 29, v1
	s_delay_alu instid0(VALU_DEP_1) | instskip(NEXT) | instid1(VALU_DEP_1)
	v_lshlrev_b64_e32 v[86:87], v6, v[0:1]
	v_dual_sub_nc_u32 v6, 30, v1 :: v_dual_bitop2_b32 v1, 3, v86 bitop3:0x40
; %bb.2600:                             ;   in Loop: Header=BB6_130 Depth=2
	s_or_b32 exec_lo, exec_lo, s42
	v_lshlrev_b32_e32 v0, 24, v0
	s_delay_alu instid0(VALU_DEP_1) | instskip(NEXT) | instid1(VALU_DEP_1)
	v_and_b32_e32 v0, 0x80000000, v0
	v_lshl_add_u32 v0, v6, 23, v0
	s_delay_alu instid0(VALU_DEP_1) | instskip(NEXT) | instid1(VALU_DEP_1)
	v_lshl_or_b32 v0, v1, 21, v0
                                        ; implicit-def: $vgpr1
	v_add_nc_u32_e32 v9, 0x38000000, v0
                                        ; implicit-def: $vgpr0
.LBB6_2601:                             ;   in Loop: Header=BB6_130 Depth=2
	s_and_not1_saveexec_b32 s15, s15
; %bb.2602:                             ;   in Loop: Header=BB6_130 Depth=2
	v_bfe_i32 v0, v0, 0, 8
	s_delay_alu instid0(VALU_DEP_1) | instskip(SKIP_2) | instid1(VALU_DEP_2)
	v_cmp_lt_i16_e32 vcc_lo, -1, v0
	v_cndmask_b32_e32 v0, 0xff800000, v62, vcc_lo
	v_cmp_eq_u32_e32 vcc_lo, 0, v1
	v_cndmask_b32_e32 v9, 0x7f800001, v0, vcc_lo
; %bb.2603:                             ;   in Loop: Header=BB6_130 Depth=2
	s_or_b32 exec_lo, exec_lo, s15
.LBB6_2604:                             ;   in Loop: Header=BB6_130 Depth=2
	s_delay_alu instid0(SALU_CYCLE_1)
	s_or_b32 exec_lo, exec_lo, s11
.LBB6_2605:                             ;   in Loop: Header=BB6_130 Depth=2
	s_delay_alu instid0(SALU_CYCLE_1) | instskip(NEXT) | instid1(VALU_DEP_1)
	s_or_b32 exec_lo, exec_lo, s10
	v_dual_max_num_f32 v0, v9, v9 :: v_dual_max_num_f32 v1, v7, v7
	s_delay_alu instid0(VALU_DEP_1)
	v_min_num_f32_e32 v7, v1, v0
.LBB6_2606:                             ;   in Loop: Header=BB6_130 Depth=2
	s_delay_alu instid0(VALU_DEP_1) | instskip(SKIP_2) | instid1(VALU_DEP_2)
	v_and_b32_e32 v0, 0x7f800000, v7
	v_mov_b32_e32 v1, v25
	v_and_b32_e32 v24, 0x7fffff, v7
                                        ; implicit-def: $vgpr9
	v_cmp_ne_u64_e32 vcc_lo, 0x7f800000, v[0:1]
	v_lshrrev_b32_e32 v0, 24, v7
	s_and_saveexec_b32 s10, vcc_lo
	s_delay_alu instid0(SALU_CYCLE_1)
	s_xor_b32 s11, exec_lo, s10
	s_cbranch_execz .LBB6_2620
; %bb.2607:                             ;   in Loop: Header=BB6_130 Depth=2
	v_and_b32_e32 v86, 0x7fffffff, v7
	v_mov_b32_e32 v87, v25
                                        ; implicit-def: $vgpr9
	s_delay_alu instid0(VALU_DEP_1) | instskip(SKIP_2) | instid1(SALU_CYCLE_1)
	v_cmp_gt_u64_e32 vcc_lo, 0x47600001, v[86:87]
	v_and_b32_e32 v86, 0x80, v0
	s_and_saveexec_b32 s10, vcc_lo
	s_xor_b32 s15, exec_lo, s10
	s_cbranch_execz .LBB6_2617
; %bb.2608:                             ;   in Loop: Header=BB6_130 Depth=2
	v_mov_b32_e32 v9, 0
	s_mov_b32 s42, exec_lo
	v_cmpx_ne_u32_e32 0, v7
	s_cbranch_execz .LBB6_2616
; %bb.2609:                             ;   in Loop: Header=BB6_130 Depth=2
	v_bfe_u32 v9, v7, 23, 8
	v_or_b32_e32 v1, 0x800000, v24
	s_delay_alu instid0(VALU_DEP_2) | instskip(SKIP_2) | instid1(VALU_DEP_2)
	v_cmp_gt_u32_e64 s10, 0x72, v9
	v_sub_nc_u32_e32 v0, 0x71, v9
	v_cmp_eq_u32_e32 vcc_lo, 0, v9
	v_cndmask_b32_e64 v0, 0, v0, s10
	s_delay_alu instid0(VALU_DEP_1) | instskip(NEXT) | instid1(VALU_DEP_1)
	v_cndmask_b32_e64 v87, v0, 0x70, vcc_lo
	v_dual_cndmask_b32 v24, v1, v24, vcc_lo :: v_dual_add_nc_u32 v0, 21, v87
	v_add_nc_u32_e32 v6, 20, v87
	s_delay_alu instid0(VALU_DEP_2) | instskip(NEXT) | instid1(VALU_DEP_2)
	v_lshlrev_b64_e64 v[0:1], v0, -1
	v_lshlrev_b64_e64 v[6:7], v6, 1
	s_delay_alu instid0(VALU_DEP_2) | instskip(NEXT) | instid1(VALU_DEP_3)
	v_bfi_b32 v1, v1, 0, 0
	v_bfi_b32 v0, v0, 0, v24
	s_delay_alu instid0(VALU_DEP_1) | instskip(SKIP_1) | instid1(VALU_DEP_1)
	v_cmp_eq_u64_e64 s10, v[0:1], v[6:7]
	v_lshrrev_b64 v[0:1], v87, v[24:25]
	v_mov_b64_e32 v[6:7], v[0:1]
	s_and_saveexec_b32 s43, s10
; %bb.2610:                             ;   in Loop: Header=BB6_130 Depth=2
	v_bfe_u32 v24, v0, 21, 1
	s_delay_alu instid0(VALU_DEP_1) | instskip(NEXT) | instid1(VALU_DEP_1)
	v_add_nc_u64_e32 v[6:7], v[0:1], v[24:25]
	v_add_nc_u64_e32 v[6:7], -1, v[6:7]
; %bb.2611:                             ;   in Loop: Header=BB6_130 Depth=2
	s_or_b32 exec_lo, exec_lo, s43
	v_add_nc_u32_e32 v1, 0xffffff81, v9
	v_lshrrev_b32_e32 v7, 23, v0
	s_mov_b32 s10, exec_lo
	s_delay_alu instid0(VALU_DEP_2) | instskip(NEXT) | instid1(VALU_DEP_1)
	v_cndmask_b32_e64 v1, v1, 0xffffff82, vcc_lo
	v_add3_u32 v9, v87, v1, v7
	v_and_b32_e32 v1, 0x1fffff, v6
                                        ; implicit-def: $vgpr6
	s_delay_alu instid0(VALU_DEP_1) | instskip(NEXT) | instid1(VALU_DEP_1)
	v_dual_add_nc_u32 v7, 14, v9 :: v_dual_add_nc_u32 v24, v1, v0
                                        ; implicit-def: $vgpr0_vgpr1
	v_cmpx_ne_u32_e32 0, v7
	s_xor_b32 s10, exec_lo, s10
; %bb.2612:                             ;   in Loop: Header=BB6_130 Depth=2
	s_delay_alu instid0(VALU_DEP_2) | instskip(SKIP_1) | instid1(VALU_DEP_1)
	v_cmp_lt_u64_e32 vcc_lo, 0xffffff, v[24:25]
	v_add_nc_u32_e32 v0, 15, v9
	v_cndmask_b32_e32 v6, v7, v0, vcc_lo
	v_cndmask_b32_e64 v0, 0, 1, vcc_lo
	s_delay_alu instid0(VALU_DEP_1)
	v_lshrrev_b64 v[0:1], v0, v[24:25]
; %bb.2613:                             ;   in Loop: Header=BB6_130 Depth=2
	s_and_not1_saveexec_b32 s10, s10
; %bb.2614:                             ;   in Loop: Header=BB6_130 Depth=2
	v_mov_b64_e32 v[0:1], v[24:25]
	v_bfe_u32 v6, v24, 23, 1
; %bb.2615:                             ;   in Loop: Header=BB6_130 Depth=2
	s_or_b32 exec_lo, exec_lo, s10
	s_delay_alu instid0(VALU_DEP_2) | instskip(NEXT) | instid1(VALU_DEP_2)
	v_lshrrev_b64 v[0:1], 21, v[0:1]
	v_cmp_gt_i32_e32 vcc_lo, 32, v6
	v_min_i32_e32 v7, 31, v6
	v_cmp_eq_u32_e64 s10, 0, v6
	s_delay_alu instid0(VALU_DEP_2) | instskip(SKIP_1) | instid1(VALU_DEP_2)
	v_dual_cndmask_b32 v1, 0, v1, vcc_lo :: v_dual_lshlrev_b32 v7, 2, v7
	v_cndmask_b32_e32 v0, 3, v0, vcc_lo
	v_and_b32_e32 v7, 0xfc, v7
	s_delay_alu instid0(VALU_DEP_2) | instskip(NEXT) | instid1(VALU_DEP_2)
	v_cmp_eq_u64_e32 vcc_lo, 0, v[0:1]
	v_and_or_b32 v0, v0, 3, v7
	s_and_b32 s10, s10, vcc_lo
	s_delay_alu instid0(VALU_DEP_1) | instid1(SALU_CYCLE_1)
	v_cndmask_b32_e64 v0, v0, 0, s10
	s_delay_alu instid0(VALU_DEP_1)
	v_or_b32_e32 v9, v0, v86
.LBB6_2616:                             ;   in Loop: Header=BB6_130 Depth=2
	s_or_b32 exec_lo, exec_lo, s42
                                        ; implicit-def: $vgpr86
.LBB6_2617:                             ;   in Loop: Header=BB6_130 Depth=2
	s_and_not1_saveexec_b32 s10, s15
; %bb.2618:                             ;   in Loop: Header=BB6_130 Depth=2
	v_or_b32_e32 v9, 0x7b, v86
; %bb.2619:                             ;   in Loop: Header=BB6_130 Depth=2
	s_or_b32 exec_lo, exec_lo, s10
                                        ; implicit-def: $vgpr7
                                        ; implicit-def: $vgpr0
.LBB6_2620:                             ;   in Loop: Header=BB6_130 Depth=2
	s_and_not1_saveexec_b32 s10, s11
	s_cbranch_execz .LBB6_2626
; %bb.2621:                             ;   in Loop: Header=BB6_130 Depth=2
	s_mov_b32 s11, exec_lo
                                        ; implicit-def: $vgpr9
	v_cmpx_ne_u64_e32 0, v[24:25]
	s_xor_b32 s11, exec_lo, s11
; %bb.2622:                             ;   in Loop: Header=BB6_130 Depth=2
	v_or_b32_e32 v9, 0x7f, v0
                                        ; implicit-def: $vgpr7
; %bb.2623:                             ;   in Loop: Header=BB6_130 Depth=2
	s_and_not1_saveexec_b32 s11, s11
; %bb.2624:                             ;   in Loop: Header=BB6_130 Depth=2
	v_cmp_lt_i32_e32 vcc_lo, -1, v7
	v_cndmask_b32_e32 v9, 0xfc, v93, vcc_lo
; %bb.2625:                             ;   in Loop: Header=BB6_130 Depth=2
	s_or_b32 exec_lo, exec_lo, s11
.LBB6_2626:                             ;   in Loop: Header=BB6_130 Depth=2
	s_delay_alu instid0(SALU_CYCLE_1)
	s_or_b32 exec_lo, exec_lo, s10
	v_cmp_lt_u64_e64 s10, s[16:17], v[2:3]
	v_lshrrev_b32_e32 v6, 24, v3
	v_lshrrev_b32_e32 v0, 24, v19
	s_and_not1_b32 vcc_lo, exec_lo, s14
	s_mov_b32 s11, -1
                                        ; implicit-def: $vgpr1
	s_cbranch_vccnz .LBB6_2648
; %bb.2627:                             ;   in Loop: Header=BB6_130 Depth=2
	v_dual_mov_b32 v7, 0 :: v_dual_mov_b32 v1, 0
	s_and_saveexec_b32 s15, s10
	s_cbranch_execz .LBB6_2637
; %bb.2628:                             ;   in Loop: Header=BB6_130 Depth=2
	v_bfrev_b32_e32 v1, 1
	s_mov_b32 s42, exec_lo
	v_cmpx_ne_u32_e32 0x80, v6
	s_cbranch_execz .LBB6_2636
; %bb.2629:                             ;   in Loop: Header=BB6_130 Depth=2
	v_and_b32_e32 v1, 0x7c000000, v3
	v_bfe_u32 v24, v3, 24, 2
	s_delay_alu instid0(VALU_DEP_2) | instskip(SKIP_1) | instid1(SALU_CYCLE_1)
	v_cmp_ne_u32_e32 vcc_lo, 0x7c000000, v1
                                        ; implicit-def: $vgpr1
	s_and_saveexec_b32 s11, vcc_lo
	s_xor_b32 s11, exec_lo, s11
	s_cbranch_execz .LBB6_2633
; %bb.2630:                             ;   in Loop: Header=BB6_130 Depth=2
	v_bfe_u32 v1, v3, 26, 5
	s_mov_b32 s43, exec_lo
	s_delay_alu instid0(VALU_DEP_1)
	v_cmpx_eq_u32_e32 0, v1
; %bb.2631:                             ;   in Loop: Header=BB6_130 Depth=2
	v_clz_i32_u32_e32 v1, v24
	s_delay_alu instid0(VALU_DEP_1) | instskip(NEXT) | instid1(VALU_DEP_1)
	v_min_u32_e32 v1, 32, v1
	v_subrev_nc_u32_e32 v24, 29, v1
	s_delay_alu instid0(VALU_DEP_1) | instskip(NEXT) | instid1(VALU_DEP_1)
	v_lshlrev_b64_e32 v[86:87], v24, v[6:7]
	v_dual_sub_nc_u32 v1, 30, v1 :: v_dual_bitop2_b32 v24, 3, v86 bitop3:0x40
; %bb.2632:                             ;   in Loop: Header=BB6_130 Depth=2
	s_or_b32 exec_lo, exec_lo, s43
	v_and_b32_e32 v86, 0x80000000, v3
	s_delay_alu instid0(VALU_DEP_1) | instskip(NEXT) | instid1(VALU_DEP_1)
	v_lshl_add_u32 v1, v1, 23, v86
	v_lshl_or_b32 v1, v24, 21, v1
                                        ; implicit-def: $vgpr24
	s_delay_alu instid0(VALU_DEP_1)
	v_add_nc_u32_e32 v1, 0x38000000, v1
.LBB6_2633:                             ;   in Loop: Header=BB6_130 Depth=2
	s_and_not1_saveexec_b32 s43, s11
; %bb.2634:                             ;   in Loop: Header=BB6_130 Depth=2
	v_cmp_lt_i64_e64 s11, -1, v[2:3]
	v_cmp_eq_u32_e32 vcc_lo, 0, v24
	s_delay_alu instid0(VALU_DEP_2) | instskip(NEXT) | instid1(VALU_DEP_1)
	v_cndmask_b32_e64 v1, 0xff800000, v62, s11
	v_cndmask_b32_e32 v1, 0x7f800001, v1, vcc_lo
; %bb.2635:                             ;   in Loop: Header=BB6_130 Depth=2
	s_or_b32 exec_lo, exec_lo, s43
.LBB6_2636:                             ;   in Loop: Header=BB6_130 Depth=2
	s_delay_alu instid0(SALU_CYCLE_1)
	s_or_b32 exec_lo, exec_lo, s42
.LBB6_2637:                             ;   in Loop: Header=BB6_130 Depth=2
	s_delay_alu instid0(SALU_CYCLE_1) | instskip(NEXT) | instid1(SALU_CYCLE_1)
	s_or_b32 exec_lo, exec_lo, s15
	s_mov_b32 s15, exec_lo
	v_cmpx_lt_u64_e64 s[16:17], v[18:19]
	s_cbranch_execz .LBB6_2647
; %bb.2638:                             ;   in Loop: Header=BB6_130 Depth=2
	v_bfrev_b32_e32 v7, 1
	s_mov_b32 s42, exec_lo
	v_cmpx_ne_u32_e32 0x80, v0
	s_cbranch_execz .LBB6_2646
; %bb.2639:                             ;   in Loop: Header=BB6_130 Depth=2
	v_and_b32_e32 v7, 0x7c000000, v19
	v_bfe_u32 v24, v19, 24, 2
	s_delay_alu instid0(VALU_DEP_2) | instskip(SKIP_1) | instid1(SALU_CYCLE_1)
	v_cmp_ne_u32_e32 vcc_lo, 0x7c000000, v7
                                        ; implicit-def: $vgpr7
	s_and_saveexec_b32 s11, vcc_lo
	s_xor_b32 s11, exec_lo, s11
	s_cbranch_execz .LBB6_2643
; %bb.2640:                             ;   in Loop: Header=BB6_130 Depth=2
	v_bfe_u32 v7, v19, 26, 5
	s_mov_b32 s43, exec_lo
	s_delay_alu instid0(VALU_DEP_1)
	v_cmpx_eq_u32_e32 0, v7
; %bb.2641:                             ;   in Loop: Header=BB6_130 Depth=2
	v_clz_i32_u32_e32 v7, v24
	s_delay_alu instid0(VALU_DEP_1) | instskip(NEXT) | instid1(VALU_DEP_1)
	v_min_u32_e32 v7, 32, v7
	v_subrev_nc_u32_e32 v24, 29, v7
	s_delay_alu instid0(VALU_DEP_1) | instskip(NEXT) | instid1(VALU_DEP_1)
	v_lshlrev_b64_e32 v[86:87], v24, v[0:1]
	v_dual_sub_nc_u32 v7, 30, v7 :: v_dual_bitop2_b32 v24, 3, v86 bitop3:0x40
; %bb.2642:                             ;   in Loop: Header=BB6_130 Depth=2
	s_or_b32 exec_lo, exec_lo, s43
	v_and_b32_e32 v86, 0x80000000, v19
	s_delay_alu instid0(VALU_DEP_1) | instskip(NEXT) | instid1(VALU_DEP_1)
	v_lshl_add_u32 v7, v7, 23, v86
	v_lshl_or_b32 v7, v24, 21, v7
                                        ; implicit-def: $vgpr24
	s_delay_alu instid0(VALU_DEP_1)
	v_add_nc_u32_e32 v7, 0x38000000, v7
.LBB6_2643:                             ;   in Loop: Header=BB6_130 Depth=2
	s_and_not1_saveexec_b32 s43, s11
; %bb.2644:                             ;   in Loop: Header=BB6_130 Depth=2
	v_cmp_lt_i64_e64 s11, -1, v[18:19]
	v_cmp_eq_u32_e32 vcc_lo, 0, v24
	s_delay_alu instid0(VALU_DEP_2) | instskip(NEXT) | instid1(VALU_DEP_1)
	v_cndmask_b32_e64 v7, 0xff800000, v62, s11
	v_cndmask_b32_e32 v7, 0x7f800001, v7, vcc_lo
; %bb.2645:                             ;   in Loop: Header=BB6_130 Depth=2
	s_or_b32 exec_lo, exec_lo, s43
.LBB6_2646:                             ;   in Loop: Header=BB6_130 Depth=2
	s_delay_alu instid0(SALU_CYCLE_1)
	s_or_b32 exec_lo, exec_lo, s42
.LBB6_2647:                             ;   in Loop: Header=BB6_130 Depth=2
	s_delay_alu instid0(SALU_CYCLE_1) | instskip(NEXT) | instid1(VALU_DEP_1)
	s_or_b32 exec_lo, exec_lo, s15
	v_dual_max_num_f32 v7, v7, v7 :: v_dual_max_num_f32 v1, v1, v1
	s_mov_b32 s11, 0
	s_delay_alu instid0(VALU_DEP_1)
	v_max_num_f32_e32 v1, v1, v7
.LBB6_2648:                             ;   in Loop: Header=BB6_130 Depth=2
	s_and_b32 vcc_lo, exec_lo, s11
	s_cbranch_vccz .LBB6_2670
; %bb.2649:                             ;   in Loop: Header=BB6_130 Depth=2
	v_dual_mov_b32 v7, 0 :: v_dual_mov_b32 v1, 0
	s_and_saveexec_b32 s11, s10
	s_cbranch_execz .LBB6_2659
; %bb.2650:                             ;   in Loop: Header=BB6_130 Depth=2
	v_bfrev_b32_e32 v1, 1
	s_mov_b32 s10, exec_lo
	v_cmpx_ne_u32_e32 0x80, v6
	s_cbranch_execz .LBB6_2658
; %bb.2651:                             ;   in Loop: Header=BB6_130 Depth=2
	v_and_b32_e32 v1, 0x7c000000, v3
	v_bfe_u32 v24, v3, 24, 2
	s_delay_alu instid0(VALU_DEP_2) | instskip(SKIP_1) | instid1(SALU_CYCLE_1)
	v_cmp_ne_u32_e32 vcc_lo, 0x7c000000, v1
                                        ; implicit-def: $vgpr1
	s_and_saveexec_b32 s15, vcc_lo
	s_xor_b32 s15, exec_lo, s15
	s_cbranch_execz .LBB6_2655
; %bb.2652:                             ;   in Loop: Header=BB6_130 Depth=2
	v_bfe_u32 v1, v3, 26, 5
	s_mov_b32 s42, exec_lo
	s_delay_alu instid0(VALU_DEP_1)
	v_cmpx_eq_u32_e32 0, v1
; %bb.2653:                             ;   in Loop: Header=BB6_130 Depth=2
	v_clz_i32_u32_e32 v1, v24
	s_delay_alu instid0(VALU_DEP_1) | instskip(NEXT) | instid1(VALU_DEP_1)
	v_min_u32_e32 v1, 32, v1
	v_subrev_nc_u32_e32 v24, 29, v1
	s_delay_alu instid0(VALU_DEP_1) | instskip(NEXT) | instid1(VALU_DEP_1)
	v_lshlrev_b64_e32 v[86:87], v24, v[6:7]
	v_dual_sub_nc_u32 v1, 30, v1 :: v_dual_bitop2_b32 v24, 3, v86 bitop3:0x40
; %bb.2654:                             ;   in Loop: Header=BB6_130 Depth=2
	s_or_b32 exec_lo, exec_lo, s42
	v_and_b32_e32 v6, 0x80000000, v3
	s_delay_alu instid0(VALU_DEP_1) | instskip(NEXT) | instid1(VALU_DEP_1)
	v_lshl_add_u32 v1, v1, 23, v6
	v_lshl_or_b32 v1, v24, 21, v1
                                        ; implicit-def: $vgpr24
	s_delay_alu instid0(VALU_DEP_1)
	v_add_nc_u32_e32 v1, 0x38000000, v1
.LBB6_2655:                             ;   in Loop: Header=BB6_130 Depth=2
	s_and_not1_saveexec_b32 s15, s15
; %bb.2656:                             ;   in Loop: Header=BB6_130 Depth=2
	v_cmp_lt_i64_e32 vcc_lo, -1, v[2:3]
	v_cndmask_b32_e32 v1, 0xff800000, v62, vcc_lo
	v_cmp_eq_u32_e32 vcc_lo, 0, v24
	s_delay_alu instid0(VALU_DEP_2)
	v_cndmask_b32_e32 v1, 0x7f800001, v1, vcc_lo
; %bb.2657:                             ;   in Loop: Header=BB6_130 Depth=2
	s_or_b32 exec_lo, exec_lo, s15
.LBB6_2658:                             ;   in Loop: Header=BB6_130 Depth=2
	s_delay_alu instid0(SALU_CYCLE_1)
	s_or_b32 exec_lo, exec_lo, s10
.LBB6_2659:                             ;   in Loop: Header=BB6_130 Depth=2
	s_delay_alu instid0(SALU_CYCLE_1) | instskip(NEXT) | instid1(SALU_CYCLE_1)
	s_or_b32 exec_lo, exec_lo, s11
	s_mov_b32 s10, exec_lo
	v_cmpx_lt_u64_e64 s[16:17], v[18:19]
	s_cbranch_execz .LBB6_2669
; %bb.2660:                             ;   in Loop: Header=BB6_130 Depth=2
	v_bfrev_b32_e32 v7, 1
	s_mov_b32 s11, exec_lo
	v_cmpx_ne_u32_e32 0x80, v0
	s_cbranch_execz .LBB6_2668
; %bb.2661:                             ;   in Loop: Header=BB6_130 Depth=2
	v_and_b32_e32 v3, 0x7c000000, v19
	v_bfe_u32 v2, v19, 24, 2
	s_mov_b32 s15, exec_lo
                                        ; implicit-def: $vgpr7
	s_delay_alu instid0(VALU_DEP_2)
	v_cmpx_ne_u32_e32 0x7c000000, v3
	s_xor_b32 s15, exec_lo, s15
	s_cbranch_execz .LBB6_2665
; %bb.2662:                             ;   in Loop: Header=BB6_130 Depth=2
	v_bfe_u32 v3, v19, 26, 5
	s_mov_b32 s42, exec_lo
	s_delay_alu instid0(VALU_DEP_1)
	v_cmpx_eq_u32_e32 0, v3
; %bb.2663:                             ;   in Loop: Header=BB6_130 Depth=2
	v_clz_i32_u32_e32 v2, v2
	s_delay_alu instid0(VALU_DEP_1) | instskip(NEXT) | instid1(VALU_DEP_1)
	v_min_u32_e32 v6, 32, v2
	v_subrev_nc_u32_e32 v2, 29, v6
	s_delay_alu instid0(VALU_DEP_1) | instskip(SKIP_1) | instid1(VALU_DEP_2)
	v_lshlrev_b64_e32 v[2:3], v2, v[0:1]
	v_sub_nc_u32_e32 v3, 30, v6
	v_and_b32_e32 v2, 3, v2
; %bb.2664:                             ;   in Loop: Header=BB6_130 Depth=2
	s_or_b32 exec_lo, exec_lo, s42
	v_and_b32_e32 v0, 0x80000000, v19
	s_delay_alu instid0(VALU_DEP_1) | instskip(NEXT) | instid1(VALU_DEP_1)
	v_lshl_add_u32 v0, v3, 23, v0
	v_lshl_or_b32 v0, v2, 21, v0
                                        ; implicit-def: $vgpr2
	s_delay_alu instid0(VALU_DEP_1)
	v_add_nc_u32_e32 v7, 0x38000000, v0
.LBB6_2665:                             ;   in Loop: Header=BB6_130 Depth=2
	s_and_not1_saveexec_b32 s15, s15
; %bb.2666:                             ;   in Loop: Header=BB6_130 Depth=2
	v_cmp_lt_i64_e32 vcc_lo, -1, v[18:19]
	v_cndmask_b32_e32 v0, 0xff800000, v62, vcc_lo
	v_cmp_eq_u32_e32 vcc_lo, 0, v2
	s_delay_alu instid0(VALU_DEP_2)
	v_cndmask_b32_e32 v7, 0x7f800001, v0, vcc_lo
; %bb.2667:                             ;   in Loop: Header=BB6_130 Depth=2
	s_or_b32 exec_lo, exec_lo, s15
.LBB6_2668:                             ;   in Loop: Header=BB6_130 Depth=2
	s_delay_alu instid0(SALU_CYCLE_1)
	s_or_b32 exec_lo, exec_lo, s11
.LBB6_2669:                             ;   in Loop: Header=BB6_130 Depth=2
	s_delay_alu instid0(SALU_CYCLE_1) | instskip(NEXT) | instid1(VALU_DEP_1)
	s_or_b32 exec_lo, exec_lo, s10
	v_dual_max_num_f32 v0, v7, v7 :: v_dual_max_num_f32 v1, v1, v1
	s_delay_alu instid0(VALU_DEP_1)
	v_min_num_f32_e32 v1, v1, v0
.LBB6_2670:                             ;   in Loop: Header=BB6_130 Depth=2
	s_delay_alu instid0(VALU_DEP_1) | instskip(SKIP_3) | instid1(VALU_DEP_2)
	v_and_b32_e32 v2, 0x7f800000, v1
	v_dual_mov_b32 v3, v25 :: v_dual_lshrrev_b32 v0, 24, v1
	v_and_b32_e32 v24, 0x7fffff, v1
                                        ; implicit-def: $vgpr18
	s_mov_b32 s10, exec_lo
	v_cmpx_ne_u64_e32 0x7f800000, v[2:3]
	s_xor_b32 s11, exec_lo, s10
	s_cbranch_execz .LBB6_2684
; %bb.2671:                             ;   in Loop: Header=BB6_130 Depth=2
	v_and_b32_e32 v2, 0x7fffffff, v1
	v_mov_b32_e32 v3, v25
	v_and_b32_e32 v6, 0x80, v0
                                        ; implicit-def: $vgpr18
	s_mov_b32 s10, exec_lo
	s_delay_alu instid0(VALU_DEP_2)
	v_cmpx_gt_u64_e32 0x47600001, v[2:3]
	s_xor_b32 s15, exec_lo, s10
	s_cbranch_execz .LBB6_2681
; %bb.2672:                             ;   in Loop: Header=BB6_130 Depth=2
	v_mov_b32_e32 v18, 0
	s_mov_b32 s42, exec_lo
	v_cmpx_ne_u32_e32 0, v1
	s_cbranch_execz .LBB6_2680
; %bb.2673:                             ;   in Loop: Header=BB6_130 Depth=2
	v_bfe_u32 v7, v1, 23, 8
	v_or_b32_e32 v1, 0x800000, v24
	s_delay_alu instid0(VALU_DEP_2) | instskip(SKIP_2) | instid1(VALU_DEP_2)
	v_cmp_gt_u32_e64 s10, 0x72, v7
	v_sub_nc_u32_e32 v0, 0x71, v7
	v_cmp_eq_u32_e32 vcc_lo, 0, v7
	v_cndmask_b32_e64 v0, 0, v0, s10
	s_delay_alu instid0(VALU_DEP_1) | instskip(NEXT) | instid1(VALU_DEP_1)
	v_cndmask_b32_e64 v18, v0, 0x70, vcc_lo
	v_dual_cndmask_b32 v24, v1, v24, vcc_lo :: v_dual_add_nc_u32 v0, 21, v18
	v_add_nc_u32_e32 v2, 20, v18
	s_delay_alu instid0(VALU_DEP_2) | instskip(NEXT) | instid1(VALU_DEP_2)
	v_lshlrev_b64_e64 v[0:1], v0, -1
	v_lshlrev_b64_e64 v[2:3], v2, 1
	s_delay_alu instid0(VALU_DEP_2) | instskip(NEXT) | instid1(VALU_DEP_3)
	v_bfi_b32 v1, v1, 0, 0
	v_bfi_b32 v0, v0, 0, v24
	s_delay_alu instid0(VALU_DEP_1) | instskip(SKIP_1) | instid1(VALU_DEP_1)
	v_cmp_eq_u64_e64 s10, v[0:1], v[2:3]
	v_lshrrev_b64 v[0:1], v18, v[24:25]
	v_mov_b64_e32 v[2:3], v[0:1]
	s_and_saveexec_b32 s43, s10
; %bb.2674:                             ;   in Loop: Header=BB6_130 Depth=2
	v_bfe_u32 v24, v0, 21, 1
	s_delay_alu instid0(VALU_DEP_1) | instskip(NEXT) | instid1(VALU_DEP_1)
	v_add_nc_u64_e32 v[2:3], v[0:1], v[24:25]
	v_add_nc_u64_e32 v[2:3], -1, v[2:3]
; %bb.2675:                             ;   in Loop: Header=BB6_130 Depth=2
	s_or_b32 exec_lo, exec_lo, s43
	v_add_nc_u32_e32 v1, 0xffffff81, v7
	v_lshrrev_b32_e32 v3, 23, v0
	s_mov_b32 s10, exec_lo
	s_delay_alu instid0(VALU_DEP_2) | instskip(NEXT) | instid1(VALU_DEP_1)
	v_cndmask_b32_e64 v1, v1, 0xffffff82, vcc_lo
	v_add3_u32 v3, v18, v1, v3
	v_and_b32_e32 v1, 0x1fffff, v2
                                        ; implicit-def: $vgpr2
	s_delay_alu instid0(VALU_DEP_1) | instskip(NEXT) | instid1(VALU_DEP_1)
	v_dual_add_nc_u32 v7, 14, v3 :: v_dual_add_nc_u32 v24, v1, v0
                                        ; implicit-def: $vgpr0_vgpr1
	v_cmpx_ne_u32_e32 0, v7
	s_xor_b32 s10, exec_lo, s10
; %bb.2676:                             ;   in Loop: Header=BB6_130 Depth=2
	s_delay_alu instid0(VALU_DEP_2) | instskip(SKIP_1) | instid1(VALU_DEP_1)
	v_cmp_lt_u64_e32 vcc_lo, 0xffffff, v[24:25]
	v_add_nc_u32_e32 v0, 15, v3
	v_cndmask_b32_e32 v2, v7, v0, vcc_lo
	v_cndmask_b32_e64 v0, 0, 1, vcc_lo
	s_delay_alu instid0(VALU_DEP_1)
	v_lshrrev_b64 v[0:1], v0, v[24:25]
; %bb.2677:                             ;   in Loop: Header=BB6_130 Depth=2
	s_and_not1_saveexec_b32 s10, s10
; %bb.2678:                             ;   in Loop: Header=BB6_130 Depth=2
	v_mov_b64_e32 v[0:1], v[24:25]
	v_bfe_u32 v2, v24, 23, 1
; %bb.2679:                             ;   in Loop: Header=BB6_130 Depth=2
	s_or_b32 exec_lo, exec_lo, s10
	s_delay_alu instid0(VALU_DEP_2) | instskip(NEXT) | instid1(VALU_DEP_2)
	v_lshrrev_b64 v[0:1], 21, v[0:1]
	v_cmp_gt_i32_e32 vcc_lo, 32, v2
	v_min_i32_e32 v3, 31, v2
	v_cmp_eq_u32_e64 s10, 0, v2
	s_delay_alu instid0(VALU_DEP_2) | instskip(SKIP_1) | instid1(VALU_DEP_2)
	v_dual_cndmask_b32 v1, 0, v1, vcc_lo :: v_dual_lshlrev_b32 v3, 2, v3
	v_cndmask_b32_e32 v0, 3, v0, vcc_lo
	v_and_b32_e32 v3, 0xfc, v3
	s_delay_alu instid0(VALU_DEP_2) | instskip(NEXT) | instid1(VALU_DEP_2)
	v_cmp_eq_u64_e32 vcc_lo, 0, v[0:1]
	v_and_or_b32 v0, v0, 3, v3
	s_and_b32 s10, s10, vcc_lo
	s_delay_alu instid0(VALU_DEP_1) | instid1(SALU_CYCLE_1)
	v_cndmask_b32_e64 v0, v0, 0, s10
	s_delay_alu instid0(VALU_DEP_1)
	v_or_b32_e32 v18, v0, v6
.LBB6_2680:                             ;   in Loop: Header=BB6_130 Depth=2
	s_or_b32 exec_lo, exec_lo, s42
                                        ; implicit-def: $vgpr6
.LBB6_2681:                             ;   in Loop: Header=BB6_130 Depth=2
	s_and_not1_saveexec_b32 s10, s15
; %bb.2682:                             ;   in Loop: Header=BB6_130 Depth=2
	v_or_b32_e32 v18, 0x7b, v6
; %bb.2683:                             ;   in Loop: Header=BB6_130 Depth=2
	s_or_b32 exec_lo, exec_lo, s10
                                        ; implicit-def: $vgpr1
                                        ; implicit-def: $vgpr0
.LBB6_2684:                             ;   in Loop: Header=BB6_130 Depth=2
	s_and_not1_saveexec_b32 s10, s11
	s_cbranch_execz .LBB6_2690
; %bb.2685:                             ;   in Loop: Header=BB6_130 Depth=2
	s_mov_b32 s11, exec_lo
                                        ; implicit-def: $vgpr18
	v_cmpx_ne_u64_e32 0, v[24:25]
	s_xor_b32 s11, exec_lo, s11
; %bb.2686:                             ;   in Loop: Header=BB6_130 Depth=2
	v_or_b32_e32 v18, 0x7f, v0
                                        ; implicit-def: $vgpr1
; %bb.2687:                             ;   in Loop: Header=BB6_130 Depth=2
	s_and_not1_saveexec_b32 s11, s11
; %bb.2688:                             ;   in Loop: Header=BB6_130 Depth=2
	v_cmp_lt_i32_e32 vcc_lo, -1, v1
	v_cndmask_b32_e32 v18, 0xfc, v93, vcc_lo
; %bb.2689:                             ;   in Loop: Header=BB6_130 Depth=2
	s_or_b32 exec_lo, exec_lo, s11
.LBB6_2690:                             ;   in Loop: Header=BB6_130 Depth=2
	s_delay_alu instid0(SALU_CYCLE_1)
	s_or_b32 exec_lo, exec_lo, s10
	v_and_b32_e32 v2, 0xff, v4
	v_bfe_i32 v1, v4, 0, 8
	v_bfe_i32 v0, v20, 0, 8
	s_and_not1_b32 vcc_lo, exec_lo, s14
	s_mov_b32 s11, -1
	v_cmp_ne_u16_e64 s10, 0, v2
                                        ; implicit-def: $vgpr2
	s_cbranch_vccnz .LBB6_2712
; %bb.2691:                             ;   in Loop: Header=BB6_130 Depth=2
	v_dual_mov_b32 v3, 0 :: v_dual_mov_b32 v2, 0
	s_and_saveexec_b32 s11, s10
	s_cbranch_execz .LBB6_2701
; %bb.2692:                             ;   in Loop: Header=BB6_130 Depth=2
	v_bfrev_b32_e32 v2, 1
	s_mov_b32 s15, exec_lo
	v_cmpx_ne_u16_e32 0xff80, v1
	s_cbranch_execz .LBB6_2700
; %bb.2693:                             ;   in Loop: Header=BB6_130 Depth=2
	v_and_b32_e32 v2, 0x7c, v4
	v_and_b32_e32 v6, 3, v4
	s_delay_alu instid0(VALU_DEP_2) | instskip(SKIP_1) | instid1(SALU_CYCLE_1)
	v_cmp_ne_u32_e32 vcc_lo, 0x7c, v2
                                        ; implicit-def: $vgpr2
	s_and_saveexec_b32 s42, vcc_lo
	s_xor_b32 s42, exec_lo, s42
	s_cbranch_execz .LBB6_2697
; %bb.2694:                             ;   in Loop: Header=BB6_130 Depth=2
	v_bfe_u32 v2, v4, 2, 5
	s_mov_b32 s43, exec_lo
	s_delay_alu instid0(VALU_DEP_1)
	v_cmpx_eq_u32_e32 0, v2
; %bb.2695:                             ;   in Loop: Header=BB6_130 Depth=2
	v_clz_i32_u32_e32 v2, v6
	s_delay_alu instid0(VALU_DEP_1) | instskip(NEXT) | instid1(VALU_DEP_1)
	v_min_u32_e32 v2, 32, v2
	v_subrev_nc_u32_e32 v6, 29, v2
	v_sub_nc_u32_e32 v2, 30, v2
	s_delay_alu instid0(VALU_DEP_2) | instskip(NEXT) | instid1(VALU_DEP_1)
	v_lshlrev_b64_e32 v[6:7], v6, v[4:5]
	v_and_b32_e32 v6, 3, v6
; %bb.2696:                             ;   in Loop: Header=BB6_130 Depth=2
	s_or_b32 exec_lo, exec_lo, s43
	v_lshlrev_b32_e32 v7, 24, v4
	s_delay_alu instid0(VALU_DEP_1) | instskip(NEXT) | instid1(VALU_DEP_1)
	v_and_b32_e32 v7, 0x80000000, v7
	v_lshl_add_u32 v2, v2, 23, v7
	s_delay_alu instid0(VALU_DEP_1) | instskip(NEXT) | instid1(VALU_DEP_1)
	v_lshl_or_b32 v2, v6, 21, v2
                                        ; implicit-def: $vgpr6
	v_add_nc_u32_e32 v2, 0x38000000, v2
.LBB6_2697:                             ;   in Loop: Header=BB6_130 Depth=2
	s_and_not1_saveexec_b32 s42, s42
; %bb.2698:                             ;   in Loop: Header=BB6_130 Depth=2
	v_cmp_lt_i16_e32 vcc_lo, -1, v1
	v_cndmask_b32_e32 v2, 0xff800000, v62, vcc_lo
	v_cmp_eq_u32_e32 vcc_lo, 0, v6
	s_delay_alu instid0(VALU_DEP_2)
	v_cndmask_b32_e32 v2, 0x7f800001, v2, vcc_lo
; %bb.2699:                             ;   in Loop: Header=BB6_130 Depth=2
	s_or_b32 exec_lo, exec_lo, s42
.LBB6_2700:                             ;   in Loop: Header=BB6_130 Depth=2
	s_delay_alu instid0(SALU_CYCLE_1)
	s_or_b32 exec_lo, exec_lo, s15
.LBB6_2701:                             ;   in Loop: Header=BB6_130 Depth=2
	s_delay_alu instid0(SALU_CYCLE_1) | instskip(NEXT) | instid1(SALU_CYCLE_1)
	s_or_b32 exec_lo, exec_lo, s11
	s_mov_b32 s11, exec_lo
	v_cmpx_ne_u16_e32 0, v0
	s_cbranch_execz .LBB6_2711
; %bb.2702:                             ;   in Loop: Header=BB6_130 Depth=2
	v_bfrev_b32_e32 v3, 1
	s_mov_b32 s15, exec_lo
	v_cmpx_ne_u16_e32 0xff80, v0
	s_cbranch_execz .LBB6_2710
; %bb.2703:                             ;   in Loop: Header=BB6_130 Depth=2
	v_and_b32_e32 v3, 0x7c, v20
	v_and_b32_e32 v6, 3, v20
	s_delay_alu instid0(VALU_DEP_2) | instskip(SKIP_1) | instid1(SALU_CYCLE_1)
	v_cmp_ne_u32_e32 vcc_lo, 0x7c, v3
                                        ; implicit-def: $vgpr3
	s_and_saveexec_b32 s42, vcc_lo
	s_xor_b32 s42, exec_lo, s42
	s_cbranch_execz .LBB6_2707
; %bb.2704:                             ;   in Loop: Header=BB6_130 Depth=2
	v_bfe_u32 v3, v20, 2, 5
	s_mov_b32 s43, exec_lo
	s_delay_alu instid0(VALU_DEP_1)
	v_cmpx_eq_u32_e32 0, v3
; %bb.2705:                             ;   in Loop: Header=BB6_130 Depth=2
	v_clz_i32_u32_e32 v3, v6
	s_delay_alu instid0(VALU_DEP_1) | instskip(NEXT) | instid1(VALU_DEP_1)
	v_min_u32_e32 v3, 32, v3
	v_subrev_nc_u32_e32 v6, 29, v3
	s_delay_alu instid0(VALU_DEP_1) | instskip(NEXT) | instid1(VALU_DEP_1)
	v_lshlrev_b64_e32 v[6:7], v6, v[20:21]
	v_dual_sub_nc_u32 v3, 30, v3 :: v_dual_bitop2_b32 v6, 3, v6 bitop3:0x40
; %bb.2706:                             ;   in Loop: Header=BB6_130 Depth=2
	s_or_b32 exec_lo, exec_lo, s43
	v_lshlrev_b32_e32 v7, 24, v20
	s_delay_alu instid0(VALU_DEP_1) | instskip(NEXT) | instid1(VALU_DEP_1)
	v_and_b32_e32 v7, 0x80000000, v7
	v_lshl_add_u32 v3, v3, 23, v7
	s_delay_alu instid0(VALU_DEP_1) | instskip(NEXT) | instid1(VALU_DEP_1)
	v_lshl_or_b32 v3, v6, 21, v3
                                        ; implicit-def: $vgpr6
	v_add_nc_u32_e32 v3, 0x38000000, v3
.LBB6_2707:                             ;   in Loop: Header=BB6_130 Depth=2
	s_and_not1_saveexec_b32 s42, s42
; %bb.2708:                             ;   in Loop: Header=BB6_130 Depth=2
	v_cmp_lt_i16_e32 vcc_lo, -1, v0
	v_cndmask_b32_e32 v3, 0xff800000, v62, vcc_lo
	v_cmp_eq_u32_e32 vcc_lo, 0, v6
	s_delay_alu instid0(VALU_DEP_2)
	v_cndmask_b32_e32 v3, 0x7f800001, v3, vcc_lo
; %bb.2709:                             ;   in Loop: Header=BB6_130 Depth=2
	s_or_b32 exec_lo, exec_lo, s42
.LBB6_2710:                             ;   in Loop: Header=BB6_130 Depth=2
	s_delay_alu instid0(SALU_CYCLE_1)
	s_or_b32 exec_lo, exec_lo, s15
.LBB6_2711:                             ;   in Loop: Header=BB6_130 Depth=2
	s_delay_alu instid0(SALU_CYCLE_1) | instskip(NEXT) | instid1(VALU_DEP_1)
	s_or_b32 exec_lo, exec_lo, s11
	v_dual_max_num_f32 v3, v3, v3 :: v_dual_max_num_f32 v2, v2, v2
	s_mov_b32 s11, 0
	s_delay_alu instid0(VALU_DEP_1)
	v_max_num_f32_e32 v2, v2, v3
.LBB6_2712:                             ;   in Loop: Header=BB6_130 Depth=2
	s_and_b32 vcc_lo, exec_lo, s11
	s_cbranch_vccz .LBB6_2734
; %bb.2713:                             ;   in Loop: Header=BB6_130 Depth=2
	v_dual_mov_b32 v3, 0 :: v_dual_mov_b32 v2, 0
	s_and_saveexec_b32 s11, s10
	s_cbranch_execz .LBB6_2723
; %bb.2714:                             ;   in Loop: Header=BB6_130 Depth=2
	v_bfrev_b32_e32 v2, 1
	s_mov_b32 s10, exec_lo
	v_cmpx_ne_u16_e32 0xff80, v1
	s_cbranch_execz .LBB6_2722
; %bb.2715:                             ;   in Loop: Header=BB6_130 Depth=2
	v_and_b32_e32 v2, 0x7c, v4
	v_and_b32_e32 v6, 3, v4
	s_delay_alu instid0(VALU_DEP_2) | instskip(SKIP_1) | instid1(SALU_CYCLE_1)
	v_cmp_ne_u32_e32 vcc_lo, 0x7c, v2
                                        ; implicit-def: $vgpr2
	s_and_saveexec_b32 s15, vcc_lo
	s_xor_b32 s15, exec_lo, s15
	s_cbranch_execz .LBB6_2719
; %bb.2716:                             ;   in Loop: Header=BB6_130 Depth=2
	v_bfe_u32 v1, v4, 2, 5
	s_mov_b32 s42, exec_lo
	s_delay_alu instid0(VALU_DEP_1)
	v_cmpx_eq_u32_e32 0, v1
; %bb.2717:                             ;   in Loop: Header=BB6_130 Depth=2
	v_clz_i32_u32_e32 v1, v6
	s_delay_alu instid0(VALU_DEP_1) | instskip(NEXT) | instid1(VALU_DEP_1)
	v_min_u32_e32 v1, 32, v1
	v_subrev_nc_u32_e32 v2, 29, v1
	s_delay_alu instid0(VALU_DEP_1) | instskip(NEXT) | instid1(VALU_DEP_1)
	v_lshlrev_b64_e32 v[6:7], v2, v[4:5]
	v_dual_sub_nc_u32 v1, 30, v1 :: v_dual_bitop2_b32 v6, 3, v6 bitop3:0x40
; %bb.2718:                             ;   in Loop: Header=BB6_130 Depth=2
	s_or_b32 exec_lo, exec_lo, s42
	v_lshlrev_b32_e32 v2, 24, v4
	s_delay_alu instid0(VALU_DEP_1) | instskip(NEXT) | instid1(VALU_DEP_1)
	v_and_b32_e32 v2, 0x80000000, v2
	v_lshl_add_u32 v1, v1, 23, v2
	s_delay_alu instid0(VALU_DEP_1) | instskip(NEXT) | instid1(VALU_DEP_1)
	v_lshl_or_b32 v1, v6, 21, v1
                                        ; implicit-def: $vgpr6
	v_add_nc_u32_e32 v2, 0x38000000, v1
                                        ; implicit-def: $vgpr1
.LBB6_2719:                             ;   in Loop: Header=BB6_130 Depth=2
	s_and_not1_saveexec_b32 s15, s15
; %bb.2720:                             ;   in Loop: Header=BB6_130 Depth=2
	v_cmp_lt_i16_e32 vcc_lo, -1, v1
	v_cndmask_b32_e32 v1, 0xff800000, v62, vcc_lo
	v_cmp_eq_u32_e32 vcc_lo, 0, v6
	s_delay_alu instid0(VALU_DEP_2)
	v_cndmask_b32_e32 v2, 0x7f800001, v1, vcc_lo
; %bb.2721:                             ;   in Loop: Header=BB6_130 Depth=2
	s_or_b32 exec_lo, exec_lo, s15
.LBB6_2722:                             ;   in Loop: Header=BB6_130 Depth=2
	s_delay_alu instid0(SALU_CYCLE_1)
	s_or_b32 exec_lo, exec_lo, s10
.LBB6_2723:                             ;   in Loop: Header=BB6_130 Depth=2
	s_delay_alu instid0(SALU_CYCLE_1) | instskip(NEXT) | instid1(SALU_CYCLE_1)
	s_or_b32 exec_lo, exec_lo, s11
	s_mov_b32 s10, exec_lo
	v_cmpx_ne_u16_e32 0, v0
	s_cbranch_execz .LBB6_2733
; %bb.2724:                             ;   in Loop: Header=BB6_130 Depth=2
	v_bfrev_b32_e32 v3, 1
	s_mov_b32 s11, exec_lo
	v_cmpx_ne_u16_e32 0xff80, v0
	s_cbranch_execz .LBB6_2732
; %bb.2725:                             ;   in Loop: Header=BB6_130 Depth=2
	v_and_b32_e32 v3, 0x7c, v20
	v_and_b32_e32 v1, 3, v20
	s_delay_alu instid0(VALU_DEP_2) | instskip(SKIP_1) | instid1(SALU_CYCLE_1)
	v_cmp_ne_u32_e32 vcc_lo, 0x7c, v3
                                        ; implicit-def: $vgpr3
	s_and_saveexec_b32 s15, vcc_lo
	s_xor_b32 s15, exec_lo, s15
	s_cbranch_execz .LBB6_2729
; %bb.2726:                             ;   in Loop: Header=BB6_130 Depth=2
	v_bfe_u32 v0, v20, 2, 5
	s_mov_b32 s42, exec_lo
	s_delay_alu instid0(VALU_DEP_1)
	v_cmpx_eq_u32_e32 0, v0
; %bb.2727:                             ;   in Loop: Header=BB6_130 Depth=2
	v_clz_i32_u32_e32 v0, v1
	s_delay_alu instid0(VALU_DEP_1) | instskip(NEXT) | instid1(VALU_DEP_1)
	v_min_u32_e32 v0, 32, v0
	v_subrev_nc_u32_e32 v1, 29, v0
	s_delay_alu instid0(VALU_DEP_1) | instskip(NEXT) | instid1(VALU_DEP_1)
	v_lshlrev_b64_e32 v[6:7], v1, v[20:21]
	v_dual_sub_nc_u32 v0, 30, v0 :: v_dual_bitop2_b32 v1, 3, v6 bitop3:0x40
; %bb.2728:                             ;   in Loop: Header=BB6_130 Depth=2
	s_or_b32 exec_lo, exec_lo, s42
	v_lshlrev_b32_e32 v3, 24, v20
	s_delay_alu instid0(VALU_DEP_1) | instskip(NEXT) | instid1(VALU_DEP_1)
	v_and_b32_e32 v3, 0x80000000, v3
	v_lshl_add_u32 v0, v0, 23, v3
	s_delay_alu instid0(VALU_DEP_1) | instskip(NEXT) | instid1(VALU_DEP_1)
	v_lshl_or_b32 v0, v1, 21, v0
                                        ; implicit-def: $vgpr1
	v_add_nc_u32_e32 v3, 0x38000000, v0
                                        ; implicit-def: $vgpr0
.LBB6_2729:                             ;   in Loop: Header=BB6_130 Depth=2
	s_and_not1_saveexec_b32 s15, s15
; %bb.2730:                             ;   in Loop: Header=BB6_130 Depth=2
	v_cmp_lt_i16_e32 vcc_lo, -1, v0
	v_cndmask_b32_e32 v0, 0xff800000, v62, vcc_lo
	v_cmp_eq_u32_e32 vcc_lo, 0, v1
	s_delay_alu instid0(VALU_DEP_2)
	v_cndmask_b32_e32 v3, 0x7f800001, v0, vcc_lo
; %bb.2731:                             ;   in Loop: Header=BB6_130 Depth=2
	s_or_b32 exec_lo, exec_lo, s15
.LBB6_2732:                             ;   in Loop: Header=BB6_130 Depth=2
	s_delay_alu instid0(SALU_CYCLE_1)
	s_or_b32 exec_lo, exec_lo, s11
.LBB6_2733:                             ;   in Loop: Header=BB6_130 Depth=2
	s_delay_alu instid0(SALU_CYCLE_1) | instskip(NEXT) | instid1(VALU_DEP_1)
	s_or_b32 exec_lo, exec_lo, s10
	v_dual_max_num_f32 v0, v3, v3 :: v_dual_max_num_f32 v1, v2, v2
	s_delay_alu instid0(VALU_DEP_1)
	v_min_num_f32_e32 v2, v1, v0
.LBB6_2734:                             ;   in Loop: Header=BB6_130 Depth=2
	s_delay_alu instid0(VALU_DEP_1) | instskip(SKIP_2) | instid1(VALU_DEP_2)
	v_and_b32_e32 v0, 0x7f800000, v2
	v_mov_b32_e32 v1, v25
	v_and_b32_e32 v24, 0x7fffff, v2
                                        ; implicit-def: $vgpr19
	v_cmp_ne_u64_e32 vcc_lo, 0x7f800000, v[0:1]
	v_lshrrev_b32_e32 v0, 24, v2
	s_and_saveexec_b32 s10, vcc_lo
	s_delay_alu instid0(SALU_CYCLE_1)
	s_xor_b32 s11, exec_lo, s10
	s_cbranch_execz .LBB6_2748
; %bb.2735:                             ;   in Loop: Header=BB6_130 Depth=2
	v_and_b32_e32 v6, 0x7fffffff, v2
	v_mov_b32_e32 v7, v25
                                        ; implicit-def: $vgpr19
	s_delay_alu instid0(VALU_DEP_1) | instskip(SKIP_2) | instid1(SALU_CYCLE_1)
	v_cmp_gt_u64_e32 vcc_lo, 0x47600001, v[6:7]
	v_and_b32_e32 v6, 0x80, v0
	s_and_saveexec_b32 s10, vcc_lo
	s_xor_b32 s15, exec_lo, s10
	s_cbranch_execz .LBB6_2745
; %bb.2736:                             ;   in Loop: Header=BB6_130 Depth=2
	v_mov_b32_e32 v19, 0
	s_mov_b32 s42, exec_lo
	v_cmpx_ne_u32_e32 0, v2
	s_cbranch_execz .LBB6_2744
; %bb.2737:                             ;   in Loop: Header=BB6_130 Depth=2
	v_bfe_u32 v7, v2, 23, 8
	v_or_b32_e32 v1, 0x800000, v24
	s_delay_alu instid0(VALU_DEP_2) | instskip(SKIP_2) | instid1(VALU_DEP_2)
	v_cmp_gt_u32_e64 s10, 0x72, v7
	v_sub_nc_u32_e32 v0, 0x71, v7
	v_cmp_eq_u32_e32 vcc_lo, 0, v7
	v_cndmask_b32_e64 v0, 0, v0, s10
	s_delay_alu instid0(VALU_DEP_1) | instskip(NEXT) | instid1(VALU_DEP_1)
	v_cndmask_b32_e64 v19, v0, 0x70, vcc_lo
	v_dual_cndmask_b32 v24, v1, v24, vcc_lo :: v_dual_add_nc_u32 v0, 21, v19
	v_add_nc_u32_e32 v2, 20, v19
	s_delay_alu instid0(VALU_DEP_2) | instskip(NEXT) | instid1(VALU_DEP_2)
	v_lshlrev_b64_e64 v[0:1], v0, -1
	v_lshlrev_b64_e64 v[2:3], v2, 1
	s_delay_alu instid0(VALU_DEP_2) | instskip(NEXT) | instid1(VALU_DEP_3)
	v_bfi_b32 v1, v1, 0, 0
	v_bfi_b32 v0, v0, 0, v24
	s_delay_alu instid0(VALU_DEP_1) | instskip(SKIP_1) | instid1(VALU_DEP_1)
	v_cmp_eq_u64_e64 s10, v[0:1], v[2:3]
	v_lshrrev_b64 v[0:1], v19, v[24:25]
	v_mov_b64_e32 v[2:3], v[0:1]
	s_and_saveexec_b32 s43, s10
; %bb.2738:                             ;   in Loop: Header=BB6_130 Depth=2
	v_bfe_u32 v24, v0, 21, 1
	s_delay_alu instid0(VALU_DEP_1) | instskip(NEXT) | instid1(VALU_DEP_1)
	v_add_nc_u64_e32 v[2:3], v[0:1], v[24:25]
	v_add_nc_u64_e32 v[2:3], -1, v[2:3]
; %bb.2739:                             ;   in Loop: Header=BB6_130 Depth=2
	s_or_b32 exec_lo, exec_lo, s43
	v_add_nc_u32_e32 v1, 0xffffff81, v7
	v_lshrrev_b32_e32 v3, 23, v0
	s_mov_b32 s10, exec_lo
	s_delay_alu instid0(VALU_DEP_2) | instskip(NEXT) | instid1(VALU_DEP_1)
	v_cndmask_b32_e64 v1, v1, 0xffffff82, vcc_lo
	v_add3_u32 v3, v19, v1, v3
	v_and_b32_e32 v1, 0x1fffff, v2
                                        ; implicit-def: $vgpr2
	s_delay_alu instid0(VALU_DEP_1) | instskip(NEXT) | instid1(VALU_DEP_1)
	v_dual_add_nc_u32 v7, 14, v3 :: v_dual_add_nc_u32 v24, v1, v0
                                        ; implicit-def: $vgpr0_vgpr1
	v_cmpx_ne_u32_e32 0, v7
	s_xor_b32 s10, exec_lo, s10
; %bb.2740:                             ;   in Loop: Header=BB6_130 Depth=2
	s_delay_alu instid0(VALU_DEP_2) | instskip(SKIP_1) | instid1(VALU_DEP_1)
	v_cmp_lt_u64_e32 vcc_lo, 0xffffff, v[24:25]
	v_add_nc_u32_e32 v0, 15, v3
	v_cndmask_b32_e32 v2, v7, v0, vcc_lo
	v_cndmask_b32_e64 v0, 0, 1, vcc_lo
	s_delay_alu instid0(VALU_DEP_1)
	v_lshrrev_b64 v[0:1], v0, v[24:25]
; %bb.2741:                             ;   in Loop: Header=BB6_130 Depth=2
	s_and_not1_saveexec_b32 s10, s10
; %bb.2742:                             ;   in Loop: Header=BB6_130 Depth=2
	v_mov_b64_e32 v[0:1], v[24:25]
	v_bfe_u32 v2, v24, 23, 1
; %bb.2743:                             ;   in Loop: Header=BB6_130 Depth=2
	s_or_b32 exec_lo, exec_lo, s10
	s_delay_alu instid0(VALU_DEP_2) | instskip(NEXT) | instid1(VALU_DEP_2)
	v_lshrrev_b64 v[0:1], 21, v[0:1]
	v_cmp_gt_i32_e32 vcc_lo, 32, v2
	v_min_i32_e32 v3, 31, v2
	v_cmp_eq_u32_e64 s10, 0, v2
	s_delay_alu instid0(VALU_DEP_2) | instskip(SKIP_1) | instid1(VALU_DEP_2)
	v_dual_cndmask_b32 v1, 0, v1, vcc_lo :: v_dual_lshlrev_b32 v3, 2, v3
	v_cndmask_b32_e32 v0, 3, v0, vcc_lo
	v_and_b32_e32 v3, 0xfc, v3
	s_delay_alu instid0(VALU_DEP_2) | instskip(NEXT) | instid1(VALU_DEP_2)
	v_cmp_eq_u64_e32 vcc_lo, 0, v[0:1]
	v_and_or_b32 v0, v0, 3, v3
	s_and_b32 s10, s10, vcc_lo
	s_delay_alu instid0(VALU_DEP_1) | instid1(SALU_CYCLE_1)
	v_cndmask_b32_e64 v0, v0, 0, s10
	s_delay_alu instid0(VALU_DEP_1)
	v_or_b32_e32 v19, v0, v6
.LBB6_2744:                             ;   in Loop: Header=BB6_130 Depth=2
	s_or_b32 exec_lo, exec_lo, s42
                                        ; implicit-def: $vgpr6
.LBB6_2745:                             ;   in Loop: Header=BB6_130 Depth=2
	s_and_not1_saveexec_b32 s10, s15
; %bb.2746:                             ;   in Loop: Header=BB6_130 Depth=2
	v_or_b32_e32 v19, 0x7b, v6
; %bb.2747:                             ;   in Loop: Header=BB6_130 Depth=2
	s_or_b32 exec_lo, exec_lo, s10
                                        ; implicit-def: $vgpr2
                                        ; implicit-def: $vgpr0
.LBB6_2748:                             ;   in Loop: Header=BB6_130 Depth=2
	s_and_not1_saveexec_b32 s10, s11
	s_cbranch_execz .LBB6_2754
; %bb.2749:                             ;   in Loop: Header=BB6_130 Depth=2
	s_mov_b32 s11, exec_lo
                                        ; implicit-def: $vgpr19
	v_cmpx_ne_u64_e32 0, v[24:25]
	s_xor_b32 s11, exec_lo, s11
; %bb.2750:                             ;   in Loop: Header=BB6_130 Depth=2
	v_or_b32_e32 v19, 0x7f, v0
                                        ; implicit-def: $vgpr2
; %bb.2751:                             ;   in Loop: Header=BB6_130 Depth=2
	s_and_not1_saveexec_b32 s11, s11
; %bb.2752:                             ;   in Loop: Header=BB6_130 Depth=2
	v_cmp_lt_i32_e32 vcc_lo, -1, v2
	v_cndmask_b32_e32 v19, 0xfc, v93, vcc_lo
; %bb.2753:                             ;   in Loop: Header=BB6_130 Depth=2
	s_or_b32 exec_lo, exec_lo, s11
.LBB6_2754:                             ;   in Loop: Header=BB6_130 Depth=2
	s_delay_alu instid0(SALU_CYCLE_1) | instskip(SKIP_4) | instid1(VALU_DEP_2)
	s_or_b32 exec_lo, exec_lo, s10
	v_lshrrev_b16 v24, 8, v4
	v_lshrrev_b16 v0, 8, v20
	s_and_not1_b32 vcc_lo, exec_lo, s14
	s_mov_b32 s11, -1
                                        ; implicit-def: $vgpr1
	v_and_b32_e32 v2, 0xffff, v24
	v_cmp_ne_u16_e64 s10, 0, v24
	s_cbranch_vccnz .LBB6_2776
; %bb.2755:                             ;   in Loop: Header=BB6_130 Depth=2
	v_dual_mov_b32 v1, 0 :: v_dual_mov_b32 v3, 0
	s_and_saveexec_b32 s11, s10
	s_cbranch_execz .LBB6_2765
; %bb.2756:                             ;   in Loop: Header=BB6_130 Depth=2
	v_bfrev_b32_e32 v3, 1
	s_mov_b32 s15, exec_lo
	v_cmpx_ne_u16_e32 0x80, v24
	s_cbranch_execz .LBB6_2764
; %bb.2757:                             ;   in Loop: Header=BB6_130 Depth=2
	v_and_b32_e32 v3, 0x7c, v2
	v_and_b32_e32 v6, 3, v2
	s_delay_alu instid0(VALU_DEP_2) | instskip(SKIP_1) | instid1(SALU_CYCLE_1)
	v_cmp_ne_u32_e32 vcc_lo, 0x7c, v3
                                        ; implicit-def: $vgpr3
	s_and_saveexec_b32 s42, vcc_lo
	s_xor_b32 s42, exec_lo, s42
	s_cbranch_execz .LBB6_2761
; %bb.2758:                             ;   in Loop: Header=BB6_130 Depth=2
	v_bfe_u32 v3, v2, 2, 5
	s_mov_b32 s43, exec_lo
	s_delay_alu instid0(VALU_DEP_1)
	v_cmpx_eq_u32_e32 0, v3
; %bb.2759:                             ;   in Loop: Header=BB6_130 Depth=2
	v_clz_i32_u32_e32 v3, v6
	s_delay_alu instid0(VALU_DEP_1) | instskip(NEXT) | instid1(VALU_DEP_1)
	v_min_u32_e32 v3, 32, v3
	v_subrev_nc_u32_e32 v6, 29, v3
	s_delay_alu instid0(VALU_DEP_1) | instskip(NEXT) | instid1(VALU_DEP_1)
	v_lshlrev_b64_e32 v[6:7], v6, v[24:25]
	v_dual_sub_nc_u32 v3, 30, v3 :: v_dual_bitop2_b32 v6, 3, v6 bitop3:0x40
; %bb.2760:                             ;   in Loop: Header=BB6_130 Depth=2
	s_or_b32 exec_lo, exec_lo, s43
	v_lshlrev_b32_e32 v7, 16, v4
	s_delay_alu instid0(VALU_DEP_1) | instskip(NEXT) | instid1(VALU_DEP_1)
	v_and_b32_e32 v7, 0x80000000, v7
	v_lshl_add_u32 v3, v3, 23, v7
	s_delay_alu instid0(VALU_DEP_1) | instskip(NEXT) | instid1(VALU_DEP_1)
	v_lshl_or_b32 v3, v6, 21, v3
                                        ; implicit-def: $vgpr6
	v_add_nc_u32_e32 v3, 0x38000000, v3
.LBB6_2761:                             ;   in Loop: Header=BB6_130 Depth=2
	s_and_not1_saveexec_b32 s42, s42
; %bb.2762:                             ;   in Loop: Header=BB6_130 Depth=2
	v_cmp_lt_i16_e32 vcc_lo, -1, v4
	v_cndmask_b32_e32 v3, 0xff800000, v62, vcc_lo
	v_cmp_eq_u32_e32 vcc_lo, 0, v6
	s_delay_alu instid0(VALU_DEP_2)
	v_cndmask_b32_e32 v3, 0x7f800001, v3, vcc_lo
; %bb.2763:                             ;   in Loop: Header=BB6_130 Depth=2
	s_or_b32 exec_lo, exec_lo, s42
.LBB6_2764:                             ;   in Loop: Header=BB6_130 Depth=2
	s_delay_alu instid0(SALU_CYCLE_1)
	s_or_b32 exec_lo, exec_lo, s15
.LBB6_2765:                             ;   in Loop: Header=BB6_130 Depth=2
	s_delay_alu instid0(SALU_CYCLE_1) | instskip(NEXT) | instid1(SALU_CYCLE_1)
	s_or_b32 exec_lo, exec_lo, s11
	s_mov_b32 s11, exec_lo
	v_cmpx_ne_u16_e32 0, v0
	s_cbranch_execz .LBB6_2775
; %bb.2766:                             ;   in Loop: Header=BB6_130 Depth=2
	v_bfrev_b32_e32 v1, 1
	s_mov_b32 s15, exec_lo
	v_cmpx_ne_u16_e32 0x80, v0
	s_cbranch_execz .LBB6_2774
; %bb.2767:                             ;   in Loop: Header=BB6_130 Depth=2
	v_and_b32_e32 v7, 0xffff, v0
	s_delay_alu instid0(VALU_DEP_1) | instskip(SKIP_1) | instid1(VALU_DEP_2)
	v_and_b32_e32 v1, 0x7c, v7
	v_and_b32_e32 v6, 3, v7
	v_cmp_ne_u32_e32 vcc_lo, 0x7c, v1
                                        ; implicit-def: $vgpr1
	s_and_saveexec_b32 s42, vcc_lo
	s_delay_alu instid0(SALU_CYCLE_1)
	s_xor_b32 s42, exec_lo, s42
	s_cbranch_execz .LBB6_2771
; %bb.2768:                             ;   in Loop: Header=BB6_130 Depth=2
	v_bfe_u32 v1, v7, 2, 5
	s_mov_b32 s43, exec_lo
	s_delay_alu instid0(VALU_DEP_1)
	v_cmpx_eq_u32_e32 0, v1
	s_cbranch_execz .LBB6_2770
; %bb.2769:                             ;   in Loop: Header=BB6_130 Depth=2
	v_clz_i32_u32_e32 v1, v6
	s_delay_alu instid0(VALU_DEP_1) | instskip(SKIP_1) | instid1(VALU_DEP_2)
	v_min_u32_e32 v86, 32, v1
	v_mov_b32_e32 v1, v25
	v_subrev_nc_u32_e32 v6, 29, v86
	s_delay_alu instid0(VALU_DEP_1) | instskip(SKIP_1) | instid1(VALU_DEP_2)
	v_lshlrev_b64_e32 v[6:7], v6, v[0:1]
	v_sub_nc_u32_e32 v1, 30, v86
	v_and_b32_e32 v6, 3, v6
.LBB6_2770:                             ;   in Loop: Header=BB6_130 Depth=2
	s_or_b32 exec_lo, exec_lo, s43
	v_lshlrev_b32_e32 v7, 16, v20
	s_delay_alu instid0(VALU_DEP_1) | instskip(NEXT) | instid1(VALU_DEP_1)
	v_and_b32_e32 v7, 0x80000000, v7
	v_lshl_add_u32 v1, v1, 23, v7
	s_delay_alu instid0(VALU_DEP_1) | instskip(NEXT) | instid1(VALU_DEP_1)
	v_lshl_or_b32 v1, v6, 21, v1
                                        ; implicit-def: $vgpr6
	v_add_nc_u32_e32 v1, 0x38000000, v1
.LBB6_2771:                             ;   in Loop: Header=BB6_130 Depth=2
	s_and_not1_saveexec_b32 s42, s42
; %bb.2772:                             ;   in Loop: Header=BB6_130 Depth=2
	v_cmp_lt_i16_e32 vcc_lo, -1, v20
	v_cndmask_b32_e32 v1, 0xff800000, v62, vcc_lo
	v_cmp_eq_u32_e32 vcc_lo, 0, v6
	s_delay_alu instid0(VALU_DEP_2)
	v_cndmask_b32_e32 v1, 0x7f800001, v1, vcc_lo
; %bb.2773:                             ;   in Loop: Header=BB6_130 Depth=2
	s_or_b32 exec_lo, exec_lo, s42
.LBB6_2774:                             ;   in Loop: Header=BB6_130 Depth=2
	s_delay_alu instid0(SALU_CYCLE_1)
	s_or_b32 exec_lo, exec_lo, s15
.LBB6_2775:                             ;   in Loop: Header=BB6_130 Depth=2
	s_delay_alu instid0(SALU_CYCLE_1) | instskip(NEXT) | instid1(VALU_DEP_1)
	s_or_b32 exec_lo, exec_lo, s11
	v_dual_max_num_f32 v1, v1, v1 :: v_dual_max_num_f32 v3, v3, v3
	s_mov_b32 s11, 0
	s_delay_alu instid0(VALU_DEP_1)
	v_max_num_f32_e32 v1, v3, v1
.LBB6_2776:                             ;   in Loop: Header=BB6_130 Depth=2
	s_and_b32 vcc_lo, exec_lo, s11
	s_cbranch_vccz .LBB6_2798
; %bb.2777:                             ;   in Loop: Header=BB6_130 Depth=2
	v_dual_mov_b32 v1, 0 :: v_dual_mov_b32 v3, 0
	s_and_saveexec_b32 s11, s10
	s_cbranch_execz .LBB6_2787
; %bb.2778:                             ;   in Loop: Header=BB6_130 Depth=2
	v_bfrev_b32_e32 v3, 1
	s_mov_b32 s10, exec_lo
	v_cmpx_ne_u16_e32 0x80, v24
	s_cbranch_execz .LBB6_2786
; %bb.2779:                             ;   in Loop: Header=BB6_130 Depth=2
	v_and_b32_e32 v3, 0x7c, v2
	v_and_b32_e32 v6, 3, v2
	s_delay_alu instid0(VALU_DEP_2) | instskip(SKIP_1) | instid1(SALU_CYCLE_1)
	v_cmp_ne_u32_e32 vcc_lo, 0x7c, v3
                                        ; implicit-def: $vgpr3
	s_and_saveexec_b32 s15, vcc_lo
	s_xor_b32 s15, exec_lo, s15
	s_cbranch_execz .LBB6_2783
; %bb.2780:                             ;   in Loop: Header=BB6_130 Depth=2
	v_bfe_u32 v2, v2, 2, 5
	s_mov_b32 s42, exec_lo
	s_delay_alu instid0(VALU_DEP_1)
	v_cmpx_eq_u32_e32 0, v2
; %bb.2781:                             ;   in Loop: Header=BB6_130 Depth=2
	v_clz_i32_u32_e32 v2, v6
	s_delay_alu instid0(VALU_DEP_1) | instskip(NEXT) | instid1(VALU_DEP_1)
	v_min_u32_e32 v2, 32, v2
	v_subrev_nc_u32_e32 v3, 29, v2
	v_sub_nc_u32_e32 v2, 30, v2
	s_delay_alu instid0(VALU_DEP_2) | instskip(NEXT) | instid1(VALU_DEP_1)
	v_lshlrev_b64_e32 v[6:7], v3, v[24:25]
	v_and_b32_e32 v6, 3, v6
; %bb.2782:                             ;   in Loop: Header=BB6_130 Depth=2
	s_or_b32 exec_lo, exec_lo, s42
	v_lshlrev_b32_e32 v3, 16, v4
	s_delay_alu instid0(VALU_DEP_1) | instskip(NEXT) | instid1(VALU_DEP_1)
	v_and_b32_e32 v3, 0x80000000, v3
	v_lshl_add_u32 v2, v2, 23, v3
	s_delay_alu instid0(VALU_DEP_1) | instskip(NEXT) | instid1(VALU_DEP_1)
	v_lshl_or_b32 v2, v6, 21, v2
                                        ; implicit-def: $vgpr6
	v_add_nc_u32_e32 v3, 0x38000000, v2
.LBB6_2783:                             ;   in Loop: Header=BB6_130 Depth=2
	s_and_not1_saveexec_b32 s15, s15
; %bb.2784:                             ;   in Loop: Header=BB6_130 Depth=2
	v_cmp_lt_i16_e32 vcc_lo, -1, v4
	v_cndmask_b32_e32 v2, 0xff800000, v62, vcc_lo
	v_cmp_eq_u32_e32 vcc_lo, 0, v6
	s_delay_alu instid0(VALU_DEP_2)
	v_cndmask_b32_e32 v3, 0x7f800001, v2, vcc_lo
; %bb.2785:                             ;   in Loop: Header=BB6_130 Depth=2
	s_or_b32 exec_lo, exec_lo, s15
.LBB6_2786:                             ;   in Loop: Header=BB6_130 Depth=2
	s_delay_alu instid0(SALU_CYCLE_1)
	s_or_b32 exec_lo, exec_lo, s10
.LBB6_2787:                             ;   in Loop: Header=BB6_130 Depth=2
	s_delay_alu instid0(SALU_CYCLE_1) | instskip(NEXT) | instid1(SALU_CYCLE_1)
	s_or_b32 exec_lo, exec_lo, s11
	s_mov_b32 s10, exec_lo
	v_cmpx_ne_u16_e32 0, v0
	s_cbranch_execz .LBB6_2797
; %bb.2788:                             ;   in Loop: Header=BB6_130 Depth=2
	v_bfrev_b32_e32 v1, 1
	s_mov_b32 s11, exec_lo
	v_cmpx_ne_u16_e32 0x80, v0
	s_cbranch_execz .LBB6_2796
; %bb.2789:                             ;   in Loop: Header=BB6_130 Depth=2
	v_and_b32_e32 v6, 0xffff, v0
	s_delay_alu instid0(VALU_DEP_1) | instskip(SKIP_1) | instid1(VALU_DEP_2)
	v_and_b32_e32 v1, 0x7c, v6
	v_and_b32_e32 v2, 3, v6
	v_cmp_ne_u32_e32 vcc_lo, 0x7c, v1
                                        ; implicit-def: $vgpr1
	s_and_saveexec_b32 s15, vcc_lo
	s_delay_alu instid0(SALU_CYCLE_1)
	s_xor_b32 s15, exec_lo, s15
	s_cbranch_execz .LBB6_2793
; %bb.2790:                             ;   in Loop: Header=BB6_130 Depth=2
	v_bfe_u32 v1, v6, 2, 5
	s_mov_b32 s42, exec_lo
	s_delay_alu instid0(VALU_DEP_1)
	v_cmpx_eq_u32_e32 0, v1
; %bb.2791:                             ;   in Loop: Header=BB6_130 Depth=2
	v_clz_i32_u32_e32 v1, v2
	s_delay_alu instid0(VALU_DEP_1) | instskip(SKIP_1) | instid1(VALU_DEP_2)
	v_min_u32_e32 v2, 32, v1
	v_mov_b32_e32 v1, v25
	v_subrev_nc_u32_e32 v6, 29, v2
	s_delay_alu instid0(VALU_DEP_1) | instskip(NEXT) | instid1(VALU_DEP_1)
	v_lshlrev_b64_e32 v[0:1], v6, v[0:1]
	v_dual_sub_nc_u32 v1, 30, v2 :: v_dual_bitop2_b32 v2, 3, v0 bitop3:0x40
; %bb.2792:                             ;   in Loop: Header=BB6_130 Depth=2
	s_or_b32 exec_lo, exec_lo, s42
	v_lshlrev_b32_e32 v0, 16, v20
	s_delay_alu instid0(VALU_DEP_1) | instskip(NEXT) | instid1(VALU_DEP_1)
	v_and_b32_e32 v0, 0x80000000, v0
	v_lshl_add_u32 v0, v1, 23, v0
	s_delay_alu instid0(VALU_DEP_1) | instskip(NEXT) | instid1(VALU_DEP_1)
	v_lshl_or_b32 v0, v2, 21, v0
                                        ; implicit-def: $vgpr2
	v_add_nc_u32_e32 v1, 0x38000000, v0
.LBB6_2793:                             ;   in Loop: Header=BB6_130 Depth=2
	s_and_not1_saveexec_b32 s15, s15
; %bb.2794:                             ;   in Loop: Header=BB6_130 Depth=2
	v_cmp_lt_i16_e32 vcc_lo, -1, v20
	v_cndmask_b32_e32 v0, 0xff800000, v62, vcc_lo
	v_cmp_eq_u32_e32 vcc_lo, 0, v2
	s_delay_alu instid0(VALU_DEP_2)
	v_cndmask_b32_e32 v1, 0x7f800001, v0, vcc_lo
; %bb.2795:                             ;   in Loop: Header=BB6_130 Depth=2
	s_or_b32 exec_lo, exec_lo, s15
.LBB6_2796:                             ;   in Loop: Header=BB6_130 Depth=2
	s_delay_alu instid0(SALU_CYCLE_1)
	s_or_b32 exec_lo, exec_lo, s11
.LBB6_2797:                             ;   in Loop: Header=BB6_130 Depth=2
	s_delay_alu instid0(SALU_CYCLE_1) | instskip(NEXT) | instid1(VALU_DEP_1)
	s_or_b32 exec_lo, exec_lo, s10
	v_dual_max_num_f32 v0, v1, v1 :: v_dual_max_num_f32 v1, v3, v3
	s_delay_alu instid0(VALU_DEP_1)
	v_min_num_f32_e32 v1, v1, v0
.LBB6_2798:                             ;   in Loop: Header=BB6_130 Depth=2
	s_delay_alu instid0(VALU_DEP_1) | instskip(SKIP_3) | instid1(VALU_DEP_2)
	v_and_b32_e32 v2, 0x7f800000, v1
	v_dual_mov_b32 v3, v25 :: v_dual_lshrrev_b32 v0, 24, v1
	v_and_b32_e32 v24, 0x7fffff, v1
                                        ; implicit-def: $vgpr86
	s_mov_b32 s10, exec_lo
	v_cmpx_ne_u64_e32 0x7f800000, v[2:3]
	s_xor_b32 s11, exec_lo, s10
	s_cbranch_execz .LBB6_2812
; %bb.2799:                             ;   in Loop: Header=BB6_130 Depth=2
	v_and_b32_e32 v2, 0x7fffffff, v1
	v_mov_b32_e32 v3, v25
	v_and_b32_e32 v6, 0x80, v0
                                        ; implicit-def: $vgpr86
	s_mov_b32 s10, exec_lo
	s_delay_alu instid0(VALU_DEP_2)
	v_cmpx_gt_u64_e32 0x47600001, v[2:3]
	s_xor_b32 s15, exec_lo, s10
	s_cbranch_execz .LBB6_2809
; %bb.2800:                             ;   in Loop: Header=BB6_130 Depth=2
	v_mov_b32_e32 v86, 0
	s_mov_b32 s42, exec_lo
	v_cmpx_ne_u32_e32 0, v1
	s_cbranch_execz .LBB6_2808
; %bb.2801:                             ;   in Loop: Header=BB6_130 Depth=2
	v_bfe_u32 v7, v1, 23, 8
	v_or_b32_e32 v1, 0x800000, v24
	s_delay_alu instid0(VALU_DEP_2) | instskip(SKIP_2) | instid1(VALU_DEP_2)
	v_cmp_gt_u32_e64 s10, 0x72, v7
	v_sub_nc_u32_e32 v0, 0x71, v7
	v_cmp_eq_u32_e32 vcc_lo, 0, v7
	v_cndmask_b32_e64 v0, 0, v0, s10
	s_delay_alu instid0(VALU_DEP_1) | instskip(NEXT) | instid1(VALU_DEP_1)
	v_cndmask_b32_e64 v86, v0, 0x70, vcc_lo
	v_dual_cndmask_b32 v24, v1, v24, vcc_lo :: v_dual_add_nc_u32 v0, 21, v86
	v_add_nc_u32_e32 v2, 20, v86
	s_delay_alu instid0(VALU_DEP_2) | instskip(NEXT) | instid1(VALU_DEP_2)
	v_lshlrev_b64_e64 v[0:1], v0, -1
	v_lshlrev_b64_e64 v[2:3], v2, 1
	s_delay_alu instid0(VALU_DEP_2) | instskip(NEXT) | instid1(VALU_DEP_3)
	v_bfi_b32 v1, v1, 0, 0
	v_bfi_b32 v0, v0, 0, v24
	s_delay_alu instid0(VALU_DEP_1) | instskip(SKIP_1) | instid1(VALU_DEP_1)
	v_cmp_eq_u64_e64 s10, v[0:1], v[2:3]
	v_lshrrev_b64 v[0:1], v86, v[24:25]
	v_mov_b64_e32 v[2:3], v[0:1]
	s_and_saveexec_b32 s43, s10
; %bb.2802:                             ;   in Loop: Header=BB6_130 Depth=2
	v_bfe_u32 v24, v0, 21, 1
	s_delay_alu instid0(VALU_DEP_1) | instskip(NEXT) | instid1(VALU_DEP_1)
	v_add_nc_u64_e32 v[2:3], v[0:1], v[24:25]
	v_add_nc_u64_e32 v[2:3], -1, v[2:3]
; %bb.2803:                             ;   in Loop: Header=BB6_130 Depth=2
	s_or_b32 exec_lo, exec_lo, s43
	v_add_nc_u32_e32 v1, 0xffffff81, v7
	v_lshrrev_b32_e32 v3, 23, v0
	s_mov_b32 s10, exec_lo
	s_delay_alu instid0(VALU_DEP_2) | instskip(NEXT) | instid1(VALU_DEP_1)
	v_cndmask_b32_e64 v1, v1, 0xffffff82, vcc_lo
	v_add3_u32 v3, v86, v1, v3
	v_and_b32_e32 v1, 0x1fffff, v2
                                        ; implicit-def: $vgpr2
	s_delay_alu instid0(VALU_DEP_1) | instskip(NEXT) | instid1(VALU_DEP_1)
	v_dual_add_nc_u32 v7, 14, v3 :: v_dual_add_nc_u32 v24, v1, v0
                                        ; implicit-def: $vgpr0_vgpr1
	v_cmpx_ne_u32_e32 0, v7
	s_xor_b32 s10, exec_lo, s10
; %bb.2804:                             ;   in Loop: Header=BB6_130 Depth=2
	s_delay_alu instid0(VALU_DEP_2) | instskip(SKIP_1) | instid1(VALU_DEP_1)
	v_cmp_lt_u64_e32 vcc_lo, 0xffffff, v[24:25]
	v_add_nc_u32_e32 v0, 15, v3
	v_cndmask_b32_e32 v2, v7, v0, vcc_lo
	v_cndmask_b32_e64 v0, 0, 1, vcc_lo
	s_delay_alu instid0(VALU_DEP_1)
	v_lshrrev_b64 v[0:1], v0, v[24:25]
; %bb.2805:                             ;   in Loop: Header=BB6_130 Depth=2
	s_and_not1_saveexec_b32 s10, s10
; %bb.2806:                             ;   in Loop: Header=BB6_130 Depth=2
	v_mov_b64_e32 v[0:1], v[24:25]
	v_bfe_u32 v2, v24, 23, 1
; %bb.2807:                             ;   in Loop: Header=BB6_130 Depth=2
	s_or_b32 exec_lo, exec_lo, s10
	s_delay_alu instid0(VALU_DEP_2) | instskip(NEXT) | instid1(VALU_DEP_2)
	v_lshrrev_b64 v[0:1], 21, v[0:1]
	v_cmp_gt_i32_e32 vcc_lo, 32, v2
	v_min_i32_e32 v3, 31, v2
	v_cmp_eq_u32_e64 s10, 0, v2
	s_delay_alu instid0(VALU_DEP_2) | instskip(SKIP_1) | instid1(VALU_DEP_2)
	v_dual_cndmask_b32 v1, 0, v1, vcc_lo :: v_dual_lshlrev_b32 v3, 2, v3
	v_cndmask_b32_e32 v0, 3, v0, vcc_lo
	v_and_b32_e32 v3, 0xfc, v3
	s_delay_alu instid0(VALU_DEP_2) | instskip(NEXT) | instid1(VALU_DEP_2)
	v_cmp_eq_u64_e32 vcc_lo, 0, v[0:1]
	v_and_or_b32 v0, v0, 3, v3
	s_and_b32 s10, s10, vcc_lo
	s_delay_alu instid0(VALU_DEP_1) | instid1(SALU_CYCLE_1)
	v_cndmask_b32_e64 v0, v0, 0, s10
	s_delay_alu instid0(VALU_DEP_1)
	v_or_b32_e32 v86, v0, v6
.LBB6_2808:                             ;   in Loop: Header=BB6_130 Depth=2
	s_or_b32 exec_lo, exec_lo, s42
                                        ; implicit-def: $vgpr6
.LBB6_2809:                             ;   in Loop: Header=BB6_130 Depth=2
	s_and_not1_saveexec_b32 s10, s15
; %bb.2810:                             ;   in Loop: Header=BB6_130 Depth=2
	v_or_b32_e32 v86, 0x7b, v6
; %bb.2811:                             ;   in Loop: Header=BB6_130 Depth=2
	s_or_b32 exec_lo, exec_lo, s10
                                        ; implicit-def: $vgpr1
                                        ; implicit-def: $vgpr0
.LBB6_2812:                             ;   in Loop: Header=BB6_130 Depth=2
	s_and_not1_saveexec_b32 s10, s11
	s_cbranch_execz .LBB6_2818
; %bb.2813:                             ;   in Loop: Header=BB6_130 Depth=2
	s_mov_b32 s11, exec_lo
                                        ; implicit-def: $vgpr86
	v_cmpx_ne_u64_e32 0, v[24:25]
	s_xor_b32 s11, exec_lo, s11
; %bb.2814:                             ;   in Loop: Header=BB6_130 Depth=2
	v_or_b32_e32 v86, 0x7f, v0
                                        ; implicit-def: $vgpr1
; %bb.2815:                             ;   in Loop: Header=BB6_130 Depth=2
	s_and_not1_saveexec_b32 s11, s11
; %bb.2816:                             ;   in Loop: Header=BB6_130 Depth=2
	v_cmp_lt_i32_e32 vcc_lo, -1, v1
	v_cndmask_b32_e32 v86, 0xfc, v93, vcc_lo
; %bb.2817:                             ;   in Loop: Header=BB6_130 Depth=2
	s_or_b32 exec_lo, exec_lo, s11
.LBB6_2818:                             ;   in Loop: Header=BB6_130 Depth=2
	s_delay_alu instid0(SALU_CYCLE_1) | instskip(SKIP_4) | instid1(VALU_DEP_2)
	s_or_b32 exec_lo, exec_lo, s10
	v_lshrrev_b32_e32 v2, 16, v4
	v_lshrrev_b32_e32 v0, 16, v20
	s_and_not1_b32 vcc_lo, exec_lo, s14
	s_mov_b32 s11, -1
                                        ; implicit-def: $vgpr3
	v_and_b32_e32 v1, 0xff, v2
	s_delay_alu instid0(VALU_DEP_1)
	v_cmp_ne_u16_e64 s10, 0, v1
	s_cbranch_vccnz .LBB6_2840
; %bb.2819:                             ;   in Loop: Header=BB6_130 Depth=2
	v_dual_mov_b32 v6, 0 :: v_dual_mov_b32 v3, 0
	s_and_saveexec_b32 s15, s10
	s_cbranch_execz .LBB6_2829
; %bb.2820:                             ;   in Loop: Header=BB6_130 Depth=2
	v_bfrev_b32_e32 v3, 1
	s_mov_b32 s42, exec_lo
	v_cmpx_ne_u16_e32 0x80, v1
	s_cbranch_execz .LBB6_2828
; %bb.2821:                             ;   in Loop: Header=BB6_130 Depth=2
	v_and_b32_e32 v3, 0x7c0000, v4
	v_bfe_u32 v7, v4, 16, 2
	s_delay_alu instid0(VALU_DEP_2) | instskip(SKIP_1) | instid1(SALU_CYCLE_1)
	v_cmp_ne_u32_e32 vcc_lo, 0x7c0000, v3
                                        ; implicit-def: $vgpr3
	s_and_saveexec_b32 s11, vcc_lo
	s_xor_b32 s11, exec_lo, s11
	s_cbranch_execz .LBB6_2825
; %bb.2822:                             ;   in Loop: Header=BB6_130 Depth=2
	v_bfe_u32 v3, v4, 18, 5
	s_mov_b32 s43, exec_lo
	s_delay_alu instid0(VALU_DEP_1)
	v_cmpx_eq_u32_e32 0, v3
; %bb.2823:                             ;   in Loop: Header=BB6_130 Depth=2
	v_clz_i32_u32_e32 v3, v7
	s_delay_alu instid0(VALU_DEP_1) | instskip(NEXT) | instid1(VALU_DEP_1)
	v_min_u32_e32 v3, 32, v3
	v_subrev_nc_u32_e32 v7, 29, v3
	s_delay_alu instid0(VALU_DEP_1) | instskip(NEXT) | instid1(VALU_DEP_1)
	v_lshlrev_b64_e32 v[96:97], v7, v[2:3]
	v_dual_sub_nc_u32 v3, 30, v3 :: v_dual_bitop2_b32 v7, 3, v96 bitop3:0x40
; %bb.2824:                             ;   in Loop: Header=BB6_130 Depth=2
	s_or_b32 exec_lo, exec_lo, s43
	v_lshlrev_b32_e32 v24, 24, v2
	s_delay_alu instid0(VALU_DEP_1) | instskip(NEXT) | instid1(VALU_DEP_1)
	v_and_b32_e32 v24, 0x80000000, v24
	v_lshl_add_u32 v3, v3, 23, v24
	s_delay_alu instid0(VALU_DEP_1) | instskip(NEXT) | instid1(VALU_DEP_1)
	v_lshl_or_b32 v3, v7, 21, v3
                                        ; implicit-def: $vgpr7
	v_add_nc_u32_e32 v3, 0x38000000, v3
.LBB6_2825:                             ;   in Loop: Header=BB6_130 Depth=2
	s_and_not1_saveexec_b32 s43, s11
; %bb.2826:                             ;   in Loop: Header=BB6_130 Depth=2
	v_bfe_i32 v3, v2, 0, 8
	v_cmp_eq_u32_e32 vcc_lo, 0, v7
	s_delay_alu instid0(VALU_DEP_2) | instskip(NEXT) | instid1(VALU_DEP_1)
	v_cmp_lt_i16_e64 s11, -1, v3
	v_cndmask_b32_e64 v3, 0xff800000, v62, s11
	s_delay_alu instid0(VALU_DEP_1)
	v_cndmask_b32_e32 v3, 0x7f800001, v3, vcc_lo
; %bb.2827:                             ;   in Loop: Header=BB6_130 Depth=2
	s_or_b32 exec_lo, exec_lo, s43
.LBB6_2828:                             ;   in Loop: Header=BB6_130 Depth=2
	s_delay_alu instid0(SALU_CYCLE_1)
	s_or_b32 exec_lo, exec_lo, s42
.LBB6_2829:                             ;   in Loop: Header=BB6_130 Depth=2
	s_delay_alu instid0(SALU_CYCLE_1) | instskip(SKIP_2) | instid1(VALU_DEP_1)
	s_or_b32 exec_lo, exec_lo, s15
	v_and_b32_e32 v7, 0xff, v0
	s_mov_b32 s15, exec_lo
	v_cmpx_ne_u16_e32 0, v7
	s_cbranch_execz .LBB6_2839
; %bb.2830:                             ;   in Loop: Header=BB6_130 Depth=2
	v_bfrev_b32_e32 v6, 1
	s_mov_b32 s42, exec_lo
	v_cmpx_ne_u16_e32 0x80, v7
	s_cbranch_execz .LBB6_2838
; %bb.2831:                             ;   in Loop: Header=BB6_130 Depth=2
	v_and_b32_e32 v6, 0x7c0000, v20
	v_bfe_u32 v7, v20, 16, 2
	s_delay_alu instid0(VALU_DEP_2) | instskip(SKIP_1) | instid1(SALU_CYCLE_1)
	v_cmp_ne_u32_e32 vcc_lo, 0x7c0000, v6
                                        ; implicit-def: $vgpr6
	s_and_saveexec_b32 s11, vcc_lo
	s_xor_b32 s11, exec_lo, s11
	s_cbranch_execz .LBB6_2835
; %bb.2832:                             ;   in Loop: Header=BB6_130 Depth=2
	v_bfe_u32 v6, v20, 18, 5
	s_mov_b32 s43, exec_lo
	s_delay_alu instid0(VALU_DEP_1)
	v_cmpx_eq_u32_e32 0, v6
; %bb.2833:                             ;   in Loop: Header=BB6_130 Depth=2
	v_clz_i32_u32_e32 v6, v7
	s_delay_alu instid0(VALU_DEP_1) | instskip(NEXT) | instid1(VALU_DEP_1)
	v_min_u32_e32 v6, 32, v6
	v_subrev_nc_u32_e32 v7, 29, v6
	s_delay_alu instid0(VALU_DEP_1) | instskip(NEXT) | instid1(VALU_DEP_1)
	v_lshlrev_b64_e32 v[96:97], v7, v[0:1]
	v_dual_sub_nc_u32 v6, 30, v6 :: v_dual_bitop2_b32 v7, 3, v96 bitop3:0x40
; %bb.2834:                             ;   in Loop: Header=BB6_130 Depth=2
	s_or_b32 exec_lo, exec_lo, s43
	v_lshlrev_b32_e32 v24, 24, v0
	s_delay_alu instid0(VALU_DEP_1) | instskip(NEXT) | instid1(VALU_DEP_1)
	v_and_b32_e32 v24, 0x80000000, v24
	v_lshl_add_u32 v6, v6, 23, v24
	s_delay_alu instid0(VALU_DEP_1) | instskip(NEXT) | instid1(VALU_DEP_1)
	v_lshl_or_b32 v6, v7, 21, v6
                                        ; implicit-def: $vgpr7
	v_add_nc_u32_e32 v6, 0x38000000, v6
.LBB6_2835:                             ;   in Loop: Header=BB6_130 Depth=2
	s_and_not1_saveexec_b32 s43, s11
; %bb.2836:                             ;   in Loop: Header=BB6_130 Depth=2
	v_bfe_i32 v6, v0, 0, 8
	v_cmp_eq_u32_e32 vcc_lo, 0, v7
	s_delay_alu instid0(VALU_DEP_2) | instskip(NEXT) | instid1(VALU_DEP_1)
	v_cmp_lt_i16_e64 s11, -1, v6
	v_cndmask_b32_e64 v6, 0xff800000, v62, s11
	s_delay_alu instid0(VALU_DEP_1)
	v_cndmask_b32_e32 v6, 0x7f800001, v6, vcc_lo
; %bb.2837:                             ;   in Loop: Header=BB6_130 Depth=2
	s_or_b32 exec_lo, exec_lo, s43
.LBB6_2838:                             ;   in Loop: Header=BB6_130 Depth=2
	s_delay_alu instid0(SALU_CYCLE_1)
	s_or_b32 exec_lo, exec_lo, s42
.LBB6_2839:                             ;   in Loop: Header=BB6_130 Depth=2
	s_delay_alu instid0(SALU_CYCLE_1) | instskip(NEXT) | instid1(VALU_DEP_1)
	s_or_b32 exec_lo, exec_lo, s15
	v_dual_max_num_f32 v6, v6, v6 :: v_dual_max_num_f32 v3, v3, v3
	s_mov_b32 s11, 0
	s_delay_alu instid0(VALU_DEP_1)
	v_max_num_f32_e32 v3, v3, v6
.LBB6_2840:                             ;   in Loop: Header=BB6_130 Depth=2
	s_and_b32 vcc_lo, exec_lo, s11
	s_cbranch_vccz .LBB6_2862
; %bb.2841:                             ;   in Loop: Header=BB6_130 Depth=2
	v_dual_mov_b32 v6, 0 :: v_dual_mov_b32 v3, 0
	s_and_saveexec_b32 s11, s10
	s_cbranch_execz .LBB6_2851
; %bb.2842:                             ;   in Loop: Header=BB6_130 Depth=2
	v_bfrev_b32_e32 v3, 1
	s_mov_b32 s10, exec_lo
	v_cmpx_ne_u16_e32 0x80, v1
	s_cbranch_execz .LBB6_2850
; %bb.2843:                             ;   in Loop: Header=BB6_130 Depth=2
	v_and_b32_e32 v3, 0x7c0000, v4
	v_bfe_u32 v1, v4, 16, 2
	s_delay_alu instid0(VALU_DEP_2) | instskip(SKIP_1) | instid1(SALU_CYCLE_1)
	v_cmp_ne_u32_e32 vcc_lo, 0x7c0000, v3
                                        ; implicit-def: $vgpr3
	s_and_saveexec_b32 s15, vcc_lo
	s_xor_b32 s15, exec_lo, s15
	s_cbranch_execz .LBB6_2847
; %bb.2844:                             ;   in Loop: Header=BB6_130 Depth=2
	v_bfe_u32 v3, v4, 18, 5
	s_mov_b32 s42, exec_lo
	s_delay_alu instid0(VALU_DEP_1)
	v_cmpx_eq_u32_e32 0, v3
; %bb.2845:                             ;   in Loop: Header=BB6_130 Depth=2
	v_clz_i32_u32_e32 v1, v1
	s_delay_alu instid0(VALU_DEP_1) | instskip(NEXT) | instid1(VALU_DEP_1)
	v_min_u32_e32 v1, 32, v1
	v_subrev_nc_u32_e32 v3, 29, v1
	s_delay_alu instid0(VALU_DEP_1) | instskip(NEXT) | instid1(VALU_DEP_1)
	v_lshlrev_b64_e32 v[96:97], v3, v[2:3]
	v_dual_sub_nc_u32 v3, 30, v1 :: v_dual_bitop2_b32 v1, 3, v96 bitop3:0x40
; %bb.2846:                             ;   in Loop: Header=BB6_130 Depth=2
	s_or_b32 exec_lo, exec_lo, s42
	v_lshlrev_b32_e32 v2, 24, v2
	s_delay_alu instid0(VALU_DEP_1) | instskip(NEXT) | instid1(VALU_DEP_1)
	v_and_b32_e32 v2, 0x80000000, v2
	v_lshl_add_u32 v2, v3, 23, v2
	s_delay_alu instid0(VALU_DEP_1) | instskip(NEXT) | instid1(VALU_DEP_1)
	v_lshl_or_b32 v1, v1, 21, v2
                                        ; implicit-def: $vgpr2
	v_add_nc_u32_e32 v3, 0x38000000, v1
                                        ; implicit-def: $vgpr1
.LBB6_2847:                             ;   in Loop: Header=BB6_130 Depth=2
	s_and_not1_saveexec_b32 s15, s15
; %bb.2848:                             ;   in Loop: Header=BB6_130 Depth=2
	v_bfe_i32 v2, v2, 0, 8
	s_delay_alu instid0(VALU_DEP_1) | instskip(SKIP_2) | instid1(VALU_DEP_2)
	v_cmp_lt_i16_e32 vcc_lo, -1, v2
	v_cndmask_b32_e32 v2, 0xff800000, v62, vcc_lo
	v_cmp_eq_u32_e32 vcc_lo, 0, v1
	v_cndmask_b32_e32 v3, 0x7f800001, v2, vcc_lo
; %bb.2849:                             ;   in Loop: Header=BB6_130 Depth=2
	s_or_b32 exec_lo, exec_lo, s15
.LBB6_2850:                             ;   in Loop: Header=BB6_130 Depth=2
	s_delay_alu instid0(SALU_CYCLE_1)
	s_or_b32 exec_lo, exec_lo, s10
.LBB6_2851:                             ;   in Loop: Header=BB6_130 Depth=2
	s_delay_alu instid0(SALU_CYCLE_1) | instskip(SKIP_2) | instid1(VALU_DEP_1)
	s_or_b32 exec_lo, exec_lo, s11
	v_and_b32_e32 v1, 0xff, v0
	s_mov_b32 s10, exec_lo
	v_cmpx_ne_u16_e32 0, v1
	s_cbranch_execz .LBB6_2861
; %bb.2852:                             ;   in Loop: Header=BB6_130 Depth=2
	v_bfrev_b32_e32 v6, 1
	s_mov_b32 s11, exec_lo
	v_cmpx_ne_u16_e32 0x80, v1
	s_cbranch_execz .LBB6_2860
; %bb.2853:                             ;   in Loop: Header=BB6_130 Depth=2
	v_and_b32_e32 v2, 0x7c0000, v20
	v_bfe_u32 v1, v20, 16, 2
	s_mov_b32 s15, exec_lo
                                        ; implicit-def: $vgpr6
	s_delay_alu instid0(VALU_DEP_2)
	v_cmpx_ne_u32_e32 0x7c0000, v2
	s_xor_b32 s15, exec_lo, s15
	s_cbranch_execz .LBB6_2857
; %bb.2854:                             ;   in Loop: Header=BB6_130 Depth=2
	v_bfe_u32 v2, v20, 18, 5
	s_mov_b32 s42, exec_lo
	s_delay_alu instid0(VALU_DEP_1)
	v_cmpx_eq_u32_e32 0, v2
; %bb.2855:                             ;   in Loop: Header=BB6_130 Depth=2
	v_clz_i32_u32_e32 v1, v1
	s_delay_alu instid0(VALU_DEP_1) | instskip(NEXT) | instid1(VALU_DEP_1)
	v_min_u32_e32 v1, 32, v1
	v_subrev_nc_u32_e32 v2, 29, v1
	s_delay_alu instid0(VALU_DEP_1) | instskip(NEXT) | instid1(VALU_DEP_1)
	v_lshlrev_b64_e32 v[6:7], v2, v[0:1]
	v_dual_sub_nc_u32 v2, 30, v1 :: v_dual_bitop2_b32 v1, 3, v6 bitop3:0x40
; %bb.2856:                             ;   in Loop: Header=BB6_130 Depth=2
	s_or_b32 exec_lo, exec_lo, s42
	v_lshlrev_b32_e32 v0, 24, v0
	s_delay_alu instid0(VALU_DEP_1) | instskip(NEXT) | instid1(VALU_DEP_1)
	v_and_b32_e32 v0, 0x80000000, v0
	v_lshl_add_u32 v0, v2, 23, v0
	s_delay_alu instid0(VALU_DEP_1) | instskip(NEXT) | instid1(VALU_DEP_1)
	v_lshl_or_b32 v0, v1, 21, v0
                                        ; implicit-def: $vgpr1
	v_add_nc_u32_e32 v6, 0x38000000, v0
                                        ; implicit-def: $vgpr0
.LBB6_2857:                             ;   in Loop: Header=BB6_130 Depth=2
	s_and_not1_saveexec_b32 s15, s15
; %bb.2858:                             ;   in Loop: Header=BB6_130 Depth=2
	v_bfe_i32 v0, v0, 0, 8
	s_delay_alu instid0(VALU_DEP_1) | instskip(SKIP_2) | instid1(VALU_DEP_2)
	v_cmp_lt_i16_e32 vcc_lo, -1, v0
	v_cndmask_b32_e32 v0, 0xff800000, v62, vcc_lo
	v_cmp_eq_u32_e32 vcc_lo, 0, v1
	v_cndmask_b32_e32 v6, 0x7f800001, v0, vcc_lo
; %bb.2859:                             ;   in Loop: Header=BB6_130 Depth=2
	s_or_b32 exec_lo, exec_lo, s15
.LBB6_2860:                             ;   in Loop: Header=BB6_130 Depth=2
	s_delay_alu instid0(SALU_CYCLE_1)
	s_or_b32 exec_lo, exec_lo, s11
.LBB6_2861:                             ;   in Loop: Header=BB6_130 Depth=2
	s_delay_alu instid0(SALU_CYCLE_1) | instskip(NEXT) | instid1(VALU_DEP_1)
	s_or_b32 exec_lo, exec_lo, s10
	v_dual_max_num_f32 v0, v6, v6 :: v_dual_max_num_f32 v1, v3, v3
	s_delay_alu instid0(VALU_DEP_1)
	v_min_num_f32_e32 v3, v1, v0
.LBB6_2862:                             ;   in Loop: Header=BB6_130 Depth=2
	s_delay_alu instid0(VALU_DEP_1) | instskip(SKIP_2) | instid1(VALU_DEP_2)
	v_and_b32_e32 v0, 0x7f800000, v3
	v_mov_b32_e32 v1, v25
	v_and_b32_e32 v24, 0x7fffff, v3
                                        ; implicit-def: $vgpr87
	v_cmp_ne_u64_e32 vcc_lo, 0x7f800000, v[0:1]
	v_lshrrev_b32_e32 v0, 24, v3
	s_and_saveexec_b32 s10, vcc_lo
	s_delay_alu instid0(SALU_CYCLE_1)
	s_xor_b32 s11, exec_lo, s10
	s_cbranch_execz .LBB6_2876
; %bb.2863:                             ;   in Loop: Header=BB6_130 Depth=2
	v_and_b32_e32 v6, 0x7fffffff, v3
	v_mov_b32_e32 v7, v25
                                        ; implicit-def: $vgpr87
	s_delay_alu instid0(VALU_DEP_1) | instskip(SKIP_2) | instid1(SALU_CYCLE_1)
	v_cmp_gt_u64_e32 vcc_lo, 0x47600001, v[6:7]
	v_and_b32_e32 v6, 0x80, v0
	s_and_saveexec_b32 s10, vcc_lo
	s_xor_b32 s15, exec_lo, s10
	s_cbranch_execz .LBB6_2873
; %bb.2864:                             ;   in Loop: Header=BB6_130 Depth=2
	v_mov_b32_e32 v87, 0
	s_mov_b32 s42, exec_lo
	v_cmpx_ne_u32_e32 0, v3
	s_cbranch_execz .LBB6_2872
; %bb.2865:                             ;   in Loop: Header=BB6_130 Depth=2
	v_bfe_u32 v7, v3, 23, 8
	v_or_b32_e32 v1, 0x800000, v24
	s_delay_alu instid0(VALU_DEP_2) | instskip(SKIP_2) | instid1(VALU_DEP_2)
	v_cmp_gt_u32_e64 s10, 0x72, v7
	v_sub_nc_u32_e32 v0, 0x71, v7
	v_cmp_eq_u32_e32 vcc_lo, 0, v7
	v_cndmask_b32_e64 v0, 0, v0, s10
	s_delay_alu instid0(VALU_DEP_1) | instskip(NEXT) | instid1(VALU_DEP_1)
	v_cndmask_b32_e64 v87, v0, 0x70, vcc_lo
	v_dual_cndmask_b32 v24, v1, v24, vcc_lo :: v_dual_add_nc_u32 v0, 21, v87
	v_add_nc_u32_e32 v2, 20, v87
	s_delay_alu instid0(VALU_DEP_2) | instskip(NEXT) | instid1(VALU_DEP_2)
	v_lshlrev_b64_e64 v[0:1], v0, -1
	v_lshlrev_b64_e64 v[2:3], v2, 1
	s_delay_alu instid0(VALU_DEP_2) | instskip(NEXT) | instid1(VALU_DEP_3)
	v_bfi_b32 v1, v1, 0, 0
	v_bfi_b32 v0, v0, 0, v24
	s_delay_alu instid0(VALU_DEP_1) | instskip(SKIP_1) | instid1(VALU_DEP_1)
	v_cmp_eq_u64_e64 s10, v[0:1], v[2:3]
	v_lshrrev_b64 v[0:1], v87, v[24:25]
	v_mov_b64_e32 v[2:3], v[0:1]
	s_and_saveexec_b32 s43, s10
; %bb.2866:                             ;   in Loop: Header=BB6_130 Depth=2
	v_bfe_u32 v24, v0, 21, 1
	s_delay_alu instid0(VALU_DEP_1) | instskip(NEXT) | instid1(VALU_DEP_1)
	v_add_nc_u64_e32 v[2:3], v[0:1], v[24:25]
	v_add_nc_u64_e32 v[2:3], -1, v[2:3]
; %bb.2867:                             ;   in Loop: Header=BB6_130 Depth=2
	s_or_b32 exec_lo, exec_lo, s43
	v_add_nc_u32_e32 v1, 0xffffff81, v7
	v_lshrrev_b32_e32 v3, 23, v0
	s_mov_b32 s10, exec_lo
	s_delay_alu instid0(VALU_DEP_2) | instskip(NEXT) | instid1(VALU_DEP_1)
	v_cndmask_b32_e64 v1, v1, 0xffffff82, vcc_lo
	v_add3_u32 v7, v87, v1, v3
	v_and_b32_e32 v1, 0x1fffff, v2
                                        ; implicit-def: $vgpr2
	s_delay_alu instid0(VALU_DEP_1) | instskip(NEXT) | instid1(VALU_DEP_1)
	v_dual_add_nc_u32 v3, 14, v7 :: v_dual_add_nc_u32 v24, v1, v0
                                        ; implicit-def: $vgpr0_vgpr1
	v_cmpx_ne_u32_e32 0, v3
	s_xor_b32 s10, exec_lo, s10
; %bb.2868:                             ;   in Loop: Header=BB6_130 Depth=2
	s_delay_alu instid0(VALU_DEP_2) | instskip(SKIP_1) | instid1(VALU_DEP_1)
	v_cmp_lt_u64_e32 vcc_lo, 0xffffff, v[24:25]
	v_add_nc_u32_e32 v0, 15, v7
	v_cndmask_b32_e32 v2, v3, v0, vcc_lo
	v_cndmask_b32_e64 v0, 0, 1, vcc_lo
	s_delay_alu instid0(VALU_DEP_1)
	v_lshrrev_b64 v[0:1], v0, v[24:25]
; %bb.2869:                             ;   in Loop: Header=BB6_130 Depth=2
	s_and_not1_saveexec_b32 s10, s10
; %bb.2870:                             ;   in Loop: Header=BB6_130 Depth=2
	v_mov_b64_e32 v[0:1], v[24:25]
	v_bfe_u32 v2, v24, 23, 1
; %bb.2871:                             ;   in Loop: Header=BB6_130 Depth=2
	s_or_b32 exec_lo, exec_lo, s10
	s_delay_alu instid0(VALU_DEP_2) | instskip(NEXT) | instid1(VALU_DEP_2)
	v_lshrrev_b64 v[0:1], 21, v[0:1]
	v_cmp_gt_i32_e32 vcc_lo, 32, v2
	v_min_i32_e32 v3, 31, v2
	v_cmp_eq_u32_e64 s10, 0, v2
	s_delay_alu instid0(VALU_DEP_2) | instskip(SKIP_1) | instid1(VALU_DEP_2)
	v_dual_cndmask_b32 v1, 0, v1, vcc_lo :: v_dual_lshlrev_b32 v3, 2, v3
	v_cndmask_b32_e32 v0, 3, v0, vcc_lo
	v_and_b32_e32 v3, 0xfc, v3
	s_delay_alu instid0(VALU_DEP_2) | instskip(NEXT) | instid1(VALU_DEP_2)
	v_cmp_eq_u64_e32 vcc_lo, 0, v[0:1]
	v_and_or_b32 v0, v0, 3, v3
	s_and_b32 s10, s10, vcc_lo
	s_delay_alu instid0(VALU_DEP_1) | instid1(SALU_CYCLE_1)
	v_cndmask_b32_e64 v0, v0, 0, s10
	s_delay_alu instid0(VALU_DEP_1)
	v_or_b32_e32 v87, v0, v6
.LBB6_2872:                             ;   in Loop: Header=BB6_130 Depth=2
	s_or_b32 exec_lo, exec_lo, s42
                                        ; implicit-def: $vgpr6
.LBB6_2873:                             ;   in Loop: Header=BB6_130 Depth=2
	s_and_not1_saveexec_b32 s10, s15
; %bb.2874:                             ;   in Loop: Header=BB6_130 Depth=2
	v_or_b32_e32 v87, 0x7b, v6
; %bb.2875:                             ;   in Loop: Header=BB6_130 Depth=2
	s_or_b32 exec_lo, exec_lo, s10
                                        ; implicit-def: $vgpr3
                                        ; implicit-def: $vgpr0
.LBB6_2876:                             ;   in Loop: Header=BB6_130 Depth=2
	s_and_not1_saveexec_b32 s10, s11
	s_cbranch_execz .LBB6_2882
; %bb.2877:                             ;   in Loop: Header=BB6_130 Depth=2
	s_mov_b32 s11, exec_lo
                                        ; implicit-def: $vgpr87
	v_cmpx_ne_u64_e32 0, v[24:25]
	s_xor_b32 s11, exec_lo, s11
; %bb.2878:                             ;   in Loop: Header=BB6_130 Depth=2
	v_or_b32_e32 v87, 0x7f, v0
                                        ; implicit-def: $vgpr3
; %bb.2879:                             ;   in Loop: Header=BB6_130 Depth=2
	s_and_not1_saveexec_b32 s11, s11
; %bb.2880:                             ;   in Loop: Header=BB6_130 Depth=2
	v_cmp_lt_i32_e32 vcc_lo, -1, v3
	v_cndmask_b32_e32 v87, 0xfc, v93, vcc_lo
; %bb.2881:                             ;   in Loop: Header=BB6_130 Depth=2
	s_or_b32 exec_lo, exec_lo, s11
.LBB6_2882:                             ;   in Loop: Header=BB6_130 Depth=2
	s_delay_alu instid0(SALU_CYCLE_1)
	s_or_b32 exec_lo, exec_lo, s10
	v_lshrrev_b32_e32 v2, 24, v4
	v_lshrrev_b32_e32 v0, 24, v20
	v_cmp_lt_u32_e64 s10, 0xffffff, v4
	s_and_not1_b32 vcc_lo, exec_lo, s14
	s_mov_b32 s11, -1
                                        ; implicit-def: $vgpr1
	s_cbranch_vccnz .LBB6_2904
; %bb.2883:                             ;   in Loop: Header=BB6_130 Depth=2
	v_dual_mov_b32 v3, 0 :: v_dual_mov_b32 v1, 0
	s_and_saveexec_b32 s15, s10
	s_cbranch_execz .LBB6_2893
; %bb.2884:                             ;   in Loop: Header=BB6_130 Depth=2
	v_bfrev_b32_e32 v1, 1
	s_mov_b32 s42, exec_lo
	v_cmpx_ne_u32_e32 0x80, v2
	s_cbranch_execz .LBB6_2892
; %bb.2885:                             ;   in Loop: Header=BB6_130 Depth=2
	v_and_b32_e32 v1, 0x7c000000, v4
	v_bfe_u32 v6, v4, 24, 2
	s_delay_alu instid0(VALU_DEP_2) | instskip(SKIP_1) | instid1(SALU_CYCLE_1)
	v_cmp_ne_u32_e32 vcc_lo, 0x7c000000, v1
                                        ; implicit-def: $vgpr1
	s_and_saveexec_b32 s11, vcc_lo
	s_xor_b32 s11, exec_lo, s11
	s_cbranch_execz .LBB6_2889
; %bb.2886:                             ;   in Loop: Header=BB6_130 Depth=2
	v_bfe_u32 v1, v4, 26, 5
	s_mov_b32 s43, exec_lo
	s_delay_alu instid0(VALU_DEP_1)
	v_cmpx_eq_u32_e32 0, v1
; %bb.2887:                             ;   in Loop: Header=BB6_130 Depth=2
	v_clz_i32_u32_e32 v1, v6
	s_delay_alu instid0(VALU_DEP_1) | instskip(NEXT) | instid1(VALU_DEP_1)
	v_min_u32_e32 v1, 32, v1
	v_subrev_nc_u32_e32 v6, 29, v1
	s_delay_alu instid0(VALU_DEP_1) | instskip(NEXT) | instid1(VALU_DEP_1)
	v_lshlrev_b64_e32 v[6:7], v6, v[2:3]
	v_dual_sub_nc_u32 v1, 30, v1 :: v_dual_bitop2_b32 v6, 3, v6 bitop3:0x40
; %bb.2888:                             ;   in Loop: Header=BB6_130 Depth=2
	s_or_b32 exec_lo, exec_lo, s43
	v_and_b32_e32 v7, 0x80000000, v4
	s_delay_alu instid0(VALU_DEP_1) | instskip(NEXT) | instid1(VALU_DEP_1)
	v_lshl_add_u32 v1, v1, 23, v7
	v_lshl_or_b32 v1, v6, 21, v1
                                        ; implicit-def: $vgpr6
	s_delay_alu instid0(VALU_DEP_1)
	v_add_nc_u32_e32 v1, 0x38000000, v1
.LBB6_2889:                             ;   in Loop: Header=BB6_130 Depth=2
	s_and_not1_saveexec_b32 s43, s11
; %bb.2890:                             ;   in Loop: Header=BB6_130 Depth=2
	v_cmp_lt_i32_e64 s11, -1, v4
	v_cmp_eq_u32_e32 vcc_lo, 0, v6
	s_delay_alu instid0(VALU_DEP_2) | instskip(NEXT) | instid1(VALU_DEP_1)
	v_cndmask_b32_e64 v1, 0xff800000, v62, s11
	v_cndmask_b32_e32 v1, 0x7f800001, v1, vcc_lo
; %bb.2891:                             ;   in Loop: Header=BB6_130 Depth=2
	s_or_b32 exec_lo, exec_lo, s43
.LBB6_2892:                             ;   in Loop: Header=BB6_130 Depth=2
	s_delay_alu instid0(SALU_CYCLE_1)
	s_or_b32 exec_lo, exec_lo, s42
.LBB6_2893:                             ;   in Loop: Header=BB6_130 Depth=2
	s_delay_alu instid0(SALU_CYCLE_1) | instskip(NEXT) | instid1(SALU_CYCLE_1)
	s_or_b32 exec_lo, exec_lo, s15
	s_mov_b32 s15, exec_lo
	v_cmpx_lt_u32_e32 0xffffff, v20
	s_cbranch_execz .LBB6_2903
; %bb.2894:                             ;   in Loop: Header=BB6_130 Depth=2
	v_bfrev_b32_e32 v3, 1
	s_mov_b32 s42, exec_lo
	v_cmpx_ne_u32_e32 0x80, v0
	s_cbranch_execz .LBB6_2902
; %bb.2895:                             ;   in Loop: Header=BB6_130 Depth=2
	v_and_b32_e32 v3, 0x7c000000, v20
	v_bfe_u32 v6, v20, 24, 2
	s_delay_alu instid0(VALU_DEP_2) | instskip(SKIP_1) | instid1(SALU_CYCLE_1)
	v_cmp_ne_u32_e32 vcc_lo, 0x7c000000, v3
                                        ; implicit-def: $vgpr3
	s_and_saveexec_b32 s11, vcc_lo
	s_xor_b32 s11, exec_lo, s11
	s_cbranch_execz .LBB6_2899
; %bb.2896:                             ;   in Loop: Header=BB6_130 Depth=2
	v_bfe_u32 v3, v20, 26, 5
	s_mov_b32 s43, exec_lo
	s_delay_alu instid0(VALU_DEP_1)
	v_cmpx_eq_u32_e32 0, v3
; %bb.2897:                             ;   in Loop: Header=BB6_130 Depth=2
	v_clz_i32_u32_e32 v3, v6
	s_delay_alu instid0(VALU_DEP_1) | instskip(NEXT) | instid1(VALU_DEP_1)
	v_min_u32_e32 v3, 32, v3
	v_subrev_nc_u32_e32 v6, 29, v3
	s_delay_alu instid0(VALU_DEP_1) | instskip(NEXT) | instid1(VALU_DEP_1)
	v_lshlrev_b64_e32 v[6:7], v6, v[0:1]
	v_dual_sub_nc_u32 v3, 30, v3 :: v_dual_bitop2_b32 v6, 3, v6 bitop3:0x40
; %bb.2898:                             ;   in Loop: Header=BB6_130 Depth=2
	s_or_b32 exec_lo, exec_lo, s43
	v_and_b32_e32 v7, 0x80000000, v20
	s_delay_alu instid0(VALU_DEP_1) | instskip(NEXT) | instid1(VALU_DEP_1)
	v_lshl_add_u32 v3, v3, 23, v7
	v_lshl_or_b32 v3, v6, 21, v3
                                        ; implicit-def: $vgpr6
	s_delay_alu instid0(VALU_DEP_1)
	v_add_nc_u32_e32 v3, 0x38000000, v3
.LBB6_2899:                             ;   in Loop: Header=BB6_130 Depth=2
	s_and_not1_saveexec_b32 s43, s11
; %bb.2900:                             ;   in Loop: Header=BB6_130 Depth=2
	v_cmp_lt_i32_e64 s11, -1, v20
	v_cmp_eq_u32_e32 vcc_lo, 0, v6
	s_delay_alu instid0(VALU_DEP_2) | instskip(NEXT) | instid1(VALU_DEP_1)
	v_cndmask_b32_e64 v3, 0xff800000, v62, s11
	v_cndmask_b32_e32 v3, 0x7f800001, v3, vcc_lo
; %bb.2901:                             ;   in Loop: Header=BB6_130 Depth=2
	s_or_b32 exec_lo, exec_lo, s43
.LBB6_2902:                             ;   in Loop: Header=BB6_130 Depth=2
	s_delay_alu instid0(SALU_CYCLE_1)
	s_or_b32 exec_lo, exec_lo, s42
.LBB6_2903:                             ;   in Loop: Header=BB6_130 Depth=2
	s_delay_alu instid0(SALU_CYCLE_1) | instskip(NEXT) | instid1(VALU_DEP_1)
	s_or_b32 exec_lo, exec_lo, s15
	v_dual_max_num_f32 v3, v3, v3 :: v_dual_max_num_f32 v1, v1, v1
	s_mov_b32 s11, 0
	s_delay_alu instid0(VALU_DEP_1)
	v_max_num_f32_e32 v1, v1, v3
.LBB6_2904:                             ;   in Loop: Header=BB6_130 Depth=2
	s_and_b32 vcc_lo, exec_lo, s11
	s_cbranch_vccz .LBB6_2926
; %bb.2905:                             ;   in Loop: Header=BB6_130 Depth=2
	v_dual_mov_b32 v3, 0 :: v_dual_mov_b32 v1, 0
	s_and_saveexec_b32 s11, s10
	s_cbranch_execz .LBB6_2915
; %bb.2906:                             ;   in Loop: Header=BB6_130 Depth=2
	v_bfrev_b32_e32 v1, 1
	s_mov_b32 s10, exec_lo
	v_cmpx_ne_u32_e32 0x80, v2
	s_cbranch_execz .LBB6_2914
; %bb.2907:                             ;   in Loop: Header=BB6_130 Depth=2
	v_and_b32_e32 v1, 0x7c000000, v4
	v_bfe_u32 v6, v4, 24, 2
	s_delay_alu instid0(VALU_DEP_2) | instskip(SKIP_1) | instid1(SALU_CYCLE_1)
	v_cmp_ne_u32_e32 vcc_lo, 0x7c000000, v1
                                        ; implicit-def: $vgpr1
	s_and_saveexec_b32 s15, vcc_lo
	s_xor_b32 s15, exec_lo, s15
	s_cbranch_execz .LBB6_2911
; %bb.2908:                             ;   in Loop: Header=BB6_130 Depth=2
	v_bfe_u32 v1, v4, 26, 5
	s_mov_b32 s42, exec_lo
	s_delay_alu instid0(VALU_DEP_1)
	v_cmpx_eq_u32_e32 0, v1
; %bb.2909:                             ;   in Loop: Header=BB6_130 Depth=2
	v_clz_i32_u32_e32 v1, v6
	s_delay_alu instid0(VALU_DEP_1) | instskip(NEXT) | instid1(VALU_DEP_1)
	v_min_u32_e32 v1, 32, v1
	v_subrev_nc_u32_e32 v6, 29, v1
	s_delay_alu instid0(VALU_DEP_1) | instskip(NEXT) | instid1(VALU_DEP_1)
	v_lshlrev_b64_e32 v[6:7], v6, v[2:3]
	v_dual_sub_nc_u32 v1, 30, v1 :: v_dual_bitop2_b32 v6, 3, v6 bitop3:0x40
; %bb.2910:                             ;   in Loop: Header=BB6_130 Depth=2
	s_or_b32 exec_lo, exec_lo, s42
	v_and_b32_e32 v2, 0x80000000, v4
	s_delay_alu instid0(VALU_DEP_1) | instskip(NEXT) | instid1(VALU_DEP_1)
	v_lshl_add_u32 v1, v1, 23, v2
	v_lshl_or_b32 v1, v6, 21, v1
                                        ; implicit-def: $vgpr6
	s_delay_alu instid0(VALU_DEP_1)
	v_add_nc_u32_e32 v1, 0x38000000, v1
.LBB6_2911:                             ;   in Loop: Header=BB6_130 Depth=2
	s_and_not1_saveexec_b32 s15, s15
; %bb.2912:                             ;   in Loop: Header=BB6_130 Depth=2
	v_cmp_lt_i32_e32 vcc_lo, -1, v4
	v_cndmask_b32_e32 v1, 0xff800000, v62, vcc_lo
	v_cmp_eq_u32_e32 vcc_lo, 0, v6
	s_delay_alu instid0(VALU_DEP_2)
	v_cndmask_b32_e32 v1, 0x7f800001, v1, vcc_lo
; %bb.2913:                             ;   in Loop: Header=BB6_130 Depth=2
	s_or_b32 exec_lo, exec_lo, s15
.LBB6_2914:                             ;   in Loop: Header=BB6_130 Depth=2
	s_delay_alu instid0(SALU_CYCLE_1)
	s_or_b32 exec_lo, exec_lo, s10
.LBB6_2915:                             ;   in Loop: Header=BB6_130 Depth=2
	s_delay_alu instid0(SALU_CYCLE_1) | instskip(NEXT) | instid1(SALU_CYCLE_1)
	s_or_b32 exec_lo, exec_lo, s11
	s_mov_b32 s10, exec_lo
	v_cmpx_lt_u32_e32 0xffffff, v20
	s_cbranch_execz .LBB6_2925
; %bb.2916:                             ;   in Loop: Header=BB6_130 Depth=2
	v_bfrev_b32_e32 v3, 1
	s_mov_b32 s11, exec_lo
	v_cmpx_ne_u32_e32 0x80, v0
	s_cbranch_execz .LBB6_2924
; %bb.2917:                             ;   in Loop: Header=BB6_130 Depth=2
	v_and_b32_e32 v3, 0x7c000000, v20
	v_bfe_u32 v2, v20, 24, 2
	s_delay_alu instid0(VALU_DEP_2) | instskip(SKIP_1) | instid1(SALU_CYCLE_1)
	v_cmp_ne_u32_e32 vcc_lo, 0x7c000000, v3
                                        ; implicit-def: $vgpr3
	s_and_saveexec_b32 s15, vcc_lo
	s_xor_b32 s15, exec_lo, s15
	s_cbranch_execz .LBB6_2921
; %bb.2918:                             ;   in Loop: Header=BB6_130 Depth=2
	v_bfe_u32 v3, v20, 26, 5
	s_mov_b32 s42, exec_lo
	s_delay_alu instid0(VALU_DEP_1)
	v_cmpx_eq_u32_e32 0, v3
; %bb.2919:                             ;   in Loop: Header=BB6_130 Depth=2
	v_clz_i32_u32_e32 v2, v2
	s_delay_alu instid0(VALU_DEP_1) | instskip(NEXT) | instid1(VALU_DEP_1)
	v_min_u32_e32 v6, 32, v2
	v_subrev_nc_u32_e32 v2, 29, v6
	s_delay_alu instid0(VALU_DEP_1) | instskip(SKIP_1) | instid1(VALU_DEP_2)
	v_lshlrev_b64_e32 v[2:3], v2, v[0:1]
	v_sub_nc_u32_e32 v3, 30, v6
	v_and_b32_e32 v2, 3, v2
; %bb.2920:                             ;   in Loop: Header=BB6_130 Depth=2
	s_or_b32 exec_lo, exec_lo, s42
	v_and_b32_e32 v0, 0x80000000, v20
	s_delay_alu instid0(VALU_DEP_1) | instskip(NEXT) | instid1(VALU_DEP_1)
	v_lshl_add_u32 v0, v3, 23, v0
	v_lshl_or_b32 v0, v2, 21, v0
                                        ; implicit-def: $vgpr2
	s_delay_alu instid0(VALU_DEP_1)
	v_add_nc_u32_e32 v3, 0x38000000, v0
.LBB6_2921:                             ;   in Loop: Header=BB6_130 Depth=2
	s_and_not1_saveexec_b32 s15, s15
; %bb.2922:                             ;   in Loop: Header=BB6_130 Depth=2
	v_cmp_lt_i32_e32 vcc_lo, -1, v20
	v_cndmask_b32_e32 v0, 0xff800000, v62, vcc_lo
	v_cmp_eq_u32_e32 vcc_lo, 0, v2
	s_delay_alu instid0(VALU_DEP_2)
	v_cndmask_b32_e32 v3, 0x7f800001, v0, vcc_lo
; %bb.2923:                             ;   in Loop: Header=BB6_130 Depth=2
	s_or_b32 exec_lo, exec_lo, s15
.LBB6_2924:                             ;   in Loop: Header=BB6_130 Depth=2
	s_delay_alu instid0(SALU_CYCLE_1)
	s_or_b32 exec_lo, exec_lo, s11
.LBB6_2925:                             ;   in Loop: Header=BB6_130 Depth=2
	s_delay_alu instid0(SALU_CYCLE_1) | instskip(NEXT) | instid1(VALU_DEP_1)
	s_or_b32 exec_lo, exec_lo, s10
	v_dual_max_num_f32 v0, v3, v3 :: v_dual_max_num_f32 v1, v1, v1
	s_delay_alu instid0(VALU_DEP_1)
	v_min_num_f32_e32 v1, v1, v0
.LBB6_2926:                             ;   in Loop: Header=BB6_130 Depth=2
	s_delay_alu instid0(VALU_DEP_1) | instskip(SKIP_3) | instid1(VALU_DEP_2)
	v_and_b32_e32 v2, 0x7f800000, v1
	v_dual_mov_b32 v3, v25 :: v_dual_lshrrev_b32 v0, 24, v1
	v_and_b32_e32 v24, 0x7fffff, v1
                                        ; implicit-def: $vgpr96
	s_mov_b32 s10, exec_lo
	v_cmpx_ne_u64_e32 0x7f800000, v[2:3]
	s_xor_b32 s11, exec_lo, s10
	s_cbranch_execz .LBB6_2940
; %bb.2927:                             ;   in Loop: Header=BB6_130 Depth=2
	v_and_b32_e32 v2, 0x7fffffff, v1
	v_mov_b32_e32 v3, v25
	v_and_b32_e32 v6, 0x80, v0
                                        ; implicit-def: $vgpr96
	s_mov_b32 s10, exec_lo
	s_delay_alu instid0(VALU_DEP_2)
	v_cmpx_gt_u64_e32 0x47600001, v[2:3]
	s_xor_b32 s15, exec_lo, s10
	s_cbranch_execz .LBB6_2937
; %bb.2928:                             ;   in Loop: Header=BB6_130 Depth=2
	v_mov_b32_e32 v96, 0
	s_mov_b32 s42, exec_lo
	v_cmpx_ne_u32_e32 0, v1
	s_cbranch_execz .LBB6_2936
; %bb.2929:                             ;   in Loop: Header=BB6_130 Depth=2
	v_bfe_u32 v7, v1, 23, 8
	v_or_b32_e32 v1, 0x800000, v24
	s_delay_alu instid0(VALU_DEP_2) | instskip(SKIP_2) | instid1(VALU_DEP_2)
	v_cmp_gt_u32_e64 s10, 0x72, v7
	v_sub_nc_u32_e32 v0, 0x71, v7
	v_cmp_eq_u32_e32 vcc_lo, 0, v7
	v_cndmask_b32_e64 v0, 0, v0, s10
	v_cndmask_b32_e32 v24, v1, v24, vcc_lo
	s_delay_alu instid0(VALU_DEP_2) | instskip(NEXT) | instid1(VALU_DEP_1)
	v_cndmask_b32_e64 v96, v0, 0x70, vcc_lo
	v_dual_add_nc_u32 v0, 21, v96 :: v_dual_add_nc_u32 v2, 20, v96
	s_delay_alu instid0(VALU_DEP_1) | instskip(NEXT) | instid1(VALU_DEP_2)
	v_lshlrev_b64_e64 v[0:1], v0, -1
	v_lshlrev_b64_e64 v[2:3], v2, 1
	s_delay_alu instid0(VALU_DEP_2) | instskip(NEXT) | instid1(VALU_DEP_3)
	v_bfi_b32 v1, v1, 0, 0
	v_bfi_b32 v0, v0, 0, v24
	s_delay_alu instid0(VALU_DEP_1) | instskip(SKIP_1) | instid1(VALU_DEP_1)
	v_cmp_eq_u64_e64 s10, v[0:1], v[2:3]
	v_lshrrev_b64 v[0:1], v96, v[24:25]
	v_mov_b64_e32 v[2:3], v[0:1]
	s_and_saveexec_b32 s43, s10
; %bb.2930:                             ;   in Loop: Header=BB6_130 Depth=2
	v_bfe_u32 v24, v0, 21, 1
	s_delay_alu instid0(VALU_DEP_1) | instskip(NEXT) | instid1(VALU_DEP_1)
	v_add_nc_u64_e32 v[2:3], v[0:1], v[24:25]
	v_add_nc_u64_e32 v[2:3], -1, v[2:3]
; %bb.2931:                             ;   in Loop: Header=BB6_130 Depth=2
	s_or_b32 exec_lo, exec_lo, s43
	v_add_nc_u32_e32 v1, 0xffffff81, v7
	v_lshrrev_b32_e32 v3, 23, v0
	s_mov_b32 s10, exec_lo
	s_delay_alu instid0(VALU_DEP_2) | instskip(NEXT) | instid1(VALU_DEP_1)
	v_cndmask_b32_e64 v1, v1, 0xffffff82, vcc_lo
	v_add3_u32 v7, v96, v1, v3
	v_and_b32_e32 v1, 0x1fffff, v2
                                        ; implicit-def: $vgpr2
	s_delay_alu instid0(VALU_DEP_1) | instskip(NEXT) | instid1(VALU_DEP_1)
	v_dual_add_nc_u32 v3, 14, v7 :: v_dual_add_nc_u32 v24, v1, v0
                                        ; implicit-def: $vgpr0_vgpr1
	v_cmpx_ne_u32_e32 0, v3
	s_xor_b32 s10, exec_lo, s10
; %bb.2932:                             ;   in Loop: Header=BB6_130 Depth=2
	s_delay_alu instid0(VALU_DEP_2) | instskip(SKIP_1) | instid1(VALU_DEP_1)
	v_cmp_lt_u64_e32 vcc_lo, 0xffffff, v[24:25]
	v_add_nc_u32_e32 v0, 15, v7
	v_cndmask_b32_e32 v2, v3, v0, vcc_lo
	v_cndmask_b32_e64 v0, 0, 1, vcc_lo
	s_delay_alu instid0(VALU_DEP_1)
	v_lshrrev_b64 v[0:1], v0, v[24:25]
; %bb.2933:                             ;   in Loop: Header=BB6_130 Depth=2
	s_and_not1_saveexec_b32 s10, s10
; %bb.2934:                             ;   in Loop: Header=BB6_130 Depth=2
	v_mov_b64_e32 v[0:1], v[24:25]
	v_bfe_u32 v2, v24, 23, 1
; %bb.2935:                             ;   in Loop: Header=BB6_130 Depth=2
	s_or_b32 exec_lo, exec_lo, s10
	s_delay_alu instid0(VALU_DEP_2) | instskip(NEXT) | instid1(VALU_DEP_2)
	v_lshrrev_b64 v[0:1], 21, v[0:1]
	v_cmp_gt_i32_e32 vcc_lo, 32, v2
	v_min_i32_e32 v3, 31, v2
	v_cmp_eq_u32_e64 s10, 0, v2
	s_delay_alu instid0(VALU_DEP_2) | instskip(SKIP_1) | instid1(VALU_DEP_2)
	v_dual_cndmask_b32 v1, 0, v1, vcc_lo :: v_dual_lshlrev_b32 v3, 2, v3
	v_cndmask_b32_e32 v0, 3, v0, vcc_lo
	v_and_b32_e32 v3, 0xfc, v3
	s_delay_alu instid0(VALU_DEP_2) | instskip(NEXT) | instid1(VALU_DEP_2)
	v_cmp_eq_u64_e32 vcc_lo, 0, v[0:1]
	v_and_or_b32 v0, v0, 3, v3
	s_and_b32 s10, s10, vcc_lo
	s_delay_alu instid0(VALU_DEP_1) | instid1(SALU_CYCLE_1)
	v_cndmask_b32_e64 v0, v0, 0, s10
	s_delay_alu instid0(VALU_DEP_1)
	v_or_b32_e32 v96, v0, v6
.LBB6_2936:                             ;   in Loop: Header=BB6_130 Depth=2
	s_or_b32 exec_lo, exec_lo, s42
                                        ; implicit-def: $vgpr6
.LBB6_2937:                             ;   in Loop: Header=BB6_130 Depth=2
	s_and_not1_saveexec_b32 s10, s15
; %bb.2938:                             ;   in Loop: Header=BB6_130 Depth=2
	v_or_b32_e32 v96, 0x7b, v6
; %bb.2939:                             ;   in Loop: Header=BB6_130 Depth=2
	s_or_b32 exec_lo, exec_lo, s10
                                        ; implicit-def: $vgpr1
                                        ; implicit-def: $vgpr0
.LBB6_2940:                             ;   in Loop: Header=BB6_130 Depth=2
	s_and_not1_saveexec_b32 s10, s11
	s_cbranch_execz .LBB6_2946
; %bb.2941:                             ;   in Loop: Header=BB6_130 Depth=2
	s_mov_b32 s11, exec_lo
                                        ; implicit-def: $vgpr96
	v_cmpx_ne_u64_e32 0, v[24:25]
	s_xor_b32 s11, exec_lo, s11
; %bb.2942:                             ;   in Loop: Header=BB6_130 Depth=2
	v_or_b32_e32 v96, 0x7f, v0
                                        ; implicit-def: $vgpr1
; %bb.2943:                             ;   in Loop: Header=BB6_130 Depth=2
	s_and_not1_saveexec_b32 s11, s11
; %bb.2944:                             ;   in Loop: Header=BB6_130 Depth=2
	v_cmp_lt_i32_e32 vcc_lo, -1, v1
	v_cndmask_b32_e32 v96, 0xfc, v93, vcc_lo
; %bb.2945:                             ;   in Loop: Header=BB6_130 Depth=2
	s_or_b32 exec_lo, exec_lo, s11
.LBB6_2946:                             ;   in Loop: Header=BB6_130 Depth=2
	s_delay_alu instid0(SALU_CYCLE_1) | instskip(SKIP_4) | instid1(VALU_DEP_3)
	s_or_b32 exec_lo, exec_lo, s10
	v_and_b32_e32 v2, 0xff, v5
	v_dual_mov_b32 v24, v5 :: v_dual_mov_b32 v0, v21
	v_mov_b32_e32 v1, v25
	s_mov_b32 s11, -1
	v_cmp_ne_u16_e64 s10, 0, v2
	s_and_not1_b32 vcc_lo, exec_lo, s14
                                        ; implicit-def: $vgpr6
	s_cbranch_vccnz .LBB6_2968
; %bb.2947:                             ;   in Loop: Header=BB6_130 Depth=2
	v_dual_mov_b32 v6, 0 :: v_dual_mov_b32 v3, 0
	s_and_saveexec_b32 s15, s10
	s_cbranch_execz .LBB6_2957
; %bb.2948:                             ;   in Loop: Header=BB6_130 Depth=2
	v_bfrev_b32_e32 v3, 1
	s_mov_b32 s42, exec_lo
	v_cmpx_ne_u16_e32 0x80, v2
	s_cbranch_execz .LBB6_2956
; %bb.2949:                             ;   in Loop: Header=BB6_130 Depth=2
	v_and_b32_e32 v3, 0x7c, v5
	v_and_b32_e32 v7, 3, v5
	s_delay_alu instid0(VALU_DEP_2) | instskip(SKIP_1) | instid1(SALU_CYCLE_1)
	v_cmp_ne_u32_e32 vcc_lo, 0x7c, v3
                                        ; implicit-def: $vgpr3
	s_and_saveexec_b32 s11, vcc_lo
	s_xor_b32 s11, exec_lo, s11
	s_cbranch_execz .LBB6_2953
; %bb.2950:                             ;   in Loop: Header=BB6_130 Depth=2
	v_bfe_u32 v3, v5, 2, 5
	s_mov_b32 s43, exec_lo
	s_delay_alu instid0(VALU_DEP_1)
	v_cmpx_eq_u32_e32 0, v3
; %bb.2951:                             ;   in Loop: Header=BB6_130 Depth=2
	v_clz_i32_u32_e32 v3, v7
	s_delay_alu instid0(VALU_DEP_1) | instskip(NEXT) | instid1(VALU_DEP_1)
	v_min_u32_e32 v3, 32, v3
	v_subrev_nc_u32_e32 v7, 29, v3
	s_delay_alu instid0(VALU_DEP_1) | instskip(NEXT) | instid1(VALU_DEP_1)
	v_lshlrev_b64_e32 v[98:99], v7, v[24:25]
	v_dual_sub_nc_u32 v3, 30, v3 :: v_dual_bitop2_b32 v7, 3, v98 bitop3:0x40
; %bb.2952:                             ;   in Loop: Header=BB6_130 Depth=2
	s_or_b32 exec_lo, exec_lo, s43
	v_lshlrev_b32_e32 v97, 24, v5
	s_delay_alu instid0(VALU_DEP_1) | instskip(NEXT) | instid1(VALU_DEP_1)
	v_and_b32_e32 v97, 0x80000000, v97
	v_lshl_add_u32 v3, v3, 23, v97
	s_delay_alu instid0(VALU_DEP_1) | instskip(NEXT) | instid1(VALU_DEP_1)
	v_lshl_or_b32 v3, v7, 21, v3
                                        ; implicit-def: $vgpr7
	v_add_nc_u32_e32 v3, 0x38000000, v3
.LBB6_2953:                             ;   in Loop: Header=BB6_130 Depth=2
	s_and_not1_saveexec_b32 s43, s11
; %bb.2954:                             ;   in Loop: Header=BB6_130 Depth=2
	v_bfe_i32 v3, v5, 0, 8
	v_cmp_eq_u32_e32 vcc_lo, 0, v7
	s_delay_alu instid0(VALU_DEP_2) | instskip(NEXT) | instid1(VALU_DEP_1)
	v_cmp_lt_i16_e64 s11, -1, v3
	v_cndmask_b32_e64 v3, 0xff800000, v62, s11
	s_delay_alu instid0(VALU_DEP_1)
	v_cndmask_b32_e32 v3, 0x7f800001, v3, vcc_lo
; %bb.2955:                             ;   in Loop: Header=BB6_130 Depth=2
	s_or_b32 exec_lo, exec_lo, s43
.LBB6_2956:                             ;   in Loop: Header=BB6_130 Depth=2
	s_delay_alu instid0(SALU_CYCLE_1)
	s_or_b32 exec_lo, exec_lo, s42
.LBB6_2957:                             ;   in Loop: Header=BB6_130 Depth=2
	s_delay_alu instid0(SALU_CYCLE_1) | instskip(SKIP_2) | instid1(VALU_DEP_1)
	s_or_b32 exec_lo, exec_lo, s15
	v_and_b32_e32 v7, 0xff, v21
	s_mov_b32 s15, exec_lo
	v_cmpx_ne_u16_e32 0, v7
	s_cbranch_execz .LBB6_2967
; %bb.2958:                             ;   in Loop: Header=BB6_130 Depth=2
	v_bfrev_b32_e32 v6, 1
	s_mov_b32 s42, exec_lo
	v_cmpx_ne_u16_e32 0x80, v7
	s_cbranch_execz .LBB6_2966
; %bb.2959:                             ;   in Loop: Header=BB6_130 Depth=2
	v_and_b32_e32 v6, 0x7c, v21
	v_and_b32_e32 v7, 3, v21
	s_delay_alu instid0(VALU_DEP_2) | instskip(SKIP_1) | instid1(SALU_CYCLE_1)
	v_cmp_ne_u32_e32 vcc_lo, 0x7c, v6
                                        ; implicit-def: $vgpr6
	s_and_saveexec_b32 s11, vcc_lo
	s_xor_b32 s11, exec_lo, s11
	s_cbranch_execz .LBB6_2963
; %bb.2960:                             ;   in Loop: Header=BB6_130 Depth=2
	v_bfe_u32 v6, v21, 2, 5
	s_mov_b32 s43, exec_lo
	s_delay_alu instid0(VALU_DEP_1)
	v_cmpx_eq_u32_e32 0, v6
; %bb.2961:                             ;   in Loop: Header=BB6_130 Depth=2
	v_clz_i32_u32_e32 v6, v7
	s_delay_alu instid0(VALU_DEP_1) | instskip(NEXT) | instid1(VALU_DEP_1)
	v_min_u32_e32 v6, 32, v6
	v_subrev_nc_u32_e32 v7, 29, v6
	v_sub_nc_u32_e32 v6, 30, v6
	s_delay_alu instid0(VALU_DEP_2) | instskip(NEXT) | instid1(VALU_DEP_1)
	v_lshlrev_b64_e32 v[98:99], v7, v[0:1]
	v_and_b32_e32 v7, 3, v98
; %bb.2962:                             ;   in Loop: Header=BB6_130 Depth=2
	s_or_b32 exec_lo, exec_lo, s43
	v_lshlrev_b32_e32 v97, 24, v21
	s_delay_alu instid0(VALU_DEP_1) | instskip(NEXT) | instid1(VALU_DEP_1)
	v_and_b32_e32 v97, 0x80000000, v97
	v_lshl_add_u32 v6, v6, 23, v97
	s_delay_alu instid0(VALU_DEP_1) | instskip(NEXT) | instid1(VALU_DEP_1)
	v_lshl_or_b32 v6, v7, 21, v6
                                        ; implicit-def: $vgpr7
	v_add_nc_u32_e32 v6, 0x38000000, v6
.LBB6_2963:                             ;   in Loop: Header=BB6_130 Depth=2
	s_and_not1_saveexec_b32 s43, s11
; %bb.2964:                             ;   in Loop: Header=BB6_130 Depth=2
	v_bfe_i32 v6, v21, 0, 8
	v_cmp_eq_u32_e32 vcc_lo, 0, v7
	s_delay_alu instid0(VALU_DEP_2) | instskip(NEXT) | instid1(VALU_DEP_1)
	v_cmp_lt_i16_e64 s11, -1, v6
	v_cndmask_b32_e64 v6, 0xff800000, v62, s11
	s_delay_alu instid0(VALU_DEP_1)
	v_cndmask_b32_e32 v6, 0x7f800001, v6, vcc_lo
; %bb.2965:                             ;   in Loop: Header=BB6_130 Depth=2
	s_or_b32 exec_lo, exec_lo, s43
.LBB6_2966:                             ;   in Loop: Header=BB6_130 Depth=2
	s_delay_alu instid0(SALU_CYCLE_1)
	s_or_b32 exec_lo, exec_lo, s42
.LBB6_2967:                             ;   in Loop: Header=BB6_130 Depth=2
	s_delay_alu instid0(SALU_CYCLE_1) | instskip(NEXT) | instid1(VALU_DEP_1)
	s_or_b32 exec_lo, exec_lo, s15
	v_dual_max_num_f32 v6, v6, v6 :: v_dual_max_num_f32 v3, v3, v3
	s_mov_b32 s11, 0
	s_delay_alu instid0(VALU_DEP_1)
	v_max_num_f32_e32 v6, v3, v6
.LBB6_2968:                             ;   in Loop: Header=BB6_130 Depth=2
	s_and_b32 vcc_lo, exec_lo, s11
	s_cbranch_vccz .LBB6_2990
; %bb.2969:                             ;   in Loop: Header=BB6_130 Depth=2
	v_dual_mov_b32 v6, 0 :: v_dual_mov_b32 v3, 0
	s_and_saveexec_b32 s11, s10
	s_cbranch_execz .LBB6_2979
; %bb.2970:                             ;   in Loop: Header=BB6_130 Depth=2
	v_bfrev_b32_e32 v3, 1
	s_mov_b32 s15, exec_lo
	v_cmpx_ne_u16_e32 0x80, v2
	s_cbranch_execz .LBB6_2978
; %bb.2971:                             ;   in Loop: Header=BB6_130 Depth=2
	v_and_b32_e32 v3, 0x7c, v5
	v_and_b32_e32 v2, 3, v5
	s_delay_alu instid0(VALU_DEP_2) | instskip(SKIP_1) | instid1(SALU_CYCLE_1)
	v_cmp_ne_u32_e32 vcc_lo, 0x7c, v3
                                        ; implicit-def: $vgpr3
	s_and_saveexec_b32 s10, vcc_lo
	s_xor_b32 s10, exec_lo, s10
	s_cbranch_execz .LBB6_2975
; %bb.2972:                             ;   in Loop: Header=BB6_130 Depth=2
	v_bfe_u32 v3, v5, 2, 5
	s_mov_b32 s42, exec_lo
	s_delay_alu instid0(VALU_DEP_1)
	v_cmpx_eq_u32_e32 0, v3
; %bb.2973:                             ;   in Loop: Header=BB6_130 Depth=2
	v_clz_i32_u32_e32 v2, v2
	s_delay_alu instid0(VALU_DEP_1) | instskip(NEXT) | instid1(VALU_DEP_1)
	v_min_u32_e32 v7, 32, v2
	v_subrev_nc_u32_e32 v2, 29, v7
	s_delay_alu instid0(VALU_DEP_1) | instskip(NEXT) | instid1(VALU_DEP_1)
	v_lshlrev_b64_e32 v[2:3], v2, v[24:25]
	v_dual_sub_nc_u32 v3, 30, v7 :: v_dual_bitop2_b32 v2, 3, v2 bitop3:0x40
; %bb.2974:                             ;   in Loop: Header=BB6_130 Depth=2
	s_or_b32 exec_lo, exec_lo, s42
	v_lshlrev_b32_e32 v7, 24, v5
	s_delay_alu instid0(VALU_DEP_1) | instskip(NEXT) | instid1(VALU_DEP_1)
	v_and_b32_e32 v7, 0x80000000, v7
	v_lshl_add_u32 v3, v3, 23, v7
	s_delay_alu instid0(VALU_DEP_1) | instskip(NEXT) | instid1(VALU_DEP_1)
	v_lshl_or_b32 v2, v2, 21, v3
	v_add_nc_u32_e32 v3, 0x38000000, v2
                                        ; implicit-def: $vgpr2
.LBB6_2975:                             ;   in Loop: Header=BB6_130 Depth=2
	s_and_not1_saveexec_b32 s42, s10
; %bb.2976:                             ;   in Loop: Header=BB6_130 Depth=2
	v_bfe_i32 v3, v5, 0, 8
	v_cmp_eq_u32_e32 vcc_lo, 0, v2
	s_delay_alu instid0(VALU_DEP_2) | instskip(NEXT) | instid1(VALU_DEP_1)
	v_cmp_lt_i16_e64 s10, -1, v3
	v_cndmask_b32_e64 v2, 0xff800000, v62, s10
	s_delay_alu instid0(VALU_DEP_1)
	v_cndmask_b32_e32 v3, 0x7f800001, v2, vcc_lo
; %bb.2977:                             ;   in Loop: Header=BB6_130 Depth=2
	s_or_b32 exec_lo, exec_lo, s42
.LBB6_2978:                             ;   in Loop: Header=BB6_130 Depth=2
	s_delay_alu instid0(SALU_CYCLE_1)
	s_or_b32 exec_lo, exec_lo, s15
.LBB6_2979:                             ;   in Loop: Header=BB6_130 Depth=2
	s_delay_alu instid0(SALU_CYCLE_1) | instskip(SKIP_2) | instid1(VALU_DEP_1)
	s_or_b32 exec_lo, exec_lo, s11
	v_and_b32_e32 v2, 0xff, v21
	s_mov_b32 s11, exec_lo
	v_cmpx_ne_u16_e32 0, v2
	s_cbranch_execz .LBB6_2989
; %bb.2980:                             ;   in Loop: Header=BB6_130 Depth=2
	v_bfrev_b32_e32 v6, 1
	s_mov_b32 s15, exec_lo
	v_cmpx_ne_u16_e32 0x80, v2
	s_cbranch_execz .LBB6_2988
; %bb.2981:                             ;   in Loop: Header=BB6_130 Depth=2
	v_and_b32_e32 v6, 0x7c, v21
	v_and_b32_e32 v2, 3, v21
	s_delay_alu instid0(VALU_DEP_2) | instskip(SKIP_1) | instid1(SALU_CYCLE_1)
	v_cmp_ne_u32_e32 vcc_lo, 0x7c, v6
                                        ; implicit-def: $vgpr6
	s_and_saveexec_b32 s10, vcc_lo
	s_xor_b32 s10, exec_lo, s10
	s_cbranch_execz .LBB6_2985
; %bb.2982:                             ;   in Loop: Header=BB6_130 Depth=2
	v_bfe_u32 v6, v21, 2, 5
	s_mov_b32 s42, exec_lo
	s_delay_alu instid0(VALU_DEP_1)
	v_cmpx_eq_u32_e32 0, v6
; %bb.2983:                             ;   in Loop: Header=BB6_130 Depth=2
	v_clz_i32_u32_e32 v2, v2
	s_delay_alu instid0(VALU_DEP_1) | instskip(NEXT) | instid1(VALU_DEP_1)
	v_min_u32_e32 v2, 32, v2
	v_subrev_nc_u32_e32 v6, 29, v2
	s_delay_alu instid0(VALU_DEP_1) | instskip(SKIP_1) | instid1(VALU_DEP_2)
	v_lshlrev_b64_e32 v[98:99], v6, v[0:1]
	v_sub_nc_u32_e32 v6, 30, v2
	v_and_b32_e32 v2, 3, v98
; %bb.2984:                             ;   in Loop: Header=BB6_130 Depth=2
	s_or_b32 exec_lo, exec_lo, s42
	v_lshlrev_b32_e32 v1, 24, v21
	s_delay_alu instid0(VALU_DEP_1) | instskip(NEXT) | instid1(VALU_DEP_1)
	v_and_b32_e32 v1, 0x80000000, v1
	v_lshl_add_u32 v1, v6, 23, v1
	s_delay_alu instid0(VALU_DEP_1) | instskip(NEXT) | instid1(VALU_DEP_1)
	v_lshl_or_b32 v1, v2, 21, v1
                                        ; implicit-def: $vgpr2
	v_add_nc_u32_e32 v6, 0x38000000, v1
.LBB6_2985:                             ;   in Loop: Header=BB6_130 Depth=2
	s_and_not1_saveexec_b32 s42, s10
; %bb.2986:                             ;   in Loop: Header=BB6_130 Depth=2
	v_bfe_i32 v1, v21, 0, 8
	v_cmp_eq_u32_e32 vcc_lo, 0, v2
	s_delay_alu instid0(VALU_DEP_2) | instskip(NEXT) | instid1(VALU_DEP_1)
	v_cmp_lt_i16_e64 s10, -1, v1
	v_cndmask_b32_e64 v1, 0xff800000, v62, s10
	s_delay_alu instid0(VALU_DEP_1)
	v_cndmask_b32_e32 v6, 0x7f800001, v1, vcc_lo
; %bb.2987:                             ;   in Loop: Header=BB6_130 Depth=2
	s_or_b32 exec_lo, exec_lo, s42
.LBB6_2988:                             ;   in Loop: Header=BB6_130 Depth=2
	s_delay_alu instid0(SALU_CYCLE_1)
	s_or_b32 exec_lo, exec_lo, s15
.LBB6_2989:                             ;   in Loop: Header=BB6_130 Depth=2
	s_delay_alu instid0(SALU_CYCLE_1) | instskip(NEXT) | instid1(VALU_DEP_1)
	s_or_b32 exec_lo, exec_lo, s11
	v_dual_max_num_f32 v1, v6, v6 :: v_dual_max_num_f32 v2, v3, v3
	s_delay_alu instid0(VALU_DEP_1)
	v_min_num_f32_e32 v6, v2, v1
.LBB6_2990:                             ;   in Loop: Header=BB6_130 Depth=2
	s_delay_alu instid0(VALU_DEP_1) | instskip(SKIP_4) | instid1(VALU_DEP_3)
	v_and_b32_e32 v98, 0x7f800000, v6
	v_dual_mov_b32 v99, v25 :: v_dual_mov_b32 v3, v25
	v_and_b32_e32 v2, 0x7fffff, v6
	v_lshrrev_b32_e32 v1, 24, v6
                                        ; implicit-def: $vgpr97
	s_mov_b32 s10, exec_lo
	v_cmpx_ne_u64_e32 0x7f800000, v[98:99]
	s_xor_b32 s11, exec_lo, s10
	s_cbranch_execz .LBB6_3004
; %bb.2991:                             ;   in Loop: Header=BB6_130 Depth=2
	v_and_b32_e32 v98, 0x7fffffff, v6
	v_mov_b32_e32 v99, v25
	v_and_b32_e32 v1, 0x80, v1
                                        ; implicit-def: $vgpr97
	s_mov_b32 s10, exec_lo
	s_delay_alu instid0(VALU_DEP_2)
	v_cmpx_gt_u64_e32 0x47600001, v[98:99]
	s_xor_b32 s15, exec_lo, s10
	s_cbranch_execz .LBB6_3001
; %bb.2992:                             ;   in Loop: Header=BB6_130 Depth=2
	v_mov_b32_e32 v97, 0
	s_mov_b32 s42, exec_lo
	v_cmpx_ne_u32_e32 0, v6
	s_cbranch_execz .LBB6_3000
; %bb.2993:                             ;   in Loop: Header=BB6_130 Depth=2
	v_bfe_u32 v97, v6, 23, 8
	v_or_b32_e32 v7, 0x800000, v2
	s_delay_alu instid0(VALU_DEP_2) | instskip(SKIP_2) | instid1(VALU_DEP_2)
	v_cmp_gt_u32_e64 s10, 0x72, v97
	v_sub_nc_u32_e32 v6, 0x71, v97
	v_cmp_eq_u32_e32 vcc_lo, 0, v97
	v_cndmask_b32_e64 v6, 0, v6, s10
	v_cndmask_b32_e32 v2, v7, v2, vcc_lo
	s_delay_alu instid0(VALU_DEP_2) | instskip(NEXT) | instid1(VALU_DEP_1)
	v_cndmask_b32_e64 v98, v6, 0x70, vcc_lo
	v_dual_add_nc_u32 v6, 21, v98 :: v_dual_add_nc_u32 v99, 20, v98
	s_delay_alu instid0(VALU_DEP_1) | instskip(NEXT) | instid1(VALU_DEP_2)
	v_lshlrev_b64_e64 v[6:7], v6, -1
	v_lshlrev_b64_e64 v[100:101], v99, 1
	s_delay_alu instid0(VALU_DEP_2) | instskip(SKIP_1) | instid1(VALU_DEP_4)
	v_bfi_b32 v6, v6, 0, v2
	v_lshrrev_b64 v[2:3], v98, v[2:3]
	v_bfi_b32 v7, v7, 0, 0
	s_delay_alu instid0(VALU_DEP_1) | instskip(NEXT) | instid1(VALU_DEP_3)
	v_cmp_eq_u64_e64 s10, v[6:7], v[100:101]
	v_mov_b64_e32 v[6:7], v[2:3]
	s_and_saveexec_b32 s43, s10
; %bb.2994:                             ;   in Loop: Header=BB6_130 Depth=2
	v_bfe_u32 v6, v2, 21, 1
	v_mov_b32_e32 v7, v25
	s_delay_alu instid0(VALU_DEP_1) | instskip(NEXT) | instid1(VALU_DEP_1)
	v_add_nc_u64_e32 v[6:7], v[2:3], v[6:7]
	v_add_nc_u64_e32 v[6:7], -1, v[6:7]
; %bb.2995:                             ;   in Loop: Header=BB6_130 Depth=2
	s_or_b32 exec_lo, exec_lo, s43
	v_add_nc_u32_e32 v3, 0xffffff81, v97
	v_lshrrev_b32_e32 v7, 23, v2
	s_mov_b32 s10, exec_lo
	s_delay_alu instid0(VALU_DEP_2) | instskip(NEXT) | instid1(VALU_DEP_1)
	v_cndmask_b32_e64 v3, v3, 0xffffff82, vcc_lo
	v_add3_u32 v97, v98, v3, v7
	v_and_b32_e32 v3, 0x1fffff, v6
                                        ; implicit-def: $vgpr6
	s_delay_alu instid0(VALU_DEP_1) | instskip(SKIP_1) | instid1(VALU_DEP_2)
	v_dual_add_nc_u32 v7, 14, v97 :: v_dual_add_nc_u32 v2, v3, v2
	v_mov_b32_e32 v3, v25
	v_cmpx_ne_u32_e32 0, v7
	s_xor_b32 s10, exec_lo, s10
; %bb.2996:                             ;   in Loop: Header=BB6_130 Depth=2
	s_delay_alu instid0(VALU_DEP_2) | instskip(SKIP_1) | instid1(VALU_DEP_1)
	v_cmp_lt_u64_e32 vcc_lo, 0xffffff, v[2:3]
	v_add_nc_u32_e32 v6, 15, v97
	v_cndmask_b32_e32 v6, v7, v6, vcc_lo
	v_cndmask_b32_e64 v7, 0, 1, vcc_lo
	s_delay_alu instid0(VALU_DEP_1)
	v_lshrrev_b64 v[2:3], v7, v[2:3]
; %bb.2997:                             ;   in Loop: Header=BB6_130 Depth=2
	s_and_not1_saveexec_b32 s10, s10
; %bb.2998:                             ;   in Loop: Header=BB6_130 Depth=2
	s_delay_alu instid0(VALU_DEP_1)
	v_bfe_u32 v6, v2, 23, 1
; %bb.2999:                             ;   in Loop: Header=BB6_130 Depth=2
	s_or_b32 exec_lo, exec_lo, s10
	s_delay_alu instid0(VALU_DEP_2) | instskip(NEXT) | instid1(VALU_DEP_2)
	v_lshrrev_b64 v[2:3], 21, v[2:3]
	v_cmp_gt_i32_e32 vcc_lo, 32, v6
	v_min_i32_e32 v7, 31, v6
	v_cmp_eq_u32_e64 s10, 0, v6
	s_delay_alu instid0(VALU_DEP_4) | instskip(NEXT) | instid1(VALU_DEP_3)
	v_cndmask_b32_e32 v3, 0, v3, vcc_lo
	v_dual_cndmask_b32 v2, 3, v2 :: v_dual_lshlrev_b32 v7, 2, v7
	s_delay_alu instid0(VALU_DEP_1) | instskip(NEXT) | instid1(VALU_DEP_2)
	v_and_b32_e32 v7, 0xfc, v7
	v_cmp_eq_u64_e32 vcc_lo, 0, v[2:3]
	s_delay_alu instid0(VALU_DEP_2)
	v_and_or_b32 v2, v2, 3, v7
	s_and_b32 s10, s10, vcc_lo
	s_delay_alu instid0(VALU_DEP_1) | instid1(SALU_CYCLE_1)
	v_cndmask_b32_e64 v2, v2, 0, s10
	s_delay_alu instid0(VALU_DEP_1)
	v_or_b32_e32 v97, v2, v1
.LBB6_3000:                             ;   in Loop: Header=BB6_130 Depth=2
	s_or_b32 exec_lo, exec_lo, s42
                                        ; implicit-def: $vgpr1
.LBB6_3001:                             ;   in Loop: Header=BB6_130 Depth=2
	s_and_not1_saveexec_b32 s10, s15
; %bb.3002:                             ;   in Loop: Header=BB6_130 Depth=2
	v_or_b32_e32 v97, 0x7b, v1
; %bb.3003:                             ;   in Loop: Header=BB6_130 Depth=2
	s_or_b32 exec_lo, exec_lo, s10
                                        ; implicit-def: $vgpr6
                                        ; implicit-def: $vgpr2_vgpr3
                                        ; implicit-def: $vgpr1
.LBB6_3004:                             ;   in Loop: Header=BB6_130 Depth=2
	s_and_not1_saveexec_b32 s10, s11
	s_cbranch_execz .LBB6_3010
; %bb.3005:                             ;   in Loop: Header=BB6_130 Depth=2
	s_mov_b32 s11, exec_lo
                                        ; implicit-def: $vgpr97
	v_cmpx_ne_u64_e32 0, v[2:3]
	s_xor_b32 s11, exec_lo, s11
; %bb.3006:                             ;   in Loop: Header=BB6_130 Depth=2
	v_or_b32_e32 v97, 0x7f, v1
                                        ; implicit-def: $vgpr6
; %bb.3007:                             ;   in Loop: Header=BB6_130 Depth=2
	s_and_not1_saveexec_b32 s11, s11
; %bb.3008:                             ;   in Loop: Header=BB6_130 Depth=2
	v_cmp_lt_i32_e32 vcc_lo, -1, v6
	v_cndmask_b32_e32 v97, 0xfc, v93, vcc_lo
; %bb.3009:                             ;   in Loop: Header=BB6_130 Depth=2
	s_or_b32 exec_lo, exec_lo, s11
.LBB6_3010:                             ;   in Loop: Header=BB6_130 Depth=2
	s_delay_alu instid0(SALU_CYCLE_1) | instskip(SKIP_4) | instid1(VALU_DEP_2)
	s_or_b32 exec_lo, exec_lo, s10
	v_lshrrev_b16 v6, 8, v24
	v_lshrrev_b16 v2, 8, v0
	s_mov_b32 s11, -1
	s_and_not1_b32 vcc_lo, exec_lo, s14
                                        ; implicit-def: $vgpr3
	v_and_b32_e32 v1, 0xffff, v6
	v_cmp_ne_u16_e64 s10, 0, v6
	s_cbranch_vccnz .LBB6_3032
; %bb.3011:                             ;   in Loop: Header=BB6_130 Depth=2
	v_dual_mov_b32 v3, 0 :: v_dual_mov_b32 v7, 0
	s_and_saveexec_b32 s15, s10
	s_cbranch_execz .LBB6_3021
; %bb.3012:                             ;   in Loop: Header=BB6_130 Depth=2
	v_bfrev_b32_e32 v7, 1
	s_mov_b32 s42, exec_lo
	v_cmpx_ne_u16_e32 0x80, v6
	s_cbranch_execz .LBB6_3020
; %bb.3013:                             ;   in Loop: Header=BB6_130 Depth=2
	v_and_b32_e32 v7, 0x7c, v1
	v_and_b32_e32 v98, 3, v1
	s_delay_alu instid0(VALU_DEP_2) | instskip(SKIP_1) | instid1(SALU_CYCLE_1)
	v_cmp_ne_u32_e32 vcc_lo, 0x7c, v7
                                        ; implicit-def: $vgpr7
	s_and_saveexec_b32 s11, vcc_lo
	s_xor_b32 s11, exec_lo, s11
	s_cbranch_execz .LBB6_3017
; %bb.3014:                             ;   in Loop: Header=BB6_130 Depth=2
	v_bfe_u32 v7, v1, 2, 5
	s_mov_b32 s43, exec_lo
	s_delay_alu instid0(VALU_DEP_1)
	v_cmpx_eq_u32_e32 0, v7
; %bb.3015:                             ;   in Loop: Header=BB6_130 Depth=2
	v_clz_i32_u32_e32 v7, v98
	s_delay_alu instid0(VALU_DEP_1) | instskip(SKIP_1) | instid1(VALU_DEP_2)
	v_min_u32_e32 v100, 32, v7
	v_mov_b32_e32 v7, v25
	v_subrev_nc_u32_e32 v98, 29, v100
	s_delay_alu instid0(VALU_DEP_1) | instskip(NEXT) | instid1(VALU_DEP_1)
	v_lshlrev_b64_e32 v[98:99], v98, v[6:7]
	v_dual_sub_nc_u32 v7, 30, v100 :: v_dual_bitop2_b32 v98, 3, v98 bitop3:0x40
; %bb.3016:                             ;   in Loop: Header=BB6_130 Depth=2
	s_or_b32 exec_lo, exec_lo, s43
	v_lshlrev_b32_e32 v99, 16, v24
	s_delay_alu instid0(VALU_DEP_1) | instskip(NEXT) | instid1(VALU_DEP_1)
	v_and_b32_e32 v99, 0x80000000, v99
	v_lshl_add_u32 v7, v7, 23, v99
	s_delay_alu instid0(VALU_DEP_1) | instskip(NEXT) | instid1(VALU_DEP_1)
	v_lshl_or_b32 v7, v98, 21, v7
                                        ; implicit-def: $vgpr98
	v_add_nc_u32_e32 v7, 0x38000000, v7
.LBB6_3017:                             ;   in Loop: Header=BB6_130 Depth=2
	s_and_not1_saveexec_b32 s43, s11
; %bb.3018:                             ;   in Loop: Header=BB6_130 Depth=2
	v_cmp_lt_i16_e64 s11, -1, v24
	v_cmp_eq_u32_e32 vcc_lo, 0, v98
	s_delay_alu instid0(VALU_DEP_2) | instskip(NEXT) | instid1(VALU_DEP_1)
	v_cndmask_b32_e64 v7, 0xff800000, v62, s11
	v_cndmask_b32_e32 v7, 0x7f800001, v7, vcc_lo
; %bb.3019:                             ;   in Loop: Header=BB6_130 Depth=2
	s_or_b32 exec_lo, exec_lo, s43
.LBB6_3020:                             ;   in Loop: Header=BB6_130 Depth=2
	s_delay_alu instid0(SALU_CYCLE_1)
	s_or_b32 exec_lo, exec_lo, s42
.LBB6_3021:                             ;   in Loop: Header=BB6_130 Depth=2
	s_delay_alu instid0(SALU_CYCLE_1) | instskip(NEXT) | instid1(SALU_CYCLE_1)
	s_or_b32 exec_lo, exec_lo, s15
	s_mov_b32 s15, exec_lo
	v_cmpx_ne_u16_e32 0, v2
	s_cbranch_execz .LBB6_3031
; %bb.3022:                             ;   in Loop: Header=BB6_130 Depth=2
	v_bfrev_b32_e32 v3, 1
	s_mov_b32 s42, exec_lo
	v_cmpx_ne_u16_e32 0x80, v2
	s_cbranch_execz .LBB6_3030
; %bb.3023:                             ;   in Loop: Header=BB6_130 Depth=2
	v_and_b32_e32 v99, 0xffff, v2
	s_delay_alu instid0(VALU_DEP_1) | instskip(SKIP_1) | instid1(VALU_DEP_2)
	v_and_b32_e32 v3, 0x7c, v99
	v_and_b32_e32 v98, 3, v99
	v_cmp_ne_u32_e32 vcc_lo, 0x7c, v3
                                        ; implicit-def: $vgpr3
	s_and_saveexec_b32 s11, vcc_lo
	s_delay_alu instid0(SALU_CYCLE_1)
	s_xor_b32 s11, exec_lo, s11
	s_cbranch_execz .LBB6_3027
; %bb.3024:                             ;   in Loop: Header=BB6_130 Depth=2
	v_bfe_u32 v3, v99, 2, 5
	s_mov_b32 s43, exec_lo
	s_delay_alu instid0(VALU_DEP_1)
	v_cmpx_eq_u32_e32 0, v3
; %bb.3025:                             ;   in Loop: Header=BB6_130 Depth=2
	v_clz_i32_u32_e32 v3, v98
	s_delay_alu instid0(VALU_DEP_1) | instskip(SKIP_1) | instid1(VALU_DEP_2)
	v_min_u32_e32 v100, 32, v3
	v_mov_b32_e32 v3, v25
	v_subrev_nc_u32_e32 v98, 29, v100
	s_delay_alu instid0(VALU_DEP_1) | instskip(NEXT) | instid1(VALU_DEP_1)
	v_lshlrev_b64_e32 v[98:99], v98, v[2:3]
	v_dual_sub_nc_u32 v3, 30, v100 :: v_dual_bitop2_b32 v98, 3, v98 bitop3:0x40
; %bb.3026:                             ;   in Loop: Header=BB6_130 Depth=2
	s_or_b32 exec_lo, exec_lo, s43
	v_lshlrev_b32_e32 v99, 16, v0
	s_delay_alu instid0(VALU_DEP_1) | instskip(NEXT) | instid1(VALU_DEP_1)
	v_and_b32_e32 v99, 0x80000000, v99
	v_lshl_add_u32 v3, v3, 23, v99
	s_delay_alu instid0(VALU_DEP_1) | instskip(NEXT) | instid1(VALU_DEP_1)
	v_lshl_or_b32 v3, v98, 21, v3
                                        ; implicit-def: $vgpr98
	v_add_nc_u32_e32 v3, 0x38000000, v3
.LBB6_3027:                             ;   in Loop: Header=BB6_130 Depth=2
	s_and_not1_saveexec_b32 s43, s11
; %bb.3028:                             ;   in Loop: Header=BB6_130 Depth=2
	v_cmp_lt_i16_e64 s11, -1, v0
	v_cmp_eq_u32_e32 vcc_lo, 0, v98
	s_delay_alu instid0(VALU_DEP_2) | instskip(NEXT) | instid1(VALU_DEP_1)
	v_cndmask_b32_e64 v3, 0xff800000, v62, s11
	v_cndmask_b32_e32 v3, 0x7f800001, v3, vcc_lo
; %bb.3029:                             ;   in Loop: Header=BB6_130 Depth=2
	s_or_b32 exec_lo, exec_lo, s43
.LBB6_3030:                             ;   in Loop: Header=BB6_130 Depth=2
	s_delay_alu instid0(SALU_CYCLE_1)
	s_or_b32 exec_lo, exec_lo, s42
.LBB6_3031:                             ;   in Loop: Header=BB6_130 Depth=2
	s_delay_alu instid0(SALU_CYCLE_1) | instskip(NEXT) | instid1(VALU_DEP_1)
	s_or_b32 exec_lo, exec_lo, s15
	v_max_num_f32_e32 v3, v3, v3
	v_max_num_f32_e32 v7, v7, v7
	s_mov_b32 s11, 0
	s_delay_alu instid0(VALU_DEP_1)
	v_max_num_f32_e32 v3, v7, v3
.LBB6_3032:                             ;   in Loop: Header=BB6_130 Depth=2
	s_and_b32 vcc_lo, exec_lo, s11
	s_cbranch_vccz .LBB6_3054
; %bb.3033:                             ;   in Loop: Header=BB6_130 Depth=2
	v_dual_mov_b32 v3, 0 :: v_dual_mov_b32 v7, 0
	s_and_saveexec_b32 s11, s10
	s_cbranch_execz .LBB6_3043
; %bb.3034:                             ;   in Loop: Header=BB6_130 Depth=2
	v_bfrev_b32_e32 v7, 1
	s_mov_b32 s15, exec_lo
	v_cmpx_ne_u16_e32 0x80, v6
	s_cbranch_execz .LBB6_3042
; %bb.3035:                             ;   in Loop: Header=BB6_130 Depth=2
	v_and_b32_e32 v7, 0x7c, v1
	v_and_b32_e32 v98, 3, v1
	s_delay_alu instid0(VALU_DEP_2) | instskip(SKIP_1) | instid1(SALU_CYCLE_1)
	v_cmp_ne_u32_e32 vcc_lo, 0x7c, v7
                                        ; implicit-def: $vgpr7
	s_and_saveexec_b32 s10, vcc_lo
	s_xor_b32 s10, exec_lo, s10
	s_cbranch_execz .LBB6_3039
; %bb.3036:                             ;   in Loop: Header=BB6_130 Depth=2
	v_bfe_u32 v1, v1, 2, 5
	s_mov_b32 s42, exec_lo
	s_delay_alu instid0(VALU_DEP_1)
	v_cmpx_eq_u32_e32 0, v1
	s_cbranch_execz .LBB6_3038
; %bb.3037:                             ;   in Loop: Header=BB6_130 Depth=2
	v_clz_i32_u32_e32 v1, v98
	s_delay_alu instid0(VALU_DEP_1) | instskip(SKIP_1) | instid1(VALU_DEP_2)
	v_min_u32_e32 v1, 32, v1
	v_mov_b32_e32 v7, v25
	v_subrev_nc_u32_e32 v98, 29, v1
	v_sub_nc_u32_e32 v1, 30, v1
	s_delay_alu instid0(VALU_DEP_2) | instskip(NEXT) | instid1(VALU_DEP_1)
	v_lshlrev_b64_e32 v[6:7], v98, v[6:7]
	v_and_b32_e32 v98, 3, v6
.LBB6_3038:                             ;   in Loop: Header=BB6_130 Depth=2
	s_or_b32 exec_lo, exec_lo, s42
	v_lshlrev_b32_e32 v6, 16, v24
	s_delay_alu instid0(VALU_DEP_1) | instskip(NEXT) | instid1(VALU_DEP_1)
	v_and_b32_e32 v6, 0x80000000, v6
	v_lshl_add_u32 v1, v1, 23, v6
	s_delay_alu instid0(VALU_DEP_1) | instskip(NEXT) | instid1(VALU_DEP_1)
	v_lshl_or_b32 v1, v98, 21, v1
                                        ; implicit-def: $vgpr98
	v_add_nc_u32_e32 v7, 0x38000000, v1
.LBB6_3039:                             ;   in Loop: Header=BB6_130 Depth=2
	s_and_not1_saveexec_b32 s42, s10
; %bb.3040:                             ;   in Loop: Header=BB6_130 Depth=2
	v_cmp_lt_i16_e64 s10, -1, v24
	v_cmp_eq_u32_e32 vcc_lo, 0, v98
	s_delay_alu instid0(VALU_DEP_2) | instskip(NEXT) | instid1(VALU_DEP_1)
	v_cndmask_b32_e64 v1, 0xff800000, v62, s10
	v_cndmask_b32_e32 v7, 0x7f800001, v1, vcc_lo
; %bb.3041:                             ;   in Loop: Header=BB6_130 Depth=2
	s_or_b32 exec_lo, exec_lo, s42
.LBB6_3042:                             ;   in Loop: Header=BB6_130 Depth=2
	s_delay_alu instid0(SALU_CYCLE_1)
	s_or_b32 exec_lo, exec_lo, s15
.LBB6_3043:                             ;   in Loop: Header=BB6_130 Depth=2
	s_delay_alu instid0(SALU_CYCLE_1) | instskip(NEXT) | instid1(SALU_CYCLE_1)
	s_or_b32 exec_lo, exec_lo, s11
	s_mov_b32 s11, exec_lo
	v_cmpx_ne_u16_e32 0, v2
	s_cbranch_execz .LBB6_3053
; %bb.3044:                             ;   in Loop: Header=BB6_130 Depth=2
	v_bfrev_b32_e32 v3, 1
	s_mov_b32 s15, exec_lo
	v_cmpx_ne_u16_e32 0x80, v2
	s_cbranch_execz .LBB6_3052
; %bb.3045:                             ;   in Loop: Header=BB6_130 Depth=2
	v_and_b32_e32 v1, 0xffff, v2
	s_delay_alu instid0(VALU_DEP_1) | instskip(SKIP_1) | instid1(VALU_DEP_2)
	v_and_b32_e32 v3, 0x7c, v1
	v_and_b32_e32 v6, 3, v1
	v_cmp_ne_u32_e32 vcc_lo, 0x7c, v3
                                        ; implicit-def: $vgpr3
	s_and_saveexec_b32 s10, vcc_lo
	s_delay_alu instid0(SALU_CYCLE_1)
	s_xor_b32 s10, exec_lo, s10
	s_cbranch_execz .LBB6_3049
; %bb.3046:                             ;   in Loop: Header=BB6_130 Depth=2
	v_bfe_u32 v1, v1, 2, 5
	s_mov_b32 s42, exec_lo
	s_delay_alu instid0(VALU_DEP_1)
	v_cmpx_eq_u32_e32 0, v1
	s_cbranch_execz .LBB6_3048
; %bb.3047:                             ;   in Loop: Header=BB6_130 Depth=2
	v_clz_i32_u32_e32 v1, v6
	s_delay_alu instid0(VALU_DEP_1) | instskip(SKIP_1) | instid1(VALU_DEP_2)
	v_min_u32_e32 v1, 32, v1
	v_mov_b32_e32 v3, v25
	v_subrev_nc_u32_e32 v6, 29, v1
	v_sub_nc_u32_e32 v1, 30, v1
	s_delay_alu instid0(VALU_DEP_2) | instskip(NEXT) | instid1(VALU_DEP_1)
	v_lshlrev_b64_e32 v[2:3], v6, v[2:3]
	v_and_b32_e32 v6, 3, v2
.LBB6_3048:                             ;   in Loop: Header=BB6_130 Depth=2
	s_or_b32 exec_lo, exec_lo, s42
	v_lshlrev_b32_e32 v0, 16, v0
	s_delay_alu instid0(VALU_DEP_1) | instskip(NEXT) | instid1(VALU_DEP_1)
	v_and_b32_e32 v0, 0x80000000, v0
	v_lshl_add_u32 v0, v1, 23, v0
	s_delay_alu instid0(VALU_DEP_1) | instskip(NEXT) | instid1(VALU_DEP_1)
	v_lshl_or_b32 v0, v6, 21, v0
                                        ; implicit-def: $vgpr6
	v_add_nc_u32_e32 v3, 0x38000000, v0
                                        ; implicit-def: $vgpr0_vgpr1
.LBB6_3049:                             ;   in Loop: Header=BB6_130 Depth=2
	s_and_not1_saveexec_b32 s42, s10
; %bb.3050:                             ;   in Loop: Header=BB6_130 Depth=2
	v_cmp_lt_i16_e64 s10, -1, v0
	v_cmp_eq_u32_e32 vcc_lo, 0, v6
	s_delay_alu instid0(VALU_DEP_2) | instskip(NEXT) | instid1(VALU_DEP_1)
	v_cndmask_b32_e64 v0, 0xff800000, v62, s10
	v_cndmask_b32_e32 v3, 0x7f800001, v0, vcc_lo
; %bb.3051:                             ;   in Loop: Header=BB6_130 Depth=2
	s_or_b32 exec_lo, exec_lo, s42
.LBB6_3052:                             ;   in Loop: Header=BB6_130 Depth=2
	s_delay_alu instid0(SALU_CYCLE_1)
	s_or_b32 exec_lo, exec_lo, s15
.LBB6_3053:                             ;   in Loop: Header=BB6_130 Depth=2
	s_delay_alu instid0(SALU_CYCLE_1) | instskip(NEXT) | instid1(VALU_DEP_1)
	s_or_b32 exec_lo, exec_lo, s11
	v_max_num_f32_e32 v0, v3, v3
	v_max_num_f32_e32 v1, v7, v7
	s_delay_alu instid0(VALU_DEP_1)
	v_min_num_f32_e32 v3, v1, v0
.LBB6_3054:                             ;   in Loop: Header=BB6_130 Depth=2
	s_delay_alu instid0(VALU_DEP_1) | instskip(SKIP_2) | instid1(VALU_DEP_2)
	v_and_b32_e32 v0, 0x7f800000, v3
	v_mov_b32_e32 v1, v25
	v_and_b32_e32 v24, 0x7fffff, v3
                                        ; implicit-def: $vgpr6
	v_cmp_ne_u64_e32 vcc_lo, 0x7f800000, v[0:1]
	v_lshrrev_b32_e32 v0, 24, v3
	s_and_saveexec_b32 s10, vcc_lo
	s_delay_alu instid0(SALU_CYCLE_1)
	s_xor_b32 s11, exec_lo, s10
	s_cbranch_execz .LBB6_3068
; %bb.3055:                             ;   in Loop: Header=BB6_130 Depth=2
	v_and_b32_e32 v6, 0x7fffffff, v3
	v_mov_b32_e32 v7, v25
	s_delay_alu instid0(VALU_DEP_1) | instskip(SKIP_2) | instid1(SALU_CYCLE_1)
	v_cmp_gt_u64_e32 vcc_lo, 0x47600001, v[6:7]
	v_and_b32_e32 v7, 0x80, v0
                                        ; implicit-def: $vgpr6
	s_and_saveexec_b32 s10, vcc_lo
	s_xor_b32 s15, exec_lo, s10
	s_cbranch_execz .LBB6_3065
; %bb.3056:                             ;   in Loop: Header=BB6_130 Depth=2
	v_mov_b32_e32 v6, 0
	s_mov_b32 s42, exec_lo
	v_cmpx_ne_u32_e32 0, v3
	s_cbranch_execz .LBB6_3064
; %bb.3057:                             ;   in Loop: Header=BB6_130 Depth=2
	v_bfe_u32 v6, v3, 23, 8
	v_or_b32_e32 v1, 0x800000, v24
	s_delay_alu instid0(VALU_DEP_2) | instskip(SKIP_2) | instid1(VALU_DEP_2)
	v_cmp_gt_u32_e64 s10, 0x72, v6
	v_sub_nc_u32_e32 v0, 0x71, v6
	v_cmp_eq_u32_e32 vcc_lo, 0, v6
	v_cndmask_b32_e64 v0, 0, v0, s10
	s_delay_alu instid0(VALU_DEP_1) | instskip(NEXT) | instid1(VALU_DEP_1)
	v_cndmask_b32_e64 v98, v0, 0x70, vcc_lo
	v_dual_cndmask_b32 v24, v1, v24, vcc_lo :: v_dual_add_nc_u32 v0, 21, v98
	v_add_nc_u32_e32 v2, 20, v98
	s_delay_alu instid0(VALU_DEP_2) | instskip(NEXT) | instid1(VALU_DEP_2)
	v_lshlrev_b64_e64 v[0:1], v0, -1
	v_lshlrev_b64_e64 v[2:3], v2, 1
	s_delay_alu instid0(VALU_DEP_2) | instskip(NEXT) | instid1(VALU_DEP_3)
	v_bfi_b32 v1, v1, 0, 0
	v_bfi_b32 v0, v0, 0, v24
	s_delay_alu instid0(VALU_DEP_1) | instskip(SKIP_1) | instid1(VALU_DEP_1)
	v_cmp_eq_u64_e64 s10, v[0:1], v[2:3]
	v_lshrrev_b64 v[0:1], v98, v[24:25]
	v_mov_b64_e32 v[2:3], v[0:1]
	s_and_saveexec_b32 s43, s10
; %bb.3058:                             ;   in Loop: Header=BB6_130 Depth=2
	v_bfe_u32 v24, v0, 21, 1
	s_delay_alu instid0(VALU_DEP_1) | instskip(NEXT) | instid1(VALU_DEP_1)
	v_add_nc_u64_e32 v[2:3], v[0:1], v[24:25]
	v_add_nc_u64_e32 v[2:3], -1, v[2:3]
; %bb.3059:                             ;   in Loop: Header=BB6_130 Depth=2
	s_or_b32 exec_lo, exec_lo, s43
	v_add_nc_u32_e32 v1, 0xffffff81, v6
	v_lshrrev_b32_e32 v3, 23, v0
	s_mov_b32 s10, exec_lo
	s_delay_alu instid0(VALU_DEP_2) | instskip(NEXT) | instid1(VALU_DEP_1)
	v_cndmask_b32_e64 v1, v1, 0xffffff82, vcc_lo
	v_add3_u32 v6, v98, v1, v3
	v_and_b32_e32 v1, 0x1fffff, v2
                                        ; implicit-def: $vgpr2
	s_delay_alu instid0(VALU_DEP_1) | instskip(NEXT) | instid1(VALU_DEP_1)
	v_dual_add_nc_u32 v3, 14, v6 :: v_dual_add_nc_u32 v24, v1, v0
                                        ; implicit-def: $vgpr0_vgpr1
	v_cmpx_ne_u32_e32 0, v3
	s_xor_b32 s10, exec_lo, s10
; %bb.3060:                             ;   in Loop: Header=BB6_130 Depth=2
	s_delay_alu instid0(VALU_DEP_2) | instskip(SKIP_1) | instid1(VALU_DEP_1)
	v_cmp_lt_u64_e32 vcc_lo, 0xffffff, v[24:25]
	v_add_nc_u32_e32 v0, 15, v6
	v_cndmask_b32_e32 v2, v3, v0, vcc_lo
	v_cndmask_b32_e64 v0, 0, 1, vcc_lo
	s_delay_alu instid0(VALU_DEP_1)
	v_lshrrev_b64 v[0:1], v0, v[24:25]
; %bb.3061:                             ;   in Loop: Header=BB6_130 Depth=2
	s_and_not1_saveexec_b32 s10, s10
; %bb.3062:                             ;   in Loop: Header=BB6_130 Depth=2
	v_mov_b64_e32 v[0:1], v[24:25]
	v_bfe_u32 v2, v24, 23, 1
; %bb.3063:                             ;   in Loop: Header=BB6_130 Depth=2
	s_or_b32 exec_lo, exec_lo, s10
	s_delay_alu instid0(VALU_DEP_2) | instskip(NEXT) | instid1(VALU_DEP_2)
	v_lshrrev_b64 v[0:1], 21, v[0:1]
	v_cmp_gt_i32_e32 vcc_lo, 32, v2
	v_min_i32_e32 v3, 31, v2
	v_cmp_eq_u32_e64 s10, 0, v2
	s_delay_alu instid0(VALU_DEP_2) | instskip(SKIP_1) | instid1(VALU_DEP_2)
	v_dual_cndmask_b32 v1, 0, v1, vcc_lo :: v_dual_lshlrev_b32 v3, 2, v3
	v_cndmask_b32_e32 v0, 3, v0, vcc_lo
	v_and_b32_e32 v3, 0xfc, v3
	s_delay_alu instid0(VALU_DEP_2) | instskip(NEXT) | instid1(VALU_DEP_2)
	v_cmp_eq_u64_e32 vcc_lo, 0, v[0:1]
	v_and_or_b32 v0, v0, 3, v3
	s_and_b32 s10, s10, vcc_lo
	s_delay_alu instid0(VALU_DEP_1) | instid1(SALU_CYCLE_1)
	v_cndmask_b32_e64 v0, v0, 0, s10
	s_delay_alu instid0(VALU_DEP_1)
	v_or_b32_e32 v6, v0, v7
.LBB6_3064:                             ;   in Loop: Header=BB6_130 Depth=2
	s_or_b32 exec_lo, exec_lo, s42
                                        ; implicit-def: $vgpr7
.LBB6_3065:                             ;   in Loop: Header=BB6_130 Depth=2
	s_and_not1_saveexec_b32 s10, s15
; %bb.3066:                             ;   in Loop: Header=BB6_130 Depth=2
	v_or_b32_e32 v6, 0x7b, v7
; %bb.3067:                             ;   in Loop: Header=BB6_130 Depth=2
	s_or_b32 exec_lo, exec_lo, s10
                                        ; implicit-def: $vgpr3
                                        ; implicit-def: $vgpr0
.LBB6_3068:                             ;   in Loop: Header=BB6_130 Depth=2
	s_and_not1_saveexec_b32 s10, s11
	s_cbranch_execz .LBB6_3074
; %bb.3069:                             ;   in Loop: Header=BB6_130 Depth=2
	s_mov_b32 s11, exec_lo
                                        ; implicit-def: $vgpr6
	v_cmpx_ne_u64_e32 0, v[24:25]
	s_xor_b32 s11, exec_lo, s11
; %bb.3070:                             ;   in Loop: Header=BB6_130 Depth=2
	v_or_b32_e32 v6, 0x7f, v0
                                        ; implicit-def: $vgpr3
; %bb.3071:                             ;   in Loop: Header=BB6_130 Depth=2
	s_and_not1_saveexec_b32 s11, s11
; %bb.3072:                             ;   in Loop: Header=BB6_130 Depth=2
	v_cmp_lt_i32_e32 vcc_lo, -1, v3
	v_cndmask_b32_e32 v6, 0xfc, v93, vcc_lo
; %bb.3073:                             ;   in Loop: Header=BB6_130 Depth=2
	s_or_b32 exec_lo, exec_lo, s11
.LBB6_3074:                             ;   in Loop: Header=BB6_130 Depth=2
	s_delay_alu instid0(SALU_CYCLE_1) | instskip(SKIP_4) | instid1(VALU_DEP_2)
	s_or_b32 exec_lo, exec_lo, s10
	v_lshrrev_b32_e32 v2, 16, v5
	v_lshrrev_b32_e32 v0, 16, v21
	s_mov_b32 s11, -1
	s_and_not1_b32 vcc_lo, exec_lo, s14
                                        ; implicit-def: $vgpr3
	v_and_b32_e32 v1, 0xff, v2
	s_delay_alu instid0(VALU_DEP_1)
	v_cmp_ne_u16_e64 s10, 0, v1
	s_cbranch_vccnz .LBB6_3096
; %bb.3075:                             ;   in Loop: Header=BB6_130 Depth=2
	v_dual_mov_b32 v7, 0 :: v_dual_mov_b32 v3, 0
	s_and_saveexec_b32 s15, s10
	s_cbranch_execz .LBB6_3085
; %bb.3076:                             ;   in Loop: Header=BB6_130 Depth=2
	v_bfrev_b32_e32 v3, 1
	s_mov_b32 s42, exec_lo
	v_cmpx_ne_u16_e32 0x80, v1
	s_cbranch_execz .LBB6_3084
; %bb.3077:                             ;   in Loop: Header=BB6_130 Depth=2
	v_and_b32_e32 v3, 0x7c0000, v5
	v_bfe_u32 v24, v5, 16, 2
	s_delay_alu instid0(VALU_DEP_2) | instskip(SKIP_1) | instid1(SALU_CYCLE_1)
	v_cmp_ne_u32_e32 vcc_lo, 0x7c0000, v3
                                        ; implicit-def: $vgpr3
	s_and_saveexec_b32 s11, vcc_lo
	s_xor_b32 s11, exec_lo, s11
	s_cbranch_execz .LBB6_3081
; %bb.3078:                             ;   in Loop: Header=BB6_130 Depth=2
	v_bfe_u32 v3, v5, 18, 5
	s_mov_b32 s43, exec_lo
	s_delay_alu instid0(VALU_DEP_1)
	v_cmpx_eq_u32_e32 0, v3
; %bb.3079:                             ;   in Loop: Header=BB6_130 Depth=2
	v_clz_i32_u32_e32 v3, v24
	s_delay_alu instid0(VALU_DEP_1) | instskip(NEXT) | instid1(VALU_DEP_1)
	v_min_u32_e32 v3, 32, v3
	v_subrev_nc_u32_e32 v24, 29, v3
	s_delay_alu instid0(VALU_DEP_1) | instskip(NEXT) | instid1(VALU_DEP_1)
	v_lshlrev_b64_e32 v[98:99], v24, v[2:3]
	v_dual_sub_nc_u32 v3, 30, v3 :: v_dual_bitop2_b32 v24, 3, v98 bitop3:0x40
; %bb.3080:                             ;   in Loop: Header=BB6_130 Depth=2
	s_or_b32 exec_lo, exec_lo, s43
	v_lshlrev_b32_e32 v98, 24, v2
	s_delay_alu instid0(VALU_DEP_1) | instskip(NEXT) | instid1(VALU_DEP_1)
	v_and_b32_e32 v98, 0x80000000, v98
	v_lshl_add_u32 v3, v3, 23, v98
	s_delay_alu instid0(VALU_DEP_1) | instskip(NEXT) | instid1(VALU_DEP_1)
	v_lshl_or_b32 v3, v24, 21, v3
                                        ; implicit-def: $vgpr24
	v_add_nc_u32_e32 v3, 0x38000000, v3
.LBB6_3081:                             ;   in Loop: Header=BB6_130 Depth=2
	s_and_not1_saveexec_b32 s43, s11
; %bb.3082:                             ;   in Loop: Header=BB6_130 Depth=2
	v_bfe_i32 v3, v2, 0, 8
	v_cmp_eq_u32_e32 vcc_lo, 0, v24
	s_delay_alu instid0(VALU_DEP_2) | instskip(NEXT) | instid1(VALU_DEP_1)
	v_cmp_lt_i16_e64 s11, -1, v3
	v_cndmask_b32_e64 v3, 0xff800000, v62, s11
	s_delay_alu instid0(VALU_DEP_1)
	v_cndmask_b32_e32 v3, 0x7f800001, v3, vcc_lo
; %bb.3083:                             ;   in Loop: Header=BB6_130 Depth=2
	s_or_b32 exec_lo, exec_lo, s43
.LBB6_3084:                             ;   in Loop: Header=BB6_130 Depth=2
	s_delay_alu instid0(SALU_CYCLE_1)
	s_or_b32 exec_lo, exec_lo, s42
.LBB6_3085:                             ;   in Loop: Header=BB6_130 Depth=2
	s_delay_alu instid0(SALU_CYCLE_1) | instskip(SKIP_2) | instid1(VALU_DEP_1)
	s_or_b32 exec_lo, exec_lo, s15
	v_and_b32_e32 v24, 0xff, v0
	s_mov_b32 s15, exec_lo
	v_cmpx_ne_u16_e32 0, v24
	s_cbranch_execz .LBB6_3095
; %bb.3086:                             ;   in Loop: Header=BB6_130 Depth=2
	v_bfrev_b32_e32 v7, 1
	s_mov_b32 s42, exec_lo
	v_cmpx_ne_u16_e32 0x80, v24
	s_cbranch_execz .LBB6_3094
; %bb.3087:                             ;   in Loop: Header=BB6_130 Depth=2
	v_and_b32_e32 v7, 0x7c0000, v21
	v_bfe_u32 v24, v21, 16, 2
	s_delay_alu instid0(VALU_DEP_2) | instskip(SKIP_1) | instid1(SALU_CYCLE_1)
	v_cmp_ne_u32_e32 vcc_lo, 0x7c0000, v7
                                        ; implicit-def: $vgpr7
	s_and_saveexec_b32 s11, vcc_lo
	s_xor_b32 s11, exec_lo, s11
	s_cbranch_execz .LBB6_3091
; %bb.3088:                             ;   in Loop: Header=BB6_130 Depth=2
	v_bfe_u32 v7, v21, 18, 5
	s_mov_b32 s43, exec_lo
	s_delay_alu instid0(VALU_DEP_1)
	v_cmpx_eq_u32_e32 0, v7
; %bb.3089:                             ;   in Loop: Header=BB6_130 Depth=2
	v_clz_i32_u32_e32 v7, v24
	s_delay_alu instid0(VALU_DEP_1) | instskip(NEXT) | instid1(VALU_DEP_1)
	v_min_u32_e32 v7, 32, v7
	v_subrev_nc_u32_e32 v24, 29, v7
	s_delay_alu instid0(VALU_DEP_1) | instskip(NEXT) | instid1(VALU_DEP_1)
	v_lshlrev_b64_e32 v[98:99], v24, v[0:1]
	v_dual_sub_nc_u32 v7, 30, v7 :: v_dual_bitop2_b32 v24, 3, v98 bitop3:0x40
; %bb.3090:                             ;   in Loop: Header=BB6_130 Depth=2
	s_or_b32 exec_lo, exec_lo, s43
	v_lshlrev_b32_e32 v98, 24, v0
	s_delay_alu instid0(VALU_DEP_1) | instskip(NEXT) | instid1(VALU_DEP_1)
	v_and_b32_e32 v98, 0x80000000, v98
	v_lshl_add_u32 v7, v7, 23, v98
	s_delay_alu instid0(VALU_DEP_1) | instskip(NEXT) | instid1(VALU_DEP_1)
	v_lshl_or_b32 v7, v24, 21, v7
                                        ; implicit-def: $vgpr24
	v_add_nc_u32_e32 v7, 0x38000000, v7
.LBB6_3091:                             ;   in Loop: Header=BB6_130 Depth=2
	s_and_not1_saveexec_b32 s43, s11
; %bb.3092:                             ;   in Loop: Header=BB6_130 Depth=2
	v_bfe_i32 v7, v0, 0, 8
	v_cmp_eq_u32_e32 vcc_lo, 0, v24
	s_delay_alu instid0(VALU_DEP_2) | instskip(NEXT) | instid1(VALU_DEP_1)
	v_cmp_lt_i16_e64 s11, -1, v7
	v_cndmask_b32_e64 v7, 0xff800000, v62, s11
	s_delay_alu instid0(VALU_DEP_1)
	v_cndmask_b32_e32 v7, 0x7f800001, v7, vcc_lo
; %bb.3093:                             ;   in Loop: Header=BB6_130 Depth=2
	s_or_b32 exec_lo, exec_lo, s43
.LBB6_3094:                             ;   in Loop: Header=BB6_130 Depth=2
	s_delay_alu instid0(SALU_CYCLE_1)
	s_or_b32 exec_lo, exec_lo, s42
.LBB6_3095:                             ;   in Loop: Header=BB6_130 Depth=2
	s_delay_alu instid0(SALU_CYCLE_1) | instskip(NEXT) | instid1(VALU_DEP_1)
	s_or_b32 exec_lo, exec_lo, s15
	v_max_num_f32_e32 v7, v7, v7
	v_max_num_f32_e32 v3, v3, v3
	s_mov_b32 s11, 0
	s_delay_alu instid0(VALU_DEP_1)
	v_max_num_f32_e32 v3, v3, v7
.LBB6_3096:                             ;   in Loop: Header=BB6_130 Depth=2
	s_and_b32 vcc_lo, exec_lo, s11
	s_cbranch_vccz .LBB6_3118
; %bb.3097:                             ;   in Loop: Header=BB6_130 Depth=2
	v_dual_mov_b32 v7, 0 :: v_dual_mov_b32 v3, 0
	s_and_saveexec_b32 s11, s10
	s_cbranch_execz .LBB6_3107
; %bb.3098:                             ;   in Loop: Header=BB6_130 Depth=2
	v_bfrev_b32_e32 v3, 1
	s_mov_b32 s15, exec_lo
	v_cmpx_ne_u16_e32 0x80, v1
	s_cbranch_execz .LBB6_3106
; %bb.3099:                             ;   in Loop: Header=BB6_130 Depth=2
	v_and_b32_e32 v3, 0x7c0000, v5
	v_bfe_u32 v1, v5, 16, 2
	s_delay_alu instid0(VALU_DEP_2) | instskip(SKIP_1) | instid1(SALU_CYCLE_1)
	v_cmp_ne_u32_e32 vcc_lo, 0x7c0000, v3
                                        ; implicit-def: $vgpr3
	s_and_saveexec_b32 s10, vcc_lo
	s_xor_b32 s10, exec_lo, s10
	s_cbranch_execz .LBB6_3103
; %bb.3100:                             ;   in Loop: Header=BB6_130 Depth=2
	v_bfe_u32 v3, v5, 18, 5
	s_mov_b32 s42, exec_lo
	s_delay_alu instid0(VALU_DEP_1)
	v_cmpx_eq_u32_e32 0, v3
; %bb.3101:                             ;   in Loop: Header=BB6_130 Depth=2
	v_clz_i32_u32_e32 v1, v1
	s_delay_alu instid0(VALU_DEP_1) | instskip(NEXT) | instid1(VALU_DEP_1)
	v_min_u32_e32 v1, 32, v1
	v_subrev_nc_u32_e32 v3, 29, v1
	s_delay_alu instid0(VALU_DEP_1) | instskip(NEXT) | instid1(VALU_DEP_1)
	v_lshlrev_b64_e32 v[98:99], v3, v[2:3]
	v_dual_sub_nc_u32 v3, 30, v1 :: v_dual_bitop2_b32 v1, 3, v98 bitop3:0x40
; %bb.3102:                             ;   in Loop: Header=BB6_130 Depth=2
	s_or_b32 exec_lo, exec_lo, s42
	v_lshlrev_b32_e32 v2, 24, v2
	s_delay_alu instid0(VALU_DEP_1) | instskip(NEXT) | instid1(VALU_DEP_1)
	v_and_b32_e32 v2, 0x80000000, v2
	v_lshl_add_u32 v2, v3, 23, v2
	s_delay_alu instid0(VALU_DEP_1) | instskip(NEXT) | instid1(VALU_DEP_1)
	v_lshl_or_b32 v1, v1, 21, v2
                                        ; implicit-def: $vgpr2
	v_add_nc_u32_e32 v3, 0x38000000, v1
                                        ; implicit-def: $vgpr1
.LBB6_3103:                             ;   in Loop: Header=BB6_130 Depth=2
	s_and_not1_saveexec_b32 s42, s10
; %bb.3104:                             ;   in Loop: Header=BB6_130 Depth=2
	v_bfe_i32 v2, v2, 0, 8
	v_cmp_eq_u32_e32 vcc_lo, 0, v1
	s_delay_alu instid0(VALU_DEP_2) | instskip(NEXT) | instid1(VALU_DEP_1)
	v_cmp_lt_i16_e64 s10, -1, v2
	v_cndmask_b32_e64 v1, 0xff800000, v62, s10
	s_delay_alu instid0(VALU_DEP_1)
	v_cndmask_b32_e32 v3, 0x7f800001, v1, vcc_lo
; %bb.3105:                             ;   in Loop: Header=BB6_130 Depth=2
	s_or_b32 exec_lo, exec_lo, s42
.LBB6_3106:                             ;   in Loop: Header=BB6_130 Depth=2
	s_delay_alu instid0(SALU_CYCLE_1)
	s_or_b32 exec_lo, exec_lo, s15
.LBB6_3107:                             ;   in Loop: Header=BB6_130 Depth=2
	s_delay_alu instid0(SALU_CYCLE_1) | instskip(SKIP_2) | instid1(VALU_DEP_1)
	s_or_b32 exec_lo, exec_lo, s11
	v_and_b32_e32 v1, 0xff, v0
	s_mov_b32 s11, exec_lo
	v_cmpx_ne_u16_e32 0, v1
	s_cbranch_execz .LBB6_3117
; %bb.3108:                             ;   in Loop: Header=BB6_130 Depth=2
	v_bfrev_b32_e32 v7, 1
	s_mov_b32 s15, exec_lo
	v_cmpx_ne_u16_e32 0x80, v1
	s_cbranch_execz .LBB6_3116
; %bb.3109:                             ;   in Loop: Header=BB6_130 Depth=2
	v_and_b32_e32 v2, 0x7c0000, v21
	v_bfe_u32 v1, v21, 16, 2
	s_mov_b32 s10, exec_lo
                                        ; implicit-def: $vgpr7
	s_delay_alu instid0(VALU_DEP_2)
	v_cmpx_ne_u32_e32 0x7c0000, v2
	s_xor_b32 s10, exec_lo, s10
	s_cbranch_execz .LBB6_3113
; %bb.3110:                             ;   in Loop: Header=BB6_130 Depth=2
	v_bfe_u32 v2, v21, 18, 5
	s_mov_b32 s42, exec_lo
	s_delay_alu instid0(VALU_DEP_1)
	v_cmpx_eq_u32_e32 0, v2
; %bb.3111:                             ;   in Loop: Header=BB6_130 Depth=2
	v_clz_i32_u32_e32 v1, v1
	s_delay_alu instid0(VALU_DEP_1) | instskip(NEXT) | instid1(VALU_DEP_1)
	v_min_u32_e32 v1, 32, v1
	v_subrev_nc_u32_e32 v2, 29, v1
	s_delay_alu instid0(VALU_DEP_1) | instskip(NEXT) | instid1(VALU_DEP_1)
	v_lshlrev_b64_e32 v[98:99], v2, v[0:1]
	v_dual_sub_nc_u32 v2, 30, v1 :: v_dual_bitop2_b32 v1, 3, v98 bitop3:0x40
; %bb.3112:                             ;   in Loop: Header=BB6_130 Depth=2
	s_or_b32 exec_lo, exec_lo, s42
	v_lshlrev_b32_e32 v0, 24, v0
	s_delay_alu instid0(VALU_DEP_1) | instskip(NEXT) | instid1(VALU_DEP_1)
	v_and_b32_e32 v0, 0x80000000, v0
	v_lshl_add_u32 v0, v2, 23, v0
	s_delay_alu instid0(VALU_DEP_1) | instskip(NEXT) | instid1(VALU_DEP_1)
	v_lshl_or_b32 v0, v1, 21, v0
                                        ; implicit-def: $vgpr1
	v_add_nc_u32_e32 v7, 0x38000000, v0
                                        ; implicit-def: $vgpr0
.LBB6_3113:                             ;   in Loop: Header=BB6_130 Depth=2
	s_and_not1_saveexec_b32 s42, s10
; %bb.3114:                             ;   in Loop: Header=BB6_130 Depth=2
	v_bfe_i32 v0, v0, 0, 8
	v_cmp_eq_u32_e32 vcc_lo, 0, v1
	s_delay_alu instid0(VALU_DEP_2) | instskip(NEXT) | instid1(VALU_DEP_1)
	v_cmp_lt_i16_e64 s10, -1, v0
	v_cndmask_b32_e64 v0, 0xff800000, v62, s10
	s_delay_alu instid0(VALU_DEP_1)
	v_cndmask_b32_e32 v7, 0x7f800001, v0, vcc_lo
; %bb.3115:                             ;   in Loop: Header=BB6_130 Depth=2
	s_or_b32 exec_lo, exec_lo, s42
.LBB6_3116:                             ;   in Loop: Header=BB6_130 Depth=2
	s_delay_alu instid0(SALU_CYCLE_1)
	s_or_b32 exec_lo, exec_lo, s15
.LBB6_3117:                             ;   in Loop: Header=BB6_130 Depth=2
	s_delay_alu instid0(SALU_CYCLE_1) | instskip(NEXT) | instid1(VALU_DEP_1)
	s_or_b32 exec_lo, exec_lo, s11
	v_max_num_f32_e32 v0, v7, v7
	v_max_num_f32_e32 v1, v3, v3
	s_delay_alu instid0(VALU_DEP_1)
	v_min_num_f32_e32 v3, v1, v0
.LBB6_3118:                             ;   in Loop: Header=BB6_130 Depth=2
	s_delay_alu instid0(VALU_DEP_1) | instskip(SKIP_2) | instid1(VALU_DEP_2)
	v_and_b32_e32 v0, 0x7f800000, v3
	v_mov_b32_e32 v1, v25
	v_and_b32_e32 v24, 0x7fffff, v3
                                        ; implicit-def: $vgpr7
	v_cmp_ne_u64_e32 vcc_lo, 0x7f800000, v[0:1]
	v_lshrrev_b32_e32 v0, 24, v3
	s_and_saveexec_b32 s10, vcc_lo
	s_delay_alu instid0(SALU_CYCLE_1)
	s_xor_b32 s11, exec_lo, s10
	s_cbranch_execz .LBB6_3132
; %bb.3119:                             ;   in Loop: Header=BB6_130 Depth=2
	v_and_b32_e32 v98, 0x7fffffff, v3
	v_mov_b32_e32 v99, v25
                                        ; implicit-def: $vgpr7
	s_delay_alu instid0(VALU_DEP_1) | instskip(SKIP_2) | instid1(SALU_CYCLE_1)
	v_cmp_gt_u64_e32 vcc_lo, 0x47600001, v[98:99]
	v_and_b32_e32 v98, 0x80, v0
	s_and_saveexec_b32 s10, vcc_lo
	s_xor_b32 s15, exec_lo, s10
	s_cbranch_execz .LBB6_3129
; %bb.3120:                             ;   in Loop: Header=BB6_130 Depth=2
	v_mov_b32_e32 v7, 0
	s_mov_b32 s42, exec_lo
	v_cmpx_ne_u32_e32 0, v3
	s_cbranch_execz .LBB6_3128
; %bb.3121:                             ;   in Loop: Header=BB6_130 Depth=2
	v_bfe_u32 v7, v3, 23, 8
	v_or_b32_e32 v1, 0x800000, v24
	s_delay_alu instid0(VALU_DEP_2) | instskip(SKIP_2) | instid1(VALU_DEP_2)
	v_cmp_gt_u32_e64 s10, 0x72, v7
	v_sub_nc_u32_e32 v0, 0x71, v7
	v_cmp_eq_u32_e32 vcc_lo, 0, v7
	v_cndmask_b32_e64 v0, 0, v0, s10
	s_delay_alu instid0(VALU_DEP_1) | instskip(NEXT) | instid1(VALU_DEP_1)
	v_cndmask_b32_e64 v99, v0, 0x70, vcc_lo
	v_dual_cndmask_b32 v24, v1, v24, vcc_lo :: v_dual_add_nc_u32 v0, 21, v99
	v_add_nc_u32_e32 v2, 20, v99
	s_delay_alu instid0(VALU_DEP_2) | instskip(NEXT) | instid1(VALU_DEP_2)
	v_lshlrev_b64_e64 v[0:1], v0, -1
	v_lshlrev_b64_e64 v[2:3], v2, 1
	s_delay_alu instid0(VALU_DEP_2) | instskip(NEXT) | instid1(VALU_DEP_3)
	v_bfi_b32 v1, v1, 0, 0
	v_bfi_b32 v0, v0, 0, v24
	s_delay_alu instid0(VALU_DEP_1) | instskip(SKIP_1) | instid1(VALU_DEP_1)
	v_cmp_eq_u64_e64 s10, v[0:1], v[2:3]
	v_lshrrev_b64 v[0:1], v99, v[24:25]
	v_mov_b64_e32 v[2:3], v[0:1]
	s_and_saveexec_b32 s43, s10
; %bb.3122:                             ;   in Loop: Header=BB6_130 Depth=2
	v_bfe_u32 v24, v0, 21, 1
	s_delay_alu instid0(VALU_DEP_1) | instskip(NEXT) | instid1(VALU_DEP_1)
	v_add_nc_u64_e32 v[2:3], v[0:1], v[24:25]
	v_add_nc_u64_e32 v[2:3], -1, v[2:3]
; %bb.3123:                             ;   in Loop: Header=BB6_130 Depth=2
	s_or_b32 exec_lo, exec_lo, s43
	v_add_nc_u32_e32 v1, 0xffffff81, v7
	v_lshrrev_b32_e32 v3, 23, v0
	s_mov_b32 s10, exec_lo
	s_delay_alu instid0(VALU_DEP_2) | instskip(NEXT) | instid1(VALU_DEP_1)
	v_cndmask_b32_e64 v1, v1, 0xffffff82, vcc_lo
	v_add3_u32 v7, v99, v1, v3
	v_and_b32_e32 v1, 0x1fffff, v2
                                        ; implicit-def: $vgpr2
	s_delay_alu instid0(VALU_DEP_1) | instskip(NEXT) | instid1(VALU_DEP_1)
	v_dual_add_nc_u32 v3, 14, v7 :: v_dual_add_nc_u32 v24, v1, v0
                                        ; implicit-def: $vgpr0_vgpr1
	v_cmpx_ne_u32_e32 0, v3
	s_xor_b32 s10, exec_lo, s10
; %bb.3124:                             ;   in Loop: Header=BB6_130 Depth=2
	s_delay_alu instid0(VALU_DEP_2) | instskip(SKIP_1) | instid1(VALU_DEP_1)
	v_cmp_lt_u64_e32 vcc_lo, 0xffffff, v[24:25]
	v_add_nc_u32_e32 v0, 15, v7
	v_cndmask_b32_e32 v2, v3, v0, vcc_lo
	v_cndmask_b32_e64 v0, 0, 1, vcc_lo
	s_delay_alu instid0(VALU_DEP_1)
	v_lshrrev_b64 v[0:1], v0, v[24:25]
; %bb.3125:                             ;   in Loop: Header=BB6_130 Depth=2
	s_and_not1_saveexec_b32 s10, s10
; %bb.3126:                             ;   in Loop: Header=BB6_130 Depth=2
	v_mov_b64_e32 v[0:1], v[24:25]
	v_bfe_u32 v2, v24, 23, 1
; %bb.3127:                             ;   in Loop: Header=BB6_130 Depth=2
	s_or_b32 exec_lo, exec_lo, s10
	s_delay_alu instid0(VALU_DEP_2) | instskip(NEXT) | instid1(VALU_DEP_2)
	v_lshrrev_b64 v[0:1], 21, v[0:1]
	v_cmp_gt_i32_e32 vcc_lo, 32, v2
	v_min_i32_e32 v3, 31, v2
	v_cmp_eq_u32_e64 s10, 0, v2
	s_delay_alu instid0(VALU_DEP_2) | instskip(SKIP_1) | instid1(VALU_DEP_2)
	v_dual_cndmask_b32 v1, 0, v1, vcc_lo :: v_dual_lshlrev_b32 v3, 2, v3
	v_cndmask_b32_e32 v0, 3, v0, vcc_lo
	v_and_b32_e32 v3, 0xfc, v3
	s_delay_alu instid0(VALU_DEP_2) | instskip(NEXT) | instid1(VALU_DEP_2)
	v_cmp_eq_u64_e32 vcc_lo, 0, v[0:1]
	v_and_or_b32 v0, v0, 3, v3
	s_and_b32 s10, s10, vcc_lo
	s_delay_alu instid0(VALU_DEP_1) | instid1(SALU_CYCLE_1)
	v_cndmask_b32_e64 v0, v0, 0, s10
	s_delay_alu instid0(VALU_DEP_1)
	v_or_b32_e32 v7, v0, v98
.LBB6_3128:                             ;   in Loop: Header=BB6_130 Depth=2
	s_or_b32 exec_lo, exec_lo, s42
                                        ; implicit-def: $vgpr98
.LBB6_3129:                             ;   in Loop: Header=BB6_130 Depth=2
	s_and_not1_saveexec_b32 s10, s15
; %bb.3130:                             ;   in Loop: Header=BB6_130 Depth=2
	v_or_b32_e32 v7, 0x7b, v98
; %bb.3131:                             ;   in Loop: Header=BB6_130 Depth=2
	s_or_b32 exec_lo, exec_lo, s10
                                        ; implicit-def: $vgpr3
                                        ; implicit-def: $vgpr0
.LBB6_3132:                             ;   in Loop: Header=BB6_130 Depth=2
	s_and_not1_saveexec_b32 s10, s11
	s_cbranch_execz .LBB6_3138
; %bb.3133:                             ;   in Loop: Header=BB6_130 Depth=2
	s_mov_b32 s11, exec_lo
                                        ; implicit-def: $vgpr7
	v_cmpx_ne_u64_e32 0, v[24:25]
	s_xor_b32 s11, exec_lo, s11
; %bb.3134:                             ;   in Loop: Header=BB6_130 Depth=2
	v_or_b32_e32 v7, 0x7f, v0
                                        ; implicit-def: $vgpr3
; %bb.3135:                             ;   in Loop: Header=BB6_130 Depth=2
	s_and_not1_saveexec_b32 s11, s11
; %bb.3136:                             ;   in Loop: Header=BB6_130 Depth=2
	v_cmp_lt_i32_e32 vcc_lo, -1, v3
	v_cndmask_b32_e32 v7, 0xfc, v93, vcc_lo
; %bb.3137:                             ;   in Loop: Header=BB6_130 Depth=2
	s_or_b32 exec_lo, exec_lo, s11
.LBB6_3138:                             ;   in Loop: Header=BB6_130 Depth=2
	s_delay_alu instid0(SALU_CYCLE_1)
	s_or_b32 exec_lo, exec_lo, s10
	v_cmp_lt_u64_e64 s10, s[16:17], v[4:5]
	v_lshrrev_b32_e32 v2, 24, v5
	v_lshrrev_b32_e32 v0, 24, v21
	s_mov_b32 s11, -1
	s_and_not1_b32 vcc_lo, exec_lo, s14
                                        ; implicit-def: $vgpr1
	s_cbranch_vccnz .LBB6_3160
; %bb.3139:                             ;   in Loop: Header=BB6_130 Depth=2
	v_dual_mov_b32 v3, 0 :: v_dual_mov_b32 v1, 0
	s_and_saveexec_b32 s15, s10
	s_cbranch_execz .LBB6_3149
; %bb.3140:                             ;   in Loop: Header=BB6_130 Depth=2
	v_bfrev_b32_e32 v1, 1
	s_mov_b32 s42, exec_lo
	v_cmpx_ne_u32_e32 0x80, v2
	s_cbranch_execz .LBB6_3148
; %bb.3141:                             ;   in Loop: Header=BB6_130 Depth=2
	v_and_b32_e32 v1, 0x7c000000, v5
	v_bfe_u32 v24, v5, 24, 2
	s_delay_alu instid0(VALU_DEP_2) | instskip(SKIP_1) | instid1(SALU_CYCLE_1)
	v_cmp_ne_u32_e32 vcc_lo, 0x7c000000, v1
                                        ; implicit-def: $vgpr1
	s_and_saveexec_b32 s11, vcc_lo
	s_xor_b32 s11, exec_lo, s11
	s_cbranch_execz .LBB6_3145
; %bb.3142:                             ;   in Loop: Header=BB6_130 Depth=2
	v_bfe_u32 v1, v5, 26, 5
	s_mov_b32 s43, exec_lo
	s_delay_alu instid0(VALU_DEP_1)
	v_cmpx_eq_u32_e32 0, v1
; %bb.3143:                             ;   in Loop: Header=BB6_130 Depth=2
	v_clz_i32_u32_e32 v1, v24
	s_delay_alu instid0(VALU_DEP_1) | instskip(NEXT) | instid1(VALU_DEP_1)
	v_min_u32_e32 v1, 32, v1
	v_subrev_nc_u32_e32 v24, 29, v1
	s_delay_alu instid0(VALU_DEP_1) | instskip(NEXT) | instid1(VALU_DEP_1)
	v_lshlrev_b64_e32 v[98:99], v24, v[2:3]
	v_dual_sub_nc_u32 v1, 30, v1 :: v_dual_bitop2_b32 v24, 3, v98 bitop3:0x40
; %bb.3144:                             ;   in Loop: Header=BB6_130 Depth=2
	s_or_b32 exec_lo, exec_lo, s43
	v_and_b32_e32 v98, 0x80000000, v5
	s_delay_alu instid0(VALU_DEP_1) | instskip(NEXT) | instid1(VALU_DEP_1)
	v_lshl_add_u32 v1, v1, 23, v98
	v_lshl_or_b32 v1, v24, 21, v1
                                        ; implicit-def: $vgpr24
	s_delay_alu instid0(VALU_DEP_1)
	v_add_nc_u32_e32 v1, 0x38000000, v1
.LBB6_3145:                             ;   in Loop: Header=BB6_130 Depth=2
	s_and_not1_saveexec_b32 s43, s11
; %bb.3146:                             ;   in Loop: Header=BB6_130 Depth=2
	v_cmp_lt_i64_e64 s11, -1, v[4:5]
	v_cmp_eq_u32_e32 vcc_lo, 0, v24
	s_delay_alu instid0(VALU_DEP_2) | instskip(NEXT) | instid1(VALU_DEP_1)
	v_cndmask_b32_e64 v1, 0xff800000, v62, s11
	v_cndmask_b32_e32 v1, 0x7f800001, v1, vcc_lo
; %bb.3147:                             ;   in Loop: Header=BB6_130 Depth=2
	s_or_b32 exec_lo, exec_lo, s43
.LBB6_3148:                             ;   in Loop: Header=BB6_130 Depth=2
	s_delay_alu instid0(SALU_CYCLE_1)
	s_or_b32 exec_lo, exec_lo, s42
.LBB6_3149:                             ;   in Loop: Header=BB6_130 Depth=2
	s_delay_alu instid0(SALU_CYCLE_1) | instskip(NEXT) | instid1(SALU_CYCLE_1)
	s_or_b32 exec_lo, exec_lo, s15
	s_mov_b32 s15, exec_lo
	v_cmpx_lt_u64_e64 s[16:17], v[20:21]
	s_cbranch_execz .LBB6_3159
; %bb.3150:                             ;   in Loop: Header=BB6_130 Depth=2
	v_bfrev_b32_e32 v3, 1
	s_mov_b32 s42, exec_lo
	v_cmpx_ne_u32_e32 0x80, v0
	s_cbranch_execz .LBB6_3158
; %bb.3151:                             ;   in Loop: Header=BB6_130 Depth=2
	v_and_b32_e32 v3, 0x7c000000, v21
	v_bfe_u32 v24, v21, 24, 2
	s_delay_alu instid0(VALU_DEP_2) | instskip(SKIP_1) | instid1(SALU_CYCLE_1)
	v_cmp_ne_u32_e32 vcc_lo, 0x7c000000, v3
                                        ; implicit-def: $vgpr3
	s_and_saveexec_b32 s11, vcc_lo
	s_xor_b32 s11, exec_lo, s11
	s_cbranch_execz .LBB6_3155
; %bb.3152:                             ;   in Loop: Header=BB6_130 Depth=2
	v_bfe_u32 v3, v21, 26, 5
	s_mov_b32 s43, exec_lo
	s_delay_alu instid0(VALU_DEP_1)
	v_cmpx_eq_u32_e32 0, v3
; %bb.3153:                             ;   in Loop: Header=BB6_130 Depth=2
	v_clz_i32_u32_e32 v3, v24
	s_delay_alu instid0(VALU_DEP_1) | instskip(NEXT) | instid1(VALU_DEP_1)
	v_min_u32_e32 v3, 32, v3
	v_subrev_nc_u32_e32 v24, 29, v3
	s_delay_alu instid0(VALU_DEP_1) | instskip(NEXT) | instid1(VALU_DEP_1)
	v_lshlrev_b64_e32 v[98:99], v24, v[0:1]
	v_dual_sub_nc_u32 v3, 30, v3 :: v_dual_bitop2_b32 v24, 3, v98 bitop3:0x40
; %bb.3154:                             ;   in Loop: Header=BB6_130 Depth=2
	s_or_b32 exec_lo, exec_lo, s43
	v_and_b32_e32 v98, 0x80000000, v21
	s_delay_alu instid0(VALU_DEP_1) | instskip(NEXT) | instid1(VALU_DEP_1)
	v_lshl_add_u32 v3, v3, 23, v98
	v_lshl_or_b32 v3, v24, 21, v3
                                        ; implicit-def: $vgpr24
	s_delay_alu instid0(VALU_DEP_1)
	v_add_nc_u32_e32 v3, 0x38000000, v3
.LBB6_3155:                             ;   in Loop: Header=BB6_130 Depth=2
	s_and_not1_saveexec_b32 s43, s11
; %bb.3156:                             ;   in Loop: Header=BB6_130 Depth=2
	v_cmp_lt_i64_e64 s11, -1, v[20:21]
	v_cmp_eq_u32_e32 vcc_lo, 0, v24
	s_delay_alu instid0(VALU_DEP_2) | instskip(NEXT) | instid1(VALU_DEP_1)
	v_cndmask_b32_e64 v3, 0xff800000, v62, s11
	v_cndmask_b32_e32 v3, 0x7f800001, v3, vcc_lo
; %bb.3157:                             ;   in Loop: Header=BB6_130 Depth=2
	s_or_b32 exec_lo, exec_lo, s43
.LBB6_3158:                             ;   in Loop: Header=BB6_130 Depth=2
	s_delay_alu instid0(SALU_CYCLE_1)
	s_or_b32 exec_lo, exec_lo, s42
.LBB6_3159:                             ;   in Loop: Header=BB6_130 Depth=2
	s_delay_alu instid0(SALU_CYCLE_1) | instskip(NEXT) | instid1(VALU_DEP_1)
	s_or_b32 exec_lo, exec_lo, s15
	v_dual_max_num_f32 v3, v3, v3 :: v_dual_max_num_f32 v1, v1, v1
	s_mov_b32 s11, 0
	s_delay_alu instid0(VALU_DEP_1)
	v_max_num_f32_e32 v1, v1, v3
.LBB6_3160:                             ;   in Loop: Header=BB6_130 Depth=2
	s_and_b32 vcc_lo, exec_lo, s11
	s_cbranch_vccz .LBB6_3182
; %bb.3161:                             ;   in Loop: Header=BB6_130 Depth=2
	v_dual_mov_b32 v1, 0 :: v_dual_mov_b32 v3, 0
	s_and_saveexec_b32 s11, s10
	s_cbranch_execz .LBB6_3171
; %bb.3162:                             ;   in Loop: Header=BB6_130 Depth=2
	v_bfrev_b32_e32 v3, 1
	s_mov_b32 s15, exec_lo
	v_cmpx_ne_u32_e32 0x80, v2
	s_cbranch_execz .LBB6_3170
; %bb.3163:                             ;   in Loop: Header=BB6_130 Depth=2
	v_and_b32_e32 v3, 0x7c000000, v5
	v_bfe_u32 v24, v5, 24, 2
	s_delay_alu instid0(VALU_DEP_2) | instskip(SKIP_1) | instid1(SALU_CYCLE_1)
	v_cmp_ne_u32_e32 vcc_lo, 0x7c000000, v3
                                        ; implicit-def: $vgpr3
	s_and_saveexec_b32 s10, vcc_lo
	s_xor_b32 s10, exec_lo, s10
	s_cbranch_execz .LBB6_3167
; %bb.3164:                             ;   in Loop: Header=BB6_130 Depth=2
	v_bfe_u32 v3, v5, 26, 5
	s_mov_b32 s42, exec_lo
	s_delay_alu instid0(VALU_DEP_1)
	v_cmpx_eq_u32_e32 0, v3
; %bb.3165:                             ;   in Loop: Header=BB6_130 Depth=2
	v_clz_i32_u32_e32 v3, v24
	s_delay_alu instid0(VALU_DEP_1) | instskip(NEXT) | instid1(VALU_DEP_1)
	v_min_u32_e32 v4, 32, v3
	v_subrev_nc_u32_e32 v3, 29, v4
	s_delay_alu instid0(VALU_DEP_1) | instskip(NEXT) | instid1(VALU_DEP_1)
	v_lshlrev_b64_e32 v[2:3], v3, v[2:3]
	v_dual_sub_nc_u32 v3, 30, v4 :: v_dual_bitop2_b32 v24, 3, v2 bitop3:0x40
; %bb.3166:                             ;   in Loop: Header=BB6_130 Depth=2
	s_or_b32 exec_lo, exec_lo, s42
	v_and_b32_e32 v2, 0x80000000, v5
                                        ; implicit-def: $vgpr4_vgpr5
	s_delay_alu instid0(VALU_DEP_1) | instskip(NEXT) | instid1(VALU_DEP_1)
	v_lshl_add_u32 v2, v3, 23, v2
	v_lshl_or_b32 v2, v24, 21, v2
                                        ; implicit-def: $vgpr24
	s_delay_alu instid0(VALU_DEP_1)
	v_add_nc_u32_e32 v3, 0x38000000, v2
.LBB6_3167:                             ;   in Loop: Header=BB6_130 Depth=2
	s_and_not1_saveexec_b32 s42, s10
; %bb.3168:                             ;   in Loop: Header=BB6_130 Depth=2
	v_cmp_lt_i64_e64 s10, -1, v[4:5]
	v_cmp_eq_u32_e32 vcc_lo, 0, v24
	s_delay_alu instid0(VALU_DEP_2) | instskip(NEXT) | instid1(VALU_DEP_1)
	v_cndmask_b32_e64 v2, 0xff800000, v62, s10
	v_cndmask_b32_e32 v3, 0x7f800001, v2, vcc_lo
; %bb.3169:                             ;   in Loop: Header=BB6_130 Depth=2
	s_or_b32 exec_lo, exec_lo, s42
.LBB6_3170:                             ;   in Loop: Header=BB6_130 Depth=2
	s_delay_alu instid0(SALU_CYCLE_1)
	s_or_b32 exec_lo, exec_lo, s15
.LBB6_3171:                             ;   in Loop: Header=BB6_130 Depth=2
	s_delay_alu instid0(SALU_CYCLE_1) | instskip(NEXT) | instid1(SALU_CYCLE_1)
	s_or_b32 exec_lo, exec_lo, s11
	s_mov_b32 s10, exec_lo
	v_cmpx_lt_u64_e64 s[16:17], v[20:21]
	s_cbranch_execz .LBB6_3181
; %bb.3172:                             ;   in Loop: Header=BB6_130 Depth=2
	v_bfrev_b32_e32 v1, 1
	s_mov_b32 s11, exec_lo
	v_cmpx_ne_u32_e32 0x80, v0
	s_cbranch_execz .LBB6_3180
; %bb.3173:                             ;   in Loop: Header=BB6_130 Depth=2
	v_and_b32_e32 v1, 0x7c000000, v21
	v_bfe_u32 v2, v21, 24, 2
	s_delay_alu instid0(VALU_DEP_2) | instskip(SKIP_1) | instid1(SALU_CYCLE_1)
	v_cmp_ne_u32_e32 vcc_lo, 0x7c000000, v1
                                        ; implicit-def: $vgpr1
	s_and_saveexec_b32 s15, vcc_lo
	s_xor_b32 s15, exec_lo, s15
	s_cbranch_execz .LBB6_3177
; %bb.3174:                             ;   in Loop: Header=BB6_130 Depth=2
	v_bfe_u32 v1, v21, 26, 5
	s_mov_b32 s42, exec_lo
	s_delay_alu instid0(VALU_DEP_1)
	v_cmpx_eq_u32_e32 0, v1
; %bb.3175:                             ;   in Loop: Header=BB6_130 Depth=2
	v_clz_i32_u32_e32 v1, v2
	s_delay_alu instid0(VALU_DEP_1) | instskip(NEXT) | instid1(VALU_DEP_1)
	v_min_u32_e32 v2, 32, v1
	v_subrev_nc_u32_e32 v1, 29, v2
	s_delay_alu instid0(VALU_DEP_1) | instskip(NEXT) | instid1(VALU_DEP_1)
	v_lshlrev_b64_e32 v[0:1], v1, v[0:1]
	v_dual_sub_nc_u32 v1, 30, v2 :: v_dual_bitop2_b32 v2, 3, v0 bitop3:0x40
; %bb.3176:                             ;   in Loop: Header=BB6_130 Depth=2
	s_or_b32 exec_lo, exec_lo, s42
	v_and_b32_e32 v0, 0x80000000, v21
                                        ; implicit-def: $vgpr20_vgpr21
	s_delay_alu instid0(VALU_DEP_1) | instskip(NEXT) | instid1(VALU_DEP_1)
	v_lshl_add_u32 v0, v1, 23, v0
	v_lshl_or_b32 v0, v2, 21, v0
                                        ; implicit-def: $vgpr2
	s_delay_alu instid0(VALU_DEP_1)
	v_add_nc_u32_e32 v1, 0x38000000, v0
.LBB6_3177:                             ;   in Loop: Header=BB6_130 Depth=2
	s_and_not1_saveexec_b32 s15, s15
; %bb.3178:                             ;   in Loop: Header=BB6_130 Depth=2
	v_cmp_lt_i64_e32 vcc_lo, -1, v[20:21]
	v_cndmask_b32_e32 v0, 0xff800000, v62, vcc_lo
	v_cmp_eq_u32_e32 vcc_lo, 0, v2
	s_delay_alu instid0(VALU_DEP_2)
	v_cndmask_b32_e32 v1, 0x7f800001, v0, vcc_lo
; %bb.3179:                             ;   in Loop: Header=BB6_130 Depth=2
	s_or_b32 exec_lo, exec_lo, s15
.LBB6_3180:                             ;   in Loop: Header=BB6_130 Depth=2
	s_delay_alu instid0(SALU_CYCLE_1)
	s_or_b32 exec_lo, exec_lo, s11
.LBB6_3181:                             ;   in Loop: Header=BB6_130 Depth=2
	s_delay_alu instid0(SALU_CYCLE_1) | instskip(NEXT) | instid1(VALU_DEP_1)
	s_or_b32 exec_lo, exec_lo, s10
	v_dual_max_num_f32 v0, v1, v1 :: v_dual_max_num_f32 v1, v3, v3
	s_delay_alu instid0(VALU_DEP_1)
	v_min_num_f32_e32 v1, v1, v0
.LBB6_3182:                             ;   in Loop: Header=BB6_130 Depth=2
	s_delay_alu instid0(VALU_DEP_1) | instskip(SKIP_3) | instid1(VALU_DEP_2)
	v_and_b32_e32 v2, 0x7f800000, v1
	v_dual_mov_b32 v3, v25 :: v_dual_lshrrev_b32 v0, 24, v1
	v_and_b32_e32 v24, 0x7fffff, v1
                                        ; implicit-def: $vgpr20
	s_mov_b32 s10, exec_lo
	v_cmpx_ne_u64_e32 0x7f800000, v[2:3]
	s_xor_b32 s11, exec_lo, s10
	s_cbranch_execz .LBB6_3196
; %bb.3183:                             ;   in Loop: Header=BB6_130 Depth=2
	v_and_b32_e32 v2, 0x7fffffff, v1
	v_mov_b32_e32 v3, v25
	v_and_b32_e32 v4, 0x80, v0
                                        ; implicit-def: $vgpr20
	s_mov_b32 s10, exec_lo
	s_delay_alu instid0(VALU_DEP_2)
	v_cmpx_gt_u64_e32 0x47600001, v[2:3]
	s_xor_b32 s15, exec_lo, s10
	s_cbranch_execz .LBB6_3193
; %bb.3184:                             ;   in Loop: Header=BB6_130 Depth=2
	v_mov_b32_e32 v20, 0
	s_mov_b32 s42, exec_lo
	v_cmpx_ne_u32_e32 0, v1
	s_cbranch_execz .LBB6_3192
; %bb.3185:                             ;   in Loop: Header=BB6_130 Depth=2
	v_bfe_u32 v5, v1, 23, 8
	v_or_b32_e32 v1, 0x800000, v24
	s_delay_alu instid0(VALU_DEP_2) | instskip(SKIP_2) | instid1(VALU_DEP_2)
	v_cmp_gt_u32_e64 s10, 0x72, v5
	v_sub_nc_u32_e32 v0, 0x71, v5
	v_cmp_eq_u32_e32 vcc_lo, 0, v5
	v_cndmask_b32_e64 v0, 0, v0, s10
	v_cndmask_b32_e32 v24, v1, v24, vcc_lo
	s_delay_alu instid0(VALU_DEP_2) | instskip(NEXT) | instid1(VALU_DEP_1)
	v_cndmask_b32_e64 v20, v0, 0x70, vcc_lo
	v_dual_add_nc_u32 v0, 21, v20 :: v_dual_add_nc_u32 v2, 20, v20
	s_delay_alu instid0(VALU_DEP_1) | instskip(NEXT) | instid1(VALU_DEP_2)
	v_lshlrev_b64_e64 v[0:1], v0, -1
	v_lshlrev_b64_e64 v[2:3], v2, 1
	s_delay_alu instid0(VALU_DEP_2) | instskip(NEXT) | instid1(VALU_DEP_3)
	v_bfi_b32 v1, v1, 0, 0
	v_bfi_b32 v0, v0, 0, v24
	s_delay_alu instid0(VALU_DEP_1) | instskip(SKIP_1) | instid1(VALU_DEP_1)
	v_cmp_eq_u64_e64 s10, v[0:1], v[2:3]
	v_lshrrev_b64 v[0:1], v20, v[24:25]
	v_mov_b64_e32 v[2:3], v[0:1]
	s_and_saveexec_b32 s43, s10
; %bb.3186:                             ;   in Loop: Header=BB6_130 Depth=2
	v_bfe_u32 v24, v0, 21, 1
	s_delay_alu instid0(VALU_DEP_1) | instskip(NEXT) | instid1(VALU_DEP_1)
	v_add_nc_u64_e32 v[2:3], v[0:1], v[24:25]
	v_add_nc_u64_e32 v[2:3], -1, v[2:3]
; %bb.3187:                             ;   in Loop: Header=BB6_130 Depth=2
	s_or_b32 exec_lo, exec_lo, s43
	v_add_nc_u32_e32 v1, 0xffffff81, v5
	v_lshrrev_b32_e32 v3, 23, v0
	s_mov_b32 s10, exec_lo
	s_delay_alu instid0(VALU_DEP_2) | instskip(NEXT) | instid1(VALU_DEP_1)
	v_cndmask_b32_e64 v1, v1, 0xffffff82, vcc_lo
	v_add3_u32 v5, v20, v1, v3
	v_and_b32_e32 v1, 0x1fffff, v2
                                        ; implicit-def: $vgpr2
	s_delay_alu instid0(VALU_DEP_1) | instskip(NEXT) | instid1(VALU_DEP_1)
	v_dual_add_nc_u32 v3, 14, v5 :: v_dual_add_nc_u32 v24, v1, v0
                                        ; implicit-def: $vgpr0_vgpr1
	v_cmpx_ne_u32_e32 0, v3
	s_xor_b32 s10, exec_lo, s10
; %bb.3188:                             ;   in Loop: Header=BB6_130 Depth=2
	s_delay_alu instid0(VALU_DEP_2) | instskip(SKIP_1) | instid1(VALU_DEP_1)
	v_cmp_lt_u64_e32 vcc_lo, 0xffffff, v[24:25]
	v_add_nc_u32_e32 v0, 15, v5
	v_cndmask_b32_e32 v2, v3, v0, vcc_lo
	v_cndmask_b32_e64 v0, 0, 1, vcc_lo
	s_delay_alu instid0(VALU_DEP_1)
	v_lshrrev_b64 v[0:1], v0, v[24:25]
; %bb.3189:                             ;   in Loop: Header=BB6_130 Depth=2
	s_and_not1_saveexec_b32 s10, s10
; %bb.3190:                             ;   in Loop: Header=BB6_130 Depth=2
	v_mov_b64_e32 v[0:1], v[24:25]
	v_bfe_u32 v2, v24, 23, 1
; %bb.3191:                             ;   in Loop: Header=BB6_130 Depth=2
	s_or_b32 exec_lo, exec_lo, s10
	s_delay_alu instid0(VALU_DEP_2) | instskip(NEXT) | instid1(VALU_DEP_2)
	v_lshrrev_b64 v[0:1], 21, v[0:1]
	v_cmp_gt_i32_e32 vcc_lo, 32, v2
	v_min_i32_e32 v3, 31, v2
	v_cmp_eq_u32_e64 s10, 0, v2
	s_delay_alu instid0(VALU_DEP_2) | instskip(SKIP_1) | instid1(VALU_DEP_2)
	v_dual_cndmask_b32 v1, 0, v1, vcc_lo :: v_dual_lshlrev_b32 v3, 2, v3
	v_cndmask_b32_e32 v0, 3, v0, vcc_lo
	v_and_b32_e32 v3, 0xfc, v3
	s_delay_alu instid0(VALU_DEP_2) | instskip(NEXT) | instid1(VALU_DEP_2)
	v_cmp_eq_u64_e32 vcc_lo, 0, v[0:1]
	v_and_or_b32 v0, v0, 3, v3
	s_and_b32 s10, s10, vcc_lo
	s_delay_alu instid0(VALU_DEP_1) | instid1(SALU_CYCLE_1)
	v_cndmask_b32_e64 v0, v0, 0, s10
	s_delay_alu instid0(VALU_DEP_1)
	v_or_b32_e32 v20, v0, v4
.LBB6_3192:                             ;   in Loop: Header=BB6_130 Depth=2
	s_or_b32 exec_lo, exec_lo, s42
                                        ; implicit-def: $vgpr4
.LBB6_3193:                             ;   in Loop: Header=BB6_130 Depth=2
	s_and_not1_saveexec_b32 s10, s15
; %bb.3194:                             ;   in Loop: Header=BB6_130 Depth=2
	v_or_b32_e32 v20, 0x7b, v4
; %bb.3195:                             ;   in Loop: Header=BB6_130 Depth=2
	s_or_b32 exec_lo, exec_lo, s10
                                        ; implicit-def: $vgpr1
                                        ; implicit-def: $vgpr0
.LBB6_3196:                             ;   in Loop: Header=BB6_130 Depth=2
	s_and_not1_saveexec_b32 s10, s11
	s_cbranch_execz .LBB6_3202
; %bb.3197:                             ;   in Loop: Header=BB6_130 Depth=2
	s_mov_b32 s11, exec_lo
                                        ; implicit-def: $vgpr20
	v_cmpx_ne_u64_e32 0, v[24:25]
	s_xor_b32 s11, exec_lo, s11
; %bb.3198:                             ;   in Loop: Header=BB6_130 Depth=2
	v_or_b32_e32 v20, 0x7f, v0
                                        ; implicit-def: $vgpr1
; %bb.3199:                             ;   in Loop: Header=BB6_130 Depth=2
	s_and_not1_saveexec_b32 s11, s11
; %bb.3200:                             ;   in Loop: Header=BB6_130 Depth=2
	v_cmp_lt_i32_e32 vcc_lo, -1, v1
	v_cndmask_b32_e32 v20, 0xfc, v93, vcc_lo
; %bb.3201:                             ;   in Loop: Header=BB6_130 Depth=2
	s_or_b32 exec_lo, exec_lo, s11
.LBB6_3202:                             ;   in Loop: Header=BB6_130 Depth=2
	s_delay_alu instid0(SALU_CYCLE_1)
	s_or_b32 exec_lo, exec_lo, s10
	v_and_b32_e32 v2, 0xff, v14
	v_bfe_i32 v1, v14, 0, 8
	s_wait_loadcnt 0x0
	v_bfe_i32 v0, v10, 0, 8
	s_and_not1_b32 vcc_lo, exec_lo, s14
	s_mov_b32 s11, -1
	v_cmp_ne_u16_e64 s10, 0, v2
                                        ; implicit-def: $vgpr2
	s_cbranch_vccnz .LBB6_3224
; %bb.3203:                             ;   in Loop: Header=BB6_130 Depth=2
	v_dual_mov_b32 v3, 0 :: v_dual_mov_b32 v2, 0
	s_and_saveexec_b32 s15, s10
	s_cbranch_execz .LBB6_3213
; %bb.3204:                             ;   in Loop: Header=BB6_130 Depth=2
	v_bfrev_b32_e32 v2, 1
	s_mov_b32 s42, exec_lo
	v_cmpx_ne_u16_e32 0xff80, v1
	s_cbranch_execz .LBB6_3212
; %bb.3205:                             ;   in Loop: Header=BB6_130 Depth=2
	v_and_b32_e32 v2, 0x7c, v14
	v_and_b32_e32 v4, 3, v14
	s_delay_alu instid0(VALU_DEP_2) | instskip(SKIP_1) | instid1(SALU_CYCLE_1)
	v_cmp_ne_u32_e32 vcc_lo, 0x7c, v2
                                        ; implicit-def: $vgpr2
	s_and_saveexec_b32 s11, vcc_lo
	s_xor_b32 s11, exec_lo, s11
	s_cbranch_execz .LBB6_3209
; %bb.3206:                             ;   in Loop: Header=BB6_130 Depth=2
	v_bfe_u32 v2, v14, 2, 5
	s_mov_b32 s43, exec_lo
	s_delay_alu instid0(VALU_DEP_1)
	v_cmpx_eq_u32_e32 0, v2
; %bb.3207:                             ;   in Loop: Header=BB6_130 Depth=2
	v_clz_i32_u32_e32 v2, v4
	s_delay_alu instid0(VALU_DEP_1) | instskip(NEXT) | instid1(VALU_DEP_1)
	v_min_u32_e32 v2, 32, v2
	v_subrev_nc_u32_e32 v4, 29, v2
	s_delay_alu instid0(VALU_DEP_1) | instskip(NEXT) | instid1(VALU_DEP_1)
	v_lshlrev_b64_e32 v[4:5], v4, v[14:15]
	v_dual_sub_nc_u32 v2, 30, v2 :: v_dual_bitop2_b32 v4, 3, v4 bitop3:0x40
; %bb.3208:                             ;   in Loop: Header=BB6_130 Depth=2
	s_or_b32 exec_lo, exec_lo, s43
	v_lshlrev_b32_e32 v5, 24, v14
	s_delay_alu instid0(VALU_DEP_1) | instskip(NEXT) | instid1(VALU_DEP_1)
	v_and_b32_e32 v5, 0x80000000, v5
	v_lshl_add_u32 v2, v2, 23, v5
	s_delay_alu instid0(VALU_DEP_1) | instskip(NEXT) | instid1(VALU_DEP_1)
	v_lshl_or_b32 v2, v4, 21, v2
                                        ; implicit-def: $vgpr4
	v_add_nc_u32_e32 v2, 0x38000000, v2
.LBB6_3209:                             ;   in Loop: Header=BB6_130 Depth=2
	s_and_not1_saveexec_b32 s43, s11
; %bb.3210:                             ;   in Loop: Header=BB6_130 Depth=2
	v_cmp_lt_i16_e64 s11, -1, v1
	v_cmp_eq_u32_e32 vcc_lo, 0, v4
	s_delay_alu instid0(VALU_DEP_2) | instskip(NEXT) | instid1(VALU_DEP_1)
	v_cndmask_b32_e64 v2, 0xff800000, v62, s11
	v_cndmask_b32_e32 v2, 0x7f800001, v2, vcc_lo
; %bb.3211:                             ;   in Loop: Header=BB6_130 Depth=2
	s_or_b32 exec_lo, exec_lo, s43
.LBB6_3212:                             ;   in Loop: Header=BB6_130 Depth=2
	s_delay_alu instid0(SALU_CYCLE_1)
	s_or_b32 exec_lo, exec_lo, s42
.LBB6_3213:                             ;   in Loop: Header=BB6_130 Depth=2
	s_delay_alu instid0(SALU_CYCLE_1) | instskip(NEXT) | instid1(SALU_CYCLE_1)
	s_or_b32 exec_lo, exec_lo, s15
	s_mov_b32 s15, exec_lo
	v_cmpx_ne_u16_e32 0, v0
	s_cbranch_execz .LBB6_3223
; %bb.3214:                             ;   in Loop: Header=BB6_130 Depth=2
	v_bfrev_b32_e32 v3, 1
	s_mov_b32 s42, exec_lo
	v_cmpx_ne_u16_e32 0xff80, v0
	s_cbranch_execz .LBB6_3222
; %bb.3215:                             ;   in Loop: Header=BB6_130 Depth=2
	v_and_b32_e32 v3, 0x7c, v10
	v_and_b32_e32 v4, 3, v10
	s_delay_alu instid0(VALU_DEP_2) | instskip(SKIP_1) | instid1(SALU_CYCLE_1)
	v_cmp_ne_u32_e32 vcc_lo, 0x7c, v3
                                        ; implicit-def: $vgpr3
	s_and_saveexec_b32 s11, vcc_lo
	s_xor_b32 s11, exec_lo, s11
	s_cbranch_execz .LBB6_3219
; %bb.3216:                             ;   in Loop: Header=BB6_130 Depth=2
	v_bfe_u32 v3, v10, 2, 5
	s_mov_b32 s43, exec_lo
	s_delay_alu instid0(VALU_DEP_1)
	v_cmpx_eq_u32_e32 0, v3
; %bb.3217:                             ;   in Loop: Header=BB6_130 Depth=2
	v_clz_i32_u32_e32 v3, v4
	s_delay_alu instid0(VALU_DEP_1) | instskip(NEXT) | instid1(VALU_DEP_1)
	v_min_u32_e32 v3, 32, v3
	v_subrev_nc_u32_e32 v4, 29, v3
	s_delay_alu instid0(VALU_DEP_1) | instskip(NEXT) | instid1(VALU_DEP_1)
	v_lshlrev_b64_e32 v[4:5], v4, v[10:11]
	v_dual_sub_nc_u32 v3, 30, v3 :: v_dual_bitop2_b32 v4, 3, v4 bitop3:0x40
; %bb.3218:                             ;   in Loop: Header=BB6_130 Depth=2
	s_or_b32 exec_lo, exec_lo, s43
	v_lshlrev_b32_e32 v5, 24, v10
	s_delay_alu instid0(VALU_DEP_1) | instskip(NEXT) | instid1(VALU_DEP_1)
	v_and_b32_e32 v5, 0x80000000, v5
	v_lshl_add_u32 v3, v3, 23, v5
	s_delay_alu instid0(VALU_DEP_1) | instskip(NEXT) | instid1(VALU_DEP_1)
	v_lshl_or_b32 v3, v4, 21, v3
                                        ; implicit-def: $vgpr4
	v_add_nc_u32_e32 v3, 0x38000000, v3
.LBB6_3219:                             ;   in Loop: Header=BB6_130 Depth=2
	s_and_not1_saveexec_b32 s43, s11
; %bb.3220:                             ;   in Loop: Header=BB6_130 Depth=2
	v_cmp_lt_i16_e64 s11, -1, v0
	v_cmp_eq_u32_e32 vcc_lo, 0, v4
	s_delay_alu instid0(VALU_DEP_2) | instskip(NEXT) | instid1(VALU_DEP_1)
	v_cndmask_b32_e64 v3, 0xff800000, v62, s11
	v_cndmask_b32_e32 v3, 0x7f800001, v3, vcc_lo
; %bb.3221:                             ;   in Loop: Header=BB6_130 Depth=2
	s_or_b32 exec_lo, exec_lo, s43
.LBB6_3222:                             ;   in Loop: Header=BB6_130 Depth=2
	s_delay_alu instid0(SALU_CYCLE_1)
	s_or_b32 exec_lo, exec_lo, s42
.LBB6_3223:                             ;   in Loop: Header=BB6_130 Depth=2
	s_delay_alu instid0(SALU_CYCLE_1) | instskip(NEXT) | instid1(VALU_DEP_1)
	s_or_b32 exec_lo, exec_lo, s15
	v_dual_max_num_f32 v3, v3, v3 :: v_dual_max_num_f32 v2, v2, v2
	s_mov_b32 s11, 0
	s_delay_alu instid0(VALU_DEP_1)
	v_max_num_f32_e32 v2, v2, v3
.LBB6_3224:                             ;   in Loop: Header=BB6_130 Depth=2
	s_and_b32 vcc_lo, exec_lo, s11
	s_cbranch_vccz .LBB6_3246
; %bb.3225:                             ;   in Loop: Header=BB6_130 Depth=2
	v_dual_mov_b32 v2, 0 :: v_dual_mov_b32 v3, 0
	s_and_saveexec_b32 s11, s10
	s_cbranch_execz .LBB6_3235
; %bb.3226:                             ;   in Loop: Header=BB6_130 Depth=2
	v_bfrev_b32_e32 v3, 1
	s_mov_b32 s15, exec_lo
	v_cmpx_ne_u16_e32 0xff80, v1
	s_cbranch_execz .LBB6_3234
; %bb.3227:                             ;   in Loop: Header=BB6_130 Depth=2
	v_and_b32_e32 v3, 0x7c, v14
	v_and_b32_e32 v4, 3, v14
	s_delay_alu instid0(VALU_DEP_2) | instskip(SKIP_1) | instid1(SALU_CYCLE_1)
	v_cmp_ne_u32_e32 vcc_lo, 0x7c, v3
                                        ; implicit-def: $vgpr3
	s_and_saveexec_b32 s10, vcc_lo
	s_xor_b32 s10, exec_lo, s10
	s_cbranch_execz .LBB6_3231
; %bb.3228:                             ;   in Loop: Header=BB6_130 Depth=2
	v_bfe_u32 v1, v14, 2, 5
	s_mov_b32 s42, exec_lo
	s_delay_alu instid0(VALU_DEP_1)
	v_cmpx_eq_u32_e32 0, v1
; %bb.3229:                             ;   in Loop: Header=BB6_130 Depth=2
	v_clz_i32_u32_e32 v1, v4
	s_delay_alu instid0(VALU_DEP_1) | instskip(NEXT) | instid1(VALU_DEP_1)
	v_min_u32_e32 v1, 32, v1
	v_subrev_nc_u32_e32 v3, 29, v1
	s_delay_alu instid0(VALU_DEP_1) | instskip(NEXT) | instid1(VALU_DEP_1)
	v_lshlrev_b64_e32 v[4:5], v3, v[14:15]
	v_dual_sub_nc_u32 v1, 30, v1 :: v_dual_bitop2_b32 v4, 3, v4 bitop3:0x40
; %bb.3230:                             ;   in Loop: Header=BB6_130 Depth=2
	s_or_b32 exec_lo, exec_lo, s42
	v_lshlrev_b32_e32 v3, 24, v14
	s_delay_alu instid0(VALU_DEP_1) | instskip(NEXT) | instid1(VALU_DEP_1)
	v_and_b32_e32 v3, 0x80000000, v3
	v_lshl_add_u32 v1, v1, 23, v3
	s_delay_alu instid0(VALU_DEP_1) | instskip(NEXT) | instid1(VALU_DEP_1)
	v_lshl_or_b32 v1, v4, 21, v1
                                        ; implicit-def: $vgpr4
	v_add_nc_u32_e32 v3, 0x38000000, v1
                                        ; implicit-def: $vgpr1
.LBB6_3231:                             ;   in Loop: Header=BB6_130 Depth=2
	s_and_not1_saveexec_b32 s42, s10
; %bb.3232:                             ;   in Loop: Header=BB6_130 Depth=2
	v_cmp_lt_i16_e64 s10, -1, v1
	v_cmp_eq_u32_e32 vcc_lo, 0, v4
	s_delay_alu instid0(VALU_DEP_2) | instskip(NEXT) | instid1(VALU_DEP_1)
	v_cndmask_b32_e64 v1, 0xff800000, v62, s10
	v_cndmask_b32_e32 v3, 0x7f800001, v1, vcc_lo
; %bb.3233:                             ;   in Loop: Header=BB6_130 Depth=2
	s_or_b32 exec_lo, exec_lo, s42
.LBB6_3234:                             ;   in Loop: Header=BB6_130 Depth=2
	s_delay_alu instid0(SALU_CYCLE_1)
	s_or_b32 exec_lo, exec_lo, s15
.LBB6_3235:                             ;   in Loop: Header=BB6_130 Depth=2
	s_delay_alu instid0(SALU_CYCLE_1) | instskip(NEXT) | instid1(SALU_CYCLE_1)
	s_or_b32 exec_lo, exec_lo, s11
	s_mov_b32 s10, exec_lo
	v_cmpx_ne_u16_e32 0, v0
	s_cbranch_execz .LBB6_3245
; %bb.3236:                             ;   in Loop: Header=BB6_130 Depth=2
	v_bfrev_b32_e32 v2, 1
	s_mov_b32 s11, exec_lo
	v_cmpx_ne_u16_e32 0xff80, v0
	s_cbranch_execz .LBB6_3244
; %bb.3237:                             ;   in Loop: Header=BB6_130 Depth=2
	v_and_b32_e32 v2, 0x7c, v10
	v_and_b32_e32 v1, 3, v10
	s_delay_alu instid0(VALU_DEP_2) | instskip(SKIP_1) | instid1(SALU_CYCLE_1)
	v_cmp_ne_u32_e32 vcc_lo, 0x7c, v2
                                        ; implicit-def: $vgpr2
	s_and_saveexec_b32 s15, vcc_lo
	s_xor_b32 s15, exec_lo, s15
	s_cbranch_execz .LBB6_3241
; %bb.3238:                             ;   in Loop: Header=BB6_130 Depth=2
	v_bfe_u32 v0, v10, 2, 5
	s_mov_b32 s42, exec_lo
	s_delay_alu instid0(VALU_DEP_1)
	v_cmpx_eq_u32_e32 0, v0
; %bb.3239:                             ;   in Loop: Header=BB6_130 Depth=2
	v_clz_i32_u32_e32 v0, v1
	s_delay_alu instid0(VALU_DEP_1) | instskip(NEXT) | instid1(VALU_DEP_1)
	v_min_u32_e32 v0, 32, v0
	v_subrev_nc_u32_e32 v1, 29, v0
	v_sub_nc_u32_e32 v0, 30, v0
	s_delay_alu instid0(VALU_DEP_2) | instskip(NEXT) | instid1(VALU_DEP_1)
	v_lshlrev_b64_e32 v[4:5], v1, v[10:11]
	v_and_b32_e32 v1, 3, v4
; %bb.3240:                             ;   in Loop: Header=BB6_130 Depth=2
	s_or_b32 exec_lo, exec_lo, s42
	v_lshlrev_b32_e32 v2, 24, v10
	s_delay_alu instid0(VALU_DEP_1) | instskip(NEXT) | instid1(VALU_DEP_1)
	v_and_b32_e32 v2, 0x80000000, v2
	v_lshl_add_u32 v0, v0, 23, v2
	s_delay_alu instid0(VALU_DEP_1) | instskip(NEXT) | instid1(VALU_DEP_1)
	v_lshl_or_b32 v0, v1, 21, v0
                                        ; implicit-def: $vgpr1
	v_add_nc_u32_e32 v2, 0x38000000, v0
                                        ; implicit-def: $vgpr0
.LBB6_3241:                             ;   in Loop: Header=BB6_130 Depth=2
	s_and_not1_saveexec_b32 s15, s15
; %bb.3242:                             ;   in Loop: Header=BB6_130 Depth=2
	v_cmp_lt_i16_e32 vcc_lo, -1, v0
	v_cndmask_b32_e32 v0, 0xff800000, v62, vcc_lo
	v_cmp_eq_u32_e32 vcc_lo, 0, v1
	s_delay_alu instid0(VALU_DEP_2)
	v_cndmask_b32_e32 v2, 0x7f800001, v0, vcc_lo
; %bb.3243:                             ;   in Loop: Header=BB6_130 Depth=2
	s_or_b32 exec_lo, exec_lo, s15
.LBB6_3244:                             ;   in Loop: Header=BB6_130 Depth=2
	s_delay_alu instid0(SALU_CYCLE_1)
	s_or_b32 exec_lo, exec_lo, s11
.LBB6_3245:                             ;   in Loop: Header=BB6_130 Depth=2
	s_delay_alu instid0(SALU_CYCLE_1) | instskip(NEXT) | instid1(VALU_DEP_1)
	s_or_b32 exec_lo, exec_lo, s10
	v_dual_max_num_f32 v0, v2, v2 :: v_dual_max_num_f32 v1, v3, v3
	s_delay_alu instid0(VALU_DEP_1)
	v_min_num_f32_e32 v2, v1, v0
.LBB6_3246:                             ;   in Loop: Header=BB6_130 Depth=2
	s_delay_alu instid0(VALU_DEP_1) | instskip(SKIP_2) | instid1(VALU_DEP_2)
	v_and_b32_e32 v0, 0x7f800000, v2
	v_mov_b32_e32 v1, v25
	v_and_b32_e32 v24, 0x7fffff, v2
                                        ; implicit-def: $vgpr21
	v_cmp_ne_u64_e32 vcc_lo, 0x7f800000, v[0:1]
	v_lshrrev_b32_e32 v0, 24, v2
	s_and_saveexec_b32 s10, vcc_lo
	s_delay_alu instid0(SALU_CYCLE_1)
	s_xor_b32 s11, exec_lo, s10
	s_cbranch_execz .LBB6_3260
; %bb.3247:                             ;   in Loop: Header=BB6_130 Depth=2
	v_and_b32_e32 v4, 0x7fffffff, v2
	v_mov_b32_e32 v5, v25
                                        ; implicit-def: $vgpr21
	s_delay_alu instid0(VALU_DEP_1) | instskip(SKIP_2) | instid1(SALU_CYCLE_1)
	v_cmp_gt_u64_e32 vcc_lo, 0x47600001, v[4:5]
	v_and_b32_e32 v4, 0x80, v0
	s_and_saveexec_b32 s10, vcc_lo
	s_xor_b32 s15, exec_lo, s10
	s_cbranch_execz .LBB6_3257
; %bb.3248:                             ;   in Loop: Header=BB6_130 Depth=2
	v_mov_b32_e32 v21, 0
	s_mov_b32 s42, exec_lo
	v_cmpx_ne_u32_e32 0, v2
	s_cbranch_execz .LBB6_3256
; %bb.3249:                             ;   in Loop: Header=BB6_130 Depth=2
	v_bfe_u32 v5, v2, 23, 8
	v_or_b32_e32 v1, 0x800000, v24
	s_delay_alu instid0(VALU_DEP_2) | instskip(SKIP_2) | instid1(VALU_DEP_2)
	v_cmp_gt_u32_e64 s10, 0x72, v5
	v_sub_nc_u32_e32 v0, 0x71, v5
	v_cmp_eq_u32_e32 vcc_lo, 0, v5
	v_cndmask_b32_e64 v0, 0, v0, s10
	s_delay_alu instid0(VALU_DEP_1) | instskip(NEXT) | instid1(VALU_DEP_1)
	v_cndmask_b32_e64 v21, v0, 0x70, vcc_lo
	v_dual_cndmask_b32 v24, v1, v24, vcc_lo :: v_dual_add_nc_u32 v0, 21, v21
	v_add_nc_u32_e32 v2, 20, v21
	s_delay_alu instid0(VALU_DEP_2) | instskip(NEXT) | instid1(VALU_DEP_2)
	v_lshlrev_b64_e64 v[0:1], v0, -1
	v_lshlrev_b64_e64 v[2:3], v2, 1
	s_delay_alu instid0(VALU_DEP_2) | instskip(NEXT) | instid1(VALU_DEP_3)
	v_bfi_b32 v1, v1, 0, 0
	v_bfi_b32 v0, v0, 0, v24
	s_delay_alu instid0(VALU_DEP_1) | instskip(SKIP_1) | instid1(VALU_DEP_1)
	v_cmp_eq_u64_e64 s10, v[0:1], v[2:3]
	v_lshrrev_b64 v[0:1], v21, v[24:25]
	v_mov_b64_e32 v[2:3], v[0:1]
	s_and_saveexec_b32 s43, s10
; %bb.3250:                             ;   in Loop: Header=BB6_130 Depth=2
	v_bfe_u32 v24, v0, 21, 1
	s_delay_alu instid0(VALU_DEP_1) | instskip(NEXT) | instid1(VALU_DEP_1)
	v_add_nc_u64_e32 v[2:3], v[0:1], v[24:25]
	v_add_nc_u64_e32 v[2:3], -1, v[2:3]
; %bb.3251:                             ;   in Loop: Header=BB6_130 Depth=2
	s_or_b32 exec_lo, exec_lo, s43
	v_add_nc_u32_e32 v1, 0xffffff81, v5
	v_lshrrev_b32_e32 v3, 23, v0
	s_mov_b32 s10, exec_lo
	s_delay_alu instid0(VALU_DEP_2) | instskip(NEXT) | instid1(VALU_DEP_1)
	v_cndmask_b32_e64 v1, v1, 0xffffff82, vcc_lo
	v_add3_u32 v5, v21, v1, v3
	v_and_b32_e32 v1, 0x1fffff, v2
                                        ; implicit-def: $vgpr2
	s_delay_alu instid0(VALU_DEP_1) | instskip(NEXT) | instid1(VALU_DEP_1)
	v_dual_add_nc_u32 v3, 14, v5 :: v_dual_add_nc_u32 v24, v1, v0
                                        ; implicit-def: $vgpr0_vgpr1
	v_cmpx_ne_u32_e32 0, v3
	s_xor_b32 s10, exec_lo, s10
; %bb.3252:                             ;   in Loop: Header=BB6_130 Depth=2
	s_delay_alu instid0(VALU_DEP_2) | instskip(SKIP_1) | instid1(VALU_DEP_1)
	v_cmp_lt_u64_e32 vcc_lo, 0xffffff, v[24:25]
	v_add_nc_u32_e32 v0, 15, v5
	v_cndmask_b32_e32 v2, v3, v0, vcc_lo
	v_cndmask_b32_e64 v0, 0, 1, vcc_lo
	s_delay_alu instid0(VALU_DEP_1)
	v_lshrrev_b64 v[0:1], v0, v[24:25]
; %bb.3253:                             ;   in Loop: Header=BB6_130 Depth=2
	s_and_not1_saveexec_b32 s10, s10
; %bb.3254:                             ;   in Loop: Header=BB6_130 Depth=2
	v_mov_b64_e32 v[0:1], v[24:25]
	v_bfe_u32 v2, v24, 23, 1
; %bb.3255:                             ;   in Loop: Header=BB6_130 Depth=2
	s_or_b32 exec_lo, exec_lo, s10
	s_delay_alu instid0(VALU_DEP_2) | instskip(NEXT) | instid1(VALU_DEP_2)
	v_lshrrev_b64 v[0:1], 21, v[0:1]
	v_cmp_gt_i32_e32 vcc_lo, 32, v2
	v_min_i32_e32 v3, 31, v2
	v_cmp_eq_u32_e64 s10, 0, v2
	s_delay_alu instid0(VALU_DEP_2) | instskip(SKIP_1) | instid1(VALU_DEP_2)
	v_dual_cndmask_b32 v1, 0, v1, vcc_lo :: v_dual_lshlrev_b32 v3, 2, v3
	v_cndmask_b32_e32 v0, 3, v0, vcc_lo
	v_and_b32_e32 v3, 0xfc, v3
	s_delay_alu instid0(VALU_DEP_2) | instskip(NEXT) | instid1(VALU_DEP_2)
	v_cmp_eq_u64_e32 vcc_lo, 0, v[0:1]
	v_and_or_b32 v0, v0, 3, v3
	s_and_b32 s10, s10, vcc_lo
	s_delay_alu instid0(VALU_DEP_1) | instid1(SALU_CYCLE_1)
	v_cndmask_b32_e64 v0, v0, 0, s10
	s_delay_alu instid0(VALU_DEP_1)
	v_or_b32_e32 v21, v0, v4
.LBB6_3256:                             ;   in Loop: Header=BB6_130 Depth=2
	s_or_b32 exec_lo, exec_lo, s42
                                        ; implicit-def: $vgpr4
.LBB6_3257:                             ;   in Loop: Header=BB6_130 Depth=2
	s_and_not1_saveexec_b32 s10, s15
; %bb.3258:                             ;   in Loop: Header=BB6_130 Depth=2
	v_or_b32_e32 v21, 0x7b, v4
; %bb.3259:                             ;   in Loop: Header=BB6_130 Depth=2
	s_or_b32 exec_lo, exec_lo, s10
                                        ; implicit-def: $vgpr2
                                        ; implicit-def: $vgpr0
.LBB6_3260:                             ;   in Loop: Header=BB6_130 Depth=2
	s_and_not1_saveexec_b32 s10, s11
	s_cbranch_execz .LBB6_3266
; %bb.3261:                             ;   in Loop: Header=BB6_130 Depth=2
	s_mov_b32 s11, exec_lo
                                        ; implicit-def: $vgpr21
	v_cmpx_ne_u64_e32 0, v[24:25]
	s_xor_b32 s11, exec_lo, s11
; %bb.3262:                             ;   in Loop: Header=BB6_130 Depth=2
	v_or_b32_e32 v21, 0x7f, v0
                                        ; implicit-def: $vgpr2
; %bb.3263:                             ;   in Loop: Header=BB6_130 Depth=2
	s_and_not1_saveexec_b32 s11, s11
; %bb.3264:                             ;   in Loop: Header=BB6_130 Depth=2
	v_cmp_lt_i32_e32 vcc_lo, -1, v2
	v_cndmask_b32_e32 v21, 0xfc, v93, vcc_lo
; %bb.3265:                             ;   in Loop: Header=BB6_130 Depth=2
	s_or_b32 exec_lo, exec_lo, s11
.LBB6_3266:                             ;   in Loop: Header=BB6_130 Depth=2
	s_delay_alu instid0(SALU_CYCLE_1) | instskip(SKIP_4) | instid1(VALU_DEP_2)
	s_or_b32 exec_lo, exec_lo, s10
	v_lshrrev_b16 v24, 8, v14
	v_lshrrev_b16 v0, 8, v10
	s_mov_b32 s11, -1
	s_and_not1_b32 vcc_lo, exec_lo, s14
                                        ; implicit-def: $vgpr1
	v_and_b32_e32 v2, 0xffff, v24
	v_cmp_ne_u16_e64 s10, 0, v24
	s_cbranch_vccnz .LBB6_3288
; %bb.3267:                             ;   in Loop: Header=BB6_130 Depth=2
	v_dual_mov_b32 v1, 0 :: v_dual_mov_b32 v3, 0
	s_and_saveexec_b32 s15, s10
	s_cbranch_execz .LBB6_3277
; %bb.3268:                             ;   in Loop: Header=BB6_130 Depth=2
	v_bfrev_b32_e32 v3, 1
	s_mov_b32 s42, exec_lo
	v_cmpx_ne_u16_e32 0x80, v24
	s_cbranch_execz .LBB6_3276
; %bb.3269:                             ;   in Loop: Header=BB6_130 Depth=2
	v_and_b32_e32 v3, 0x7c, v2
	v_and_b32_e32 v4, 3, v2
	s_delay_alu instid0(VALU_DEP_2) | instskip(SKIP_1) | instid1(SALU_CYCLE_1)
	v_cmp_ne_u32_e32 vcc_lo, 0x7c, v3
                                        ; implicit-def: $vgpr3
	s_and_saveexec_b32 s11, vcc_lo
	s_xor_b32 s11, exec_lo, s11
	s_cbranch_execz .LBB6_3273
; %bb.3270:                             ;   in Loop: Header=BB6_130 Depth=2
	v_bfe_u32 v3, v2, 2, 5
	s_mov_b32 s43, exec_lo
	s_delay_alu instid0(VALU_DEP_1)
	v_cmpx_eq_u32_e32 0, v3
; %bb.3271:                             ;   in Loop: Header=BB6_130 Depth=2
	v_clz_i32_u32_e32 v3, v4
	s_delay_alu instid0(VALU_DEP_1) | instskip(NEXT) | instid1(VALU_DEP_1)
	v_min_u32_e32 v3, 32, v3
	v_subrev_nc_u32_e32 v4, 29, v3
	s_delay_alu instid0(VALU_DEP_1) | instskip(NEXT) | instid1(VALU_DEP_1)
	v_lshlrev_b64_e32 v[4:5], v4, v[24:25]
	v_dual_sub_nc_u32 v3, 30, v3 :: v_dual_bitop2_b32 v4, 3, v4 bitop3:0x40
; %bb.3272:                             ;   in Loop: Header=BB6_130 Depth=2
	s_or_b32 exec_lo, exec_lo, s43
	v_lshlrev_b32_e32 v5, 16, v14
	s_delay_alu instid0(VALU_DEP_1) | instskip(NEXT) | instid1(VALU_DEP_1)
	v_and_b32_e32 v5, 0x80000000, v5
	v_lshl_add_u32 v3, v3, 23, v5
	s_delay_alu instid0(VALU_DEP_1) | instskip(NEXT) | instid1(VALU_DEP_1)
	v_lshl_or_b32 v3, v4, 21, v3
                                        ; implicit-def: $vgpr4
	v_add_nc_u32_e32 v3, 0x38000000, v3
.LBB6_3273:                             ;   in Loop: Header=BB6_130 Depth=2
	s_and_not1_saveexec_b32 s43, s11
; %bb.3274:                             ;   in Loop: Header=BB6_130 Depth=2
	v_cmp_lt_i16_e64 s11, -1, v14
	v_cmp_eq_u32_e32 vcc_lo, 0, v4
	s_delay_alu instid0(VALU_DEP_2) | instskip(NEXT) | instid1(VALU_DEP_1)
	v_cndmask_b32_e64 v3, 0xff800000, v62, s11
	v_cndmask_b32_e32 v3, 0x7f800001, v3, vcc_lo
; %bb.3275:                             ;   in Loop: Header=BB6_130 Depth=2
	s_or_b32 exec_lo, exec_lo, s43
.LBB6_3276:                             ;   in Loop: Header=BB6_130 Depth=2
	s_delay_alu instid0(SALU_CYCLE_1)
	s_or_b32 exec_lo, exec_lo, s42
.LBB6_3277:                             ;   in Loop: Header=BB6_130 Depth=2
	s_delay_alu instid0(SALU_CYCLE_1) | instskip(NEXT) | instid1(SALU_CYCLE_1)
	s_or_b32 exec_lo, exec_lo, s15
	s_mov_b32 s15, exec_lo
	v_cmpx_ne_u16_e32 0, v0
	s_cbranch_execz .LBB6_3287
; %bb.3278:                             ;   in Loop: Header=BB6_130 Depth=2
	v_bfrev_b32_e32 v1, 1
	s_mov_b32 s42, exec_lo
	v_cmpx_ne_u16_e32 0x80, v0
	s_cbranch_execz .LBB6_3286
; %bb.3279:                             ;   in Loop: Header=BB6_130 Depth=2
	v_and_b32_e32 v5, 0xffff, v0
	s_delay_alu instid0(VALU_DEP_1) | instskip(SKIP_1) | instid1(VALU_DEP_2)
	v_and_b32_e32 v1, 0x7c, v5
	v_and_b32_e32 v4, 3, v5
	v_cmp_ne_u32_e32 vcc_lo, 0x7c, v1
                                        ; implicit-def: $vgpr1
	s_and_saveexec_b32 s11, vcc_lo
	s_delay_alu instid0(SALU_CYCLE_1)
	s_xor_b32 s11, exec_lo, s11
	s_cbranch_execz .LBB6_3283
; %bb.3280:                             ;   in Loop: Header=BB6_130 Depth=2
	v_bfe_u32 v1, v5, 2, 5
	s_mov_b32 s43, exec_lo
	s_delay_alu instid0(VALU_DEP_1)
	v_cmpx_eq_u32_e32 0, v1
; %bb.3281:                             ;   in Loop: Header=BB6_130 Depth=2
	v_clz_i32_u32_e32 v1, v4
	s_delay_alu instid0(VALU_DEP_1) | instskip(SKIP_1) | instid1(VALU_DEP_2)
	v_min_u32_e32 v98, 32, v1
	v_mov_b32_e32 v1, v25
	v_subrev_nc_u32_e32 v4, 29, v98
	s_delay_alu instid0(VALU_DEP_1) | instskip(NEXT) | instid1(VALU_DEP_1)
	v_lshlrev_b64_e32 v[4:5], v4, v[0:1]
	v_dual_sub_nc_u32 v1, 30, v98 :: v_dual_bitop2_b32 v4, 3, v4 bitop3:0x40
; %bb.3282:                             ;   in Loop: Header=BB6_130 Depth=2
	s_or_b32 exec_lo, exec_lo, s43
	v_lshlrev_b32_e32 v5, 16, v10
	s_delay_alu instid0(VALU_DEP_1) | instskip(NEXT) | instid1(VALU_DEP_1)
	v_and_b32_e32 v5, 0x80000000, v5
	v_lshl_add_u32 v1, v1, 23, v5
	s_delay_alu instid0(VALU_DEP_1) | instskip(NEXT) | instid1(VALU_DEP_1)
	v_lshl_or_b32 v1, v4, 21, v1
                                        ; implicit-def: $vgpr4
	v_add_nc_u32_e32 v1, 0x38000000, v1
.LBB6_3283:                             ;   in Loop: Header=BB6_130 Depth=2
	s_and_not1_saveexec_b32 s43, s11
; %bb.3284:                             ;   in Loop: Header=BB6_130 Depth=2
	v_cmp_lt_i16_e64 s11, -1, v10
	v_cmp_eq_u32_e32 vcc_lo, 0, v4
	s_delay_alu instid0(VALU_DEP_2) | instskip(NEXT) | instid1(VALU_DEP_1)
	v_cndmask_b32_e64 v1, 0xff800000, v62, s11
	v_cndmask_b32_e32 v1, 0x7f800001, v1, vcc_lo
; %bb.3285:                             ;   in Loop: Header=BB6_130 Depth=2
	s_or_b32 exec_lo, exec_lo, s43
.LBB6_3286:                             ;   in Loop: Header=BB6_130 Depth=2
	s_delay_alu instid0(SALU_CYCLE_1)
	s_or_b32 exec_lo, exec_lo, s42
.LBB6_3287:                             ;   in Loop: Header=BB6_130 Depth=2
	s_delay_alu instid0(SALU_CYCLE_1) | instskip(NEXT) | instid1(VALU_DEP_1)
	s_or_b32 exec_lo, exec_lo, s15
	v_dual_max_num_f32 v1, v1, v1 :: v_dual_max_num_f32 v3, v3, v3
	s_mov_b32 s11, 0
	s_delay_alu instid0(VALU_DEP_1)
	v_max_num_f32_e32 v1, v3, v1
.LBB6_3288:                             ;   in Loop: Header=BB6_130 Depth=2
	s_and_b32 vcc_lo, exec_lo, s11
	s_cbranch_vccz .LBB6_3310
; %bb.3289:                             ;   in Loop: Header=BB6_130 Depth=2
	v_dual_mov_b32 v1, 0 :: v_dual_mov_b32 v3, 0
	s_and_saveexec_b32 s11, s10
	s_cbranch_execz .LBB6_3299
; %bb.3290:                             ;   in Loop: Header=BB6_130 Depth=2
	v_bfrev_b32_e32 v3, 1
	s_mov_b32 s15, exec_lo
	v_cmpx_ne_u16_e32 0x80, v24
	s_cbranch_execz .LBB6_3298
; %bb.3291:                             ;   in Loop: Header=BB6_130 Depth=2
	v_and_b32_e32 v3, 0x7c, v2
	v_and_b32_e32 v4, 3, v2
	s_delay_alu instid0(VALU_DEP_2) | instskip(SKIP_1) | instid1(SALU_CYCLE_1)
	v_cmp_ne_u32_e32 vcc_lo, 0x7c, v3
                                        ; implicit-def: $vgpr3
	s_and_saveexec_b32 s10, vcc_lo
	s_xor_b32 s10, exec_lo, s10
	s_cbranch_execz .LBB6_3295
; %bb.3292:                             ;   in Loop: Header=BB6_130 Depth=2
	v_bfe_u32 v2, v2, 2, 5
	s_mov_b32 s42, exec_lo
	s_delay_alu instid0(VALU_DEP_1)
	v_cmpx_eq_u32_e32 0, v2
; %bb.3293:                             ;   in Loop: Header=BB6_130 Depth=2
	v_clz_i32_u32_e32 v2, v4
	s_delay_alu instid0(VALU_DEP_1) | instskip(NEXT) | instid1(VALU_DEP_1)
	v_min_u32_e32 v2, 32, v2
	v_subrev_nc_u32_e32 v3, 29, v2
	s_delay_alu instid0(VALU_DEP_1) | instskip(NEXT) | instid1(VALU_DEP_1)
	v_lshlrev_b64_e32 v[4:5], v3, v[24:25]
	v_dual_sub_nc_u32 v2, 30, v2 :: v_dual_bitop2_b32 v4, 3, v4 bitop3:0x40
; %bb.3294:                             ;   in Loop: Header=BB6_130 Depth=2
	s_or_b32 exec_lo, exec_lo, s42
	v_lshlrev_b32_e32 v3, 16, v14
	s_delay_alu instid0(VALU_DEP_1) | instskip(NEXT) | instid1(VALU_DEP_1)
	v_and_b32_e32 v3, 0x80000000, v3
	v_lshl_add_u32 v2, v2, 23, v3
	s_delay_alu instid0(VALU_DEP_1) | instskip(NEXT) | instid1(VALU_DEP_1)
	v_lshl_or_b32 v2, v4, 21, v2
                                        ; implicit-def: $vgpr4
	v_add_nc_u32_e32 v3, 0x38000000, v2
.LBB6_3295:                             ;   in Loop: Header=BB6_130 Depth=2
	s_and_not1_saveexec_b32 s42, s10
; %bb.3296:                             ;   in Loop: Header=BB6_130 Depth=2
	v_cmp_lt_i16_e64 s10, -1, v14
	v_cmp_eq_u32_e32 vcc_lo, 0, v4
	s_delay_alu instid0(VALU_DEP_2) | instskip(NEXT) | instid1(VALU_DEP_1)
	v_cndmask_b32_e64 v2, 0xff800000, v62, s10
	v_cndmask_b32_e32 v3, 0x7f800001, v2, vcc_lo
; %bb.3297:                             ;   in Loop: Header=BB6_130 Depth=2
	s_or_b32 exec_lo, exec_lo, s42
.LBB6_3298:                             ;   in Loop: Header=BB6_130 Depth=2
	s_delay_alu instid0(SALU_CYCLE_1)
	s_or_b32 exec_lo, exec_lo, s15
.LBB6_3299:                             ;   in Loop: Header=BB6_130 Depth=2
	s_delay_alu instid0(SALU_CYCLE_1) | instskip(NEXT) | instid1(SALU_CYCLE_1)
	s_or_b32 exec_lo, exec_lo, s11
	s_mov_b32 s11, exec_lo
	v_cmpx_ne_u16_e32 0, v0
	s_cbranch_execz .LBB6_3309
; %bb.3300:                             ;   in Loop: Header=BB6_130 Depth=2
	v_bfrev_b32_e32 v1, 1
	s_mov_b32 s15, exec_lo
	v_cmpx_ne_u16_e32 0x80, v0
	s_cbranch_execz .LBB6_3308
; %bb.3301:                             ;   in Loop: Header=BB6_130 Depth=2
	v_and_b32_e32 v4, 0xffff, v0
	s_delay_alu instid0(VALU_DEP_1) | instskip(SKIP_1) | instid1(VALU_DEP_2)
	v_and_b32_e32 v1, 0x7c, v4
	v_and_b32_e32 v2, 3, v4
	v_cmp_ne_u32_e32 vcc_lo, 0x7c, v1
                                        ; implicit-def: $vgpr1
	s_and_saveexec_b32 s10, vcc_lo
	s_delay_alu instid0(SALU_CYCLE_1)
	s_xor_b32 s10, exec_lo, s10
	s_cbranch_execz .LBB6_3305
; %bb.3302:                             ;   in Loop: Header=BB6_130 Depth=2
	v_bfe_u32 v1, v4, 2, 5
	s_mov_b32 s42, exec_lo
	s_delay_alu instid0(VALU_DEP_1)
	v_cmpx_eq_u32_e32 0, v1
; %bb.3303:                             ;   in Loop: Header=BB6_130 Depth=2
	v_clz_i32_u32_e32 v1, v2
	s_delay_alu instid0(VALU_DEP_1) | instskip(SKIP_1) | instid1(VALU_DEP_2)
	v_min_u32_e32 v2, 32, v1
	v_mov_b32_e32 v1, v25
	v_subrev_nc_u32_e32 v4, 29, v2
	s_delay_alu instid0(VALU_DEP_1) | instskip(NEXT) | instid1(VALU_DEP_1)
	v_lshlrev_b64_e32 v[0:1], v4, v[0:1]
	v_dual_sub_nc_u32 v1, 30, v2 :: v_dual_bitop2_b32 v2, 3, v0 bitop3:0x40
; %bb.3304:                             ;   in Loop: Header=BB6_130 Depth=2
	s_or_b32 exec_lo, exec_lo, s42
	v_lshlrev_b32_e32 v0, 16, v10
	s_delay_alu instid0(VALU_DEP_1) | instskip(NEXT) | instid1(VALU_DEP_1)
	v_and_b32_e32 v0, 0x80000000, v0
	v_lshl_add_u32 v0, v1, 23, v0
	s_delay_alu instid0(VALU_DEP_1) | instskip(NEXT) | instid1(VALU_DEP_1)
	v_lshl_or_b32 v0, v2, 21, v0
                                        ; implicit-def: $vgpr2
	v_add_nc_u32_e32 v1, 0x38000000, v0
.LBB6_3305:                             ;   in Loop: Header=BB6_130 Depth=2
	s_and_not1_saveexec_b32 s42, s10
; %bb.3306:                             ;   in Loop: Header=BB6_130 Depth=2
	v_cmp_lt_i16_e64 s10, -1, v10
	v_cmp_eq_u32_e32 vcc_lo, 0, v2
	s_delay_alu instid0(VALU_DEP_2) | instskip(NEXT) | instid1(VALU_DEP_1)
	v_cndmask_b32_e64 v0, 0xff800000, v62, s10
	v_cndmask_b32_e32 v1, 0x7f800001, v0, vcc_lo
; %bb.3307:                             ;   in Loop: Header=BB6_130 Depth=2
	s_or_b32 exec_lo, exec_lo, s42
.LBB6_3308:                             ;   in Loop: Header=BB6_130 Depth=2
	s_delay_alu instid0(SALU_CYCLE_1)
	s_or_b32 exec_lo, exec_lo, s15
.LBB6_3309:                             ;   in Loop: Header=BB6_130 Depth=2
	s_delay_alu instid0(SALU_CYCLE_1) | instskip(NEXT) | instid1(VALU_DEP_1)
	s_or_b32 exec_lo, exec_lo, s11
	v_dual_max_num_f32 v0, v1, v1 :: v_dual_max_num_f32 v1, v3, v3
	s_delay_alu instid0(VALU_DEP_1)
	v_min_num_f32_e32 v1, v1, v0
.LBB6_3310:                             ;   in Loop: Header=BB6_130 Depth=2
	s_delay_alu instid0(VALU_DEP_1) | instskip(SKIP_3) | instid1(VALU_DEP_2)
	v_and_b32_e32 v2, 0x7f800000, v1
	v_dual_mov_b32 v3, v25 :: v_dual_lshrrev_b32 v0, 24, v1
	v_and_b32_e32 v24, 0x7fffff, v1
                                        ; implicit-def: $vgpr98
	s_mov_b32 s10, exec_lo
	v_cmpx_ne_u64_e32 0x7f800000, v[2:3]
	s_xor_b32 s11, exec_lo, s10
	s_cbranch_execz .LBB6_3324
; %bb.3311:                             ;   in Loop: Header=BB6_130 Depth=2
	v_and_b32_e32 v2, 0x7fffffff, v1
	v_mov_b32_e32 v3, v25
	v_and_b32_e32 v4, 0x80, v0
                                        ; implicit-def: $vgpr98
	s_mov_b32 s10, exec_lo
	s_delay_alu instid0(VALU_DEP_2)
	v_cmpx_gt_u64_e32 0x47600001, v[2:3]
	s_xor_b32 s15, exec_lo, s10
	s_cbranch_execz .LBB6_3321
; %bb.3312:                             ;   in Loop: Header=BB6_130 Depth=2
	v_mov_b32_e32 v98, 0
	s_mov_b32 s42, exec_lo
	v_cmpx_ne_u32_e32 0, v1
	s_cbranch_execz .LBB6_3320
; %bb.3313:                             ;   in Loop: Header=BB6_130 Depth=2
	v_bfe_u32 v5, v1, 23, 8
	v_or_b32_e32 v1, 0x800000, v24
	s_delay_alu instid0(VALU_DEP_2) | instskip(SKIP_2) | instid1(VALU_DEP_2)
	v_cmp_gt_u32_e64 s10, 0x72, v5
	v_sub_nc_u32_e32 v0, 0x71, v5
	v_cmp_eq_u32_e32 vcc_lo, 0, v5
	v_cndmask_b32_e64 v0, 0, v0, s10
	s_delay_alu instid0(VALU_DEP_1) | instskip(NEXT) | instid1(VALU_DEP_1)
	v_cndmask_b32_e64 v98, v0, 0x70, vcc_lo
	v_dual_cndmask_b32 v24, v1, v24, vcc_lo :: v_dual_add_nc_u32 v0, 21, v98
	v_add_nc_u32_e32 v2, 20, v98
	s_delay_alu instid0(VALU_DEP_2) | instskip(NEXT) | instid1(VALU_DEP_2)
	v_lshlrev_b64_e64 v[0:1], v0, -1
	v_lshlrev_b64_e64 v[2:3], v2, 1
	s_delay_alu instid0(VALU_DEP_2) | instskip(NEXT) | instid1(VALU_DEP_3)
	v_bfi_b32 v1, v1, 0, 0
	v_bfi_b32 v0, v0, 0, v24
	s_delay_alu instid0(VALU_DEP_1) | instskip(SKIP_1) | instid1(VALU_DEP_1)
	v_cmp_eq_u64_e64 s10, v[0:1], v[2:3]
	v_lshrrev_b64 v[0:1], v98, v[24:25]
	v_mov_b64_e32 v[2:3], v[0:1]
	s_and_saveexec_b32 s43, s10
; %bb.3314:                             ;   in Loop: Header=BB6_130 Depth=2
	v_bfe_u32 v24, v0, 21, 1
	s_delay_alu instid0(VALU_DEP_1) | instskip(NEXT) | instid1(VALU_DEP_1)
	v_add_nc_u64_e32 v[2:3], v[0:1], v[24:25]
	v_add_nc_u64_e32 v[2:3], -1, v[2:3]
; %bb.3315:                             ;   in Loop: Header=BB6_130 Depth=2
	s_or_b32 exec_lo, exec_lo, s43
	v_add_nc_u32_e32 v1, 0xffffff81, v5
	v_lshrrev_b32_e32 v3, 23, v0
	s_mov_b32 s10, exec_lo
	s_delay_alu instid0(VALU_DEP_2) | instskip(NEXT) | instid1(VALU_DEP_1)
	v_cndmask_b32_e64 v1, v1, 0xffffff82, vcc_lo
	v_add3_u32 v5, v98, v1, v3
	v_and_b32_e32 v1, 0x1fffff, v2
                                        ; implicit-def: $vgpr2
	s_delay_alu instid0(VALU_DEP_1) | instskip(NEXT) | instid1(VALU_DEP_1)
	v_dual_add_nc_u32 v3, 14, v5 :: v_dual_add_nc_u32 v24, v1, v0
                                        ; implicit-def: $vgpr0_vgpr1
	v_cmpx_ne_u32_e32 0, v3
	s_xor_b32 s10, exec_lo, s10
; %bb.3316:                             ;   in Loop: Header=BB6_130 Depth=2
	s_delay_alu instid0(VALU_DEP_2) | instskip(SKIP_1) | instid1(VALU_DEP_1)
	v_cmp_lt_u64_e32 vcc_lo, 0xffffff, v[24:25]
	v_add_nc_u32_e32 v0, 15, v5
	v_cndmask_b32_e32 v2, v3, v0, vcc_lo
	v_cndmask_b32_e64 v0, 0, 1, vcc_lo
	s_delay_alu instid0(VALU_DEP_1)
	v_lshrrev_b64 v[0:1], v0, v[24:25]
; %bb.3317:                             ;   in Loop: Header=BB6_130 Depth=2
	s_and_not1_saveexec_b32 s10, s10
; %bb.3318:                             ;   in Loop: Header=BB6_130 Depth=2
	v_mov_b64_e32 v[0:1], v[24:25]
	v_bfe_u32 v2, v24, 23, 1
; %bb.3319:                             ;   in Loop: Header=BB6_130 Depth=2
	s_or_b32 exec_lo, exec_lo, s10
	s_delay_alu instid0(VALU_DEP_2) | instskip(NEXT) | instid1(VALU_DEP_2)
	v_lshrrev_b64 v[0:1], 21, v[0:1]
	v_cmp_gt_i32_e32 vcc_lo, 32, v2
	v_min_i32_e32 v3, 31, v2
	v_cmp_eq_u32_e64 s10, 0, v2
	s_delay_alu instid0(VALU_DEP_2) | instskip(SKIP_1) | instid1(VALU_DEP_2)
	v_dual_cndmask_b32 v1, 0, v1, vcc_lo :: v_dual_lshlrev_b32 v3, 2, v3
	v_cndmask_b32_e32 v0, 3, v0, vcc_lo
	v_and_b32_e32 v3, 0xfc, v3
	s_delay_alu instid0(VALU_DEP_2) | instskip(NEXT) | instid1(VALU_DEP_2)
	v_cmp_eq_u64_e32 vcc_lo, 0, v[0:1]
	v_and_or_b32 v0, v0, 3, v3
	s_and_b32 s10, s10, vcc_lo
	s_delay_alu instid0(VALU_DEP_1) | instid1(SALU_CYCLE_1)
	v_cndmask_b32_e64 v0, v0, 0, s10
	s_delay_alu instid0(VALU_DEP_1)
	v_or_b32_e32 v98, v0, v4
.LBB6_3320:                             ;   in Loop: Header=BB6_130 Depth=2
	s_or_b32 exec_lo, exec_lo, s42
                                        ; implicit-def: $vgpr4
.LBB6_3321:                             ;   in Loop: Header=BB6_130 Depth=2
	s_and_not1_saveexec_b32 s10, s15
; %bb.3322:                             ;   in Loop: Header=BB6_130 Depth=2
	v_or_b32_e32 v98, 0x7b, v4
; %bb.3323:                             ;   in Loop: Header=BB6_130 Depth=2
	s_or_b32 exec_lo, exec_lo, s10
                                        ; implicit-def: $vgpr1
                                        ; implicit-def: $vgpr0
.LBB6_3324:                             ;   in Loop: Header=BB6_130 Depth=2
	s_and_not1_saveexec_b32 s10, s11
	s_cbranch_execz .LBB6_3330
; %bb.3325:                             ;   in Loop: Header=BB6_130 Depth=2
	s_mov_b32 s11, exec_lo
                                        ; implicit-def: $vgpr98
	v_cmpx_ne_u64_e32 0, v[24:25]
	s_xor_b32 s11, exec_lo, s11
; %bb.3326:                             ;   in Loop: Header=BB6_130 Depth=2
	v_or_b32_e32 v98, 0x7f, v0
                                        ; implicit-def: $vgpr1
; %bb.3327:                             ;   in Loop: Header=BB6_130 Depth=2
	s_and_not1_saveexec_b32 s11, s11
; %bb.3328:                             ;   in Loop: Header=BB6_130 Depth=2
	v_cmp_lt_i32_e32 vcc_lo, -1, v1
	v_cndmask_b32_e32 v98, 0xfc, v93, vcc_lo
; %bb.3329:                             ;   in Loop: Header=BB6_130 Depth=2
	s_or_b32 exec_lo, exec_lo, s11
.LBB6_3330:                             ;   in Loop: Header=BB6_130 Depth=2
	s_delay_alu instid0(SALU_CYCLE_1) | instskip(SKIP_4) | instid1(VALU_DEP_2)
	s_or_b32 exec_lo, exec_lo, s10
	v_lshrrev_b32_e32 v2, 16, v14
	v_lshrrev_b32_e32 v0, 16, v10
	s_mov_b32 s11, -1
	s_and_not1_b32 vcc_lo, exec_lo, s14
                                        ; implicit-def: $vgpr3
	v_and_b32_e32 v1, 0xff, v2
	s_delay_alu instid0(VALU_DEP_1)
	v_cmp_ne_u16_e64 s10, 0, v1
	s_cbranch_vccnz .LBB6_3352
; %bb.3331:                             ;   in Loop: Header=BB6_130 Depth=2
	v_dual_mov_b32 v4, 0 :: v_dual_mov_b32 v3, 0
	s_and_saveexec_b32 s15, s10
	s_cbranch_execz .LBB6_3341
; %bb.3332:                             ;   in Loop: Header=BB6_130 Depth=2
	v_bfrev_b32_e32 v3, 1
	s_mov_b32 s42, exec_lo
	v_cmpx_ne_u16_e32 0x80, v1
	s_cbranch_execz .LBB6_3340
; %bb.3333:                             ;   in Loop: Header=BB6_130 Depth=2
	v_and_b32_e32 v3, 0x7c0000, v14
	v_bfe_u32 v5, v14, 16, 2
	s_delay_alu instid0(VALU_DEP_2) | instskip(SKIP_1) | instid1(SALU_CYCLE_1)
	v_cmp_ne_u32_e32 vcc_lo, 0x7c0000, v3
                                        ; implicit-def: $vgpr3
	s_and_saveexec_b32 s11, vcc_lo
	s_xor_b32 s11, exec_lo, s11
	s_cbranch_execz .LBB6_3337
; %bb.3334:                             ;   in Loop: Header=BB6_130 Depth=2
	v_bfe_u32 v3, v14, 18, 5
	s_mov_b32 s43, exec_lo
	s_delay_alu instid0(VALU_DEP_1)
	v_cmpx_eq_u32_e32 0, v3
; %bb.3335:                             ;   in Loop: Header=BB6_130 Depth=2
	v_clz_i32_u32_e32 v3, v5
	s_delay_alu instid0(VALU_DEP_1) | instskip(NEXT) | instid1(VALU_DEP_1)
	v_min_u32_e32 v3, 32, v3
	v_subrev_nc_u32_e32 v5, 29, v3
	s_delay_alu instid0(VALU_DEP_1) | instskip(NEXT) | instid1(VALU_DEP_1)
	v_lshlrev_b64_e32 v[100:101], v5, v[2:3]
	v_dual_sub_nc_u32 v3, 30, v3 :: v_dual_bitop2_b32 v5, 3, v100 bitop3:0x40
; %bb.3336:                             ;   in Loop: Header=BB6_130 Depth=2
	s_or_b32 exec_lo, exec_lo, s43
	v_lshlrev_b32_e32 v24, 24, v2
	s_delay_alu instid0(VALU_DEP_1) | instskip(NEXT) | instid1(VALU_DEP_1)
	v_and_b32_e32 v24, 0x80000000, v24
	v_lshl_add_u32 v3, v3, 23, v24
	s_delay_alu instid0(VALU_DEP_1) | instskip(NEXT) | instid1(VALU_DEP_1)
	v_lshl_or_b32 v3, v5, 21, v3
                                        ; implicit-def: $vgpr5
	v_add_nc_u32_e32 v3, 0x38000000, v3
.LBB6_3337:                             ;   in Loop: Header=BB6_130 Depth=2
	s_and_not1_saveexec_b32 s43, s11
; %bb.3338:                             ;   in Loop: Header=BB6_130 Depth=2
	v_bfe_i32 v3, v2, 0, 8
	v_cmp_eq_u32_e32 vcc_lo, 0, v5
	s_delay_alu instid0(VALU_DEP_2) | instskip(NEXT) | instid1(VALU_DEP_1)
	v_cmp_lt_i16_e64 s11, -1, v3
	v_cndmask_b32_e64 v3, 0xff800000, v62, s11
	s_delay_alu instid0(VALU_DEP_1)
	v_cndmask_b32_e32 v3, 0x7f800001, v3, vcc_lo
; %bb.3339:                             ;   in Loop: Header=BB6_130 Depth=2
	s_or_b32 exec_lo, exec_lo, s43
.LBB6_3340:                             ;   in Loop: Header=BB6_130 Depth=2
	s_delay_alu instid0(SALU_CYCLE_1)
	s_or_b32 exec_lo, exec_lo, s42
.LBB6_3341:                             ;   in Loop: Header=BB6_130 Depth=2
	s_delay_alu instid0(SALU_CYCLE_1) | instskip(SKIP_2) | instid1(VALU_DEP_1)
	s_or_b32 exec_lo, exec_lo, s15
	v_and_b32_e32 v5, 0xff, v0
	s_mov_b32 s15, exec_lo
	v_cmpx_ne_u16_e32 0, v5
	s_cbranch_execz .LBB6_3351
; %bb.3342:                             ;   in Loop: Header=BB6_130 Depth=2
	v_bfrev_b32_e32 v4, 1
	s_mov_b32 s42, exec_lo
	v_cmpx_ne_u16_e32 0x80, v5
	s_cbranch_execz .LBB6_3350
; %bb.3343:                             ;   in Loop: Header=BB6_130 Depth=2
	v_and_b32_e32 v4, 0x7c0000, v10
	v_bfe_u32 v5, v10, 16, 2
	s_delay_alu instid0(VALU_DEP_2) | instskip(SKIP_1) | instid1(SALU_CYCLE_1)
	v_cmp_ne_u32_e32 vcc_lo, 0x7c0000, v4
                                        ; implicit-def: $vgpr4
	s_and_saveexec_b32 s11, vcc_lo
	s_xor_b32 s11, exec_lo, s11
	s_cbranch_execz .LBB6_3347
; %bb.3344:                             ;   in Loop: Header=BB6_130 Depth=2
	v_bfe_u32 v4, v10, 18, 5
	s_mov_b32 s43, exec_lo
	s_delay_alu instid0(VALU_DEP_1)
	v_cmpx_eq_u32_e32 0, v4
; %bb.3345:                             ;   in Loop: Header=BB6_130 Depth=2
	v_clz_i32_u32_e32 v4, v5
	s_delay_alu instid0(VALU_DEP_1) | instskip(NEXT) | instid1(VALU_DEP_1)
	v_min_u32_e32 v4, 32, v4
	v_subrev_nc_u32_e32 v5, 29, v4
	v_sub_nc_u32_e32 v4, 30, v4
	s_delay_alu instid0(VALU_DEP_2) | instskip(NEXT) | instid1(VALU_DEP_1)
	v_lshlrev_b64_e32 v[100:101], v5, v[0:1]
	v_and_b32_e32 v5, 3, v100
; %bb.3346:                             ;   in Loop: Header=BB6_130 Depth=2
	s_or_b32 exec_lo, exec_lo, s43
	v_lshlrev_b32_e32 v24, 24, v0
	s_delay_alu instid0(VALU_DEP_1) | instskip(NEXT) | instid1(VALU_DEP_1)
	v_and_b32_e32 v24, 0x80000000, v24
	v_lshl_add_u32 v4, v4, 23, v24
	s_delay_alu instid0(VALU_DEP_1) | instskip(NEXT) | instid1(VALU_DEP_1)
	v_lshl_or_b32 v4, v5, 21, v4
                                        ; implicit-def: $vgpr5
	v_add_nc_u32_e32 v4, 0x38000000, v4
.LBB6_3347:                             ;   in Loop: Header=BB6_130 Depth=2
	s_and_not1_saveexec_b32 s43, s11
; %bb.3348:                             ;   in Loop: Header=BB6_130 Depth=2
	v_bfe_i32 v4, v0, 0, 8
	v_cmp_eq_u32_e32 vcc_lo, 0, v5
	s_delay_alu instid0(VALU_DEP_2) | instskip(NEXT) | instid1(VALU_DEP_1)
	v_cmp_lt_i16_e64 s11, -1, v4
	v_cndmask_b32_e64 v4, 0xff800000, v62, s11
	s_delay_alu instid0(VALU_DEP_1)
	v_cndmask_b32_e32 v4, 0x7f800001, v4, vcc_lo
; %bb.3349:                             ;   in Loop: Header=BB6_130 Depth=2
	s_or_b32 exec_lo, exec_lo, s43
.LBB6_3350:                             ;   in Loop: Header=BB6_130 Depth=2
	s_delay_alu instid0(SALU_CYCLE_1)
	s_or_b32 exec_lo, exec_lo, s42
.LBB6_3351:                             ;   in Loop: Header=BB6_130 Depth=2
	s_delay_alu instid0(SALU_CYCLE_1) | instskip(NEXT) | instid1(VALU_DEP_1)
	s_or_b32 exec_lo, exec_lo, s15
	v_dual_max_num_f32 v4, v4, v4 :: v_dual_max_num_f32 v3, v3, v3
	s_mov_b32 s11, 0
	s_delay_alu instid0(VALU_DEP_1)
	v_max_num_f32_e32 v3, v3, v4
.LBB6_3352:                             ;   in Loop: Header=BB6_130 Depth=2
	s_and_b32 vcc_lo, exec_lo, s11
	s_cbranch_vccz .LBB6_3374
; %bb.3353:                             ;   in Loop: Header=BB6_130 Depth=2
	v_dual_mov_b32 v4, 0 :: v_dual_mov_b32 v3, 0
	s_and_saveexec_b32 s11, s10
	s_cbranch_execz .LBB6_3363
; %bb.3354:                             ;   in Loop: Header=BB6_130 Depth=2
	v_bfrev_b32_e32 v3, 1
	s_mov_b32 s15, exec_lo
	v_cmpx_ne_u16_e32 0x80, v1
	s_cbranch_execz .LBB6_3362
; %bb.3355:                             ;   in Loop: Header=BB6_130 Depth=2
	v_and_b32_e32 v3, 0x7c0000, v14
	v_bfe_u32 v1, v14, 16, 2
	s_delay_alu instid0(VALU_DEP_2) | instskip(SKIP_1) | instid1(SALU_CYCLE_1)
	v_cmp_ne_u32_e32 vcc_lo, 0x7c0000, v3
                                        ; implicit-def: $vgpr3
	s_and_saveexec_b32 s10, vcc_lo
	s_xor_b32 s10, exec_lo, s10
	s_cbranch_execz .LBB6_3359
; %bb.3356:                             ;   in Loop: Header=BB6_130 Depth=2
	v_bfe_u32 v3, v14, 18, 5
	s_mov_b32 s42, exec_lo
	s_delay_alu instid0(VALU_DEP_1)
	v_cmpx_eq_u32_e32 0, v3
; %bb.3357:                             ;   in Loop: Header=BB6_130 Depth=2
	v_clz_i32_u32_e32 v1, v1
	s_delay_alu instid0(VALU_DEP_1) | instskip(NEXT) | instid1(VALU_DEP_1)
	v_min_u32_e32 v1, 32, v1
	v_subrev_nc_u32_e32 v3, 29, v1
	s_delay_alu instid0(VALU_DEP_1) | instskip(NEXT) | instid1(VALU_DEP_1)
	v_lshlrev_b64_e32 v[100:101], v3, v[2:3]
	v_dual_sub_nc_u32 v3, 30, v1 :: v_dual_bitop2_b32 v1, 3, v100 bitop3:0x40
; %bb.3358:                             ;   in Loop: Header=BB6_130 Depth=2
	s_or_b32 exec_lo, exec_lo, s42
	v_lshlrev_b32_e32 v2, 24, v2
	s_delay_alu instid0(VALU_DEP_1) | instskip(NEXT) | instid1(VALU_DEP_1)
	v_and_b32_e32 v2, 0x80000000, v2
	v_lshl_add_u32 v2, v3, 23, v2
	s_delay_alu instid0(VALU_DEP_1) | instskip(NEXT) | instid1(VALU_DEP_1)
	v_lshl_or_b32 v1, v1, 21, v2
                                        ; implicit-def: $vgpr2
	v_add_nc_u32_e32 v3, 0x38000000, v1
                                        ; implicit-def: $vgpr1
.LBB6_3359:                             ;   in Loop: Header=BB6_130 Depth=2
	s_and_not1_saveexec_b32 s42, s10
; %bb.3360:                             ;   in Loop: Header=BB6_130 Depth=2
	v_bfe_i32 v2, v2, 0, 8
	v_cmp_eq_u32_e32 vcc_lo, 0, v1
	s_delay_alu instid0(VALU_DEP_2) | instskip(NEXT) | instid1(VALU_DEP_1)
	v_cmp_lt_i16_e64 s10, -1, v2
	v_cndmask_b32_e64 v1, 0xff800000, v62, s10
	s_delay_alu instid0(VALU_DEP_1)
	v_cndmask_b32_e32 v3, 0x7f800001, v1, vcc_lo
; %bb.3361:                             ;   in Loop: Header=BB6_130 Depth=2
	s_or_b32 exec_lo, exec_lo, s42
.LBB6_3362:                             ;   in Loop: Header=BB6_130 Depth=2
	s_delay_alu instid0(SALU_CYCLE_1)
	s_or_b32 exec_lo, exec_lo, s15
.LBB6_3363:                             ;   in Loop: Header=BB6_130 Depth=2
	s_delay_alu instid0(SALU_CYCLE_1) | instskip(SKIP_2) | instid1(VALU_DEP_1)
	s_or_b32 exec_lo, exec_lo, s11
	v_and_b32_e32 v1, 0xff, v0
	s_mov_b32 s11, exec_lo
	v_cmpx_ne_u16_e32 0, v1
	s_cbranch_execz .LBB6_3373
; %bb.3364:                             ;   in Loop: Header=BB6_130 Depth=2
	v_bfrev_b32_e32 v4, 1
	s_mov_b32 s15, exec_lo
	v_cmpx_ne_u16_e32 0x80, v1
	s_cbranch_execz .LBB6_3372
; %bb.3365:                             ;   in Loop: Header=BB6_130 Depth=2
	v_and_b32_e32 v2, 0x7c0000, v10
	v_bfe_u32 v1, v10, 16, 2
	s_mov_b32 s10, exec_lo
                                        ; implicit-def: $vgpr4
	s_delay_alu instid0(VALU_DEP_2)
	v_cmpx_ne_u32_e32 0x7c0000, v2
	s_xor_b32 s10, exec_lo, s10
	s_cbranch_execz .LBB6_3369
; %bb.3366:                             ;   in Loop: Header=BB6_130 Depth=2
	v_bfe_u32 v2, v10, 18, 5
	s_mov_b32 s42, exec_lo
	s_delay_alu instid0(VALU_DEP_1)
	v_cmpx_eq_u32_e32 0, v2
; %bb.3367:                             ;   in Loop: Header=BB6_130 Depth=2
	v_clz_i32_u32_e32 v1, v1
	s_delay_alu instid0(VALU_DEP_1) | instskip(NEXT) | instid1(VALU_DEP_1)
	v_min_u32_e32 v1, 32, v1
	v_subrev_nc_u32_e32 v2, 29, v1
	s_delay_alu instid0(VALU_DEP_1) | instskip(NEXT) | instid1(VALU_DEP_1)
	v_lshlrev_b64_e32 v[4:5], v2, v[0:1]
	v_dual_sub_nc_u32 v2, 30, v1 :: v_dual_bitop2_b32 v1, 3, v4 bitop3:0x40
; %bb.3368:                             ;   in Loop: Header=BB6_130 Depth=2
	s_or_b32 exec_lo, exec_lo, s42
	v_lshlrev_b32_e32 v0, 24, v0
	s_delay_alu instid0(VALU_DEP_1) | instskip(NEXT) | instid1(VALU_DEP_1)
	v_and_b32_e32 v0, 0x80000000, v0
	v_lshl_add_u32 v0, v2, 23, v0
	s_delay_alu instid0(VALU_DEP_1) | instskip(NEXT) | instid1(VALU_DEP_1)
	v_lshl_or_b32 v0, v1, 21, v0
                                        ; implicit-def: $vgpr1
	v_add_nc_u32_e32 v4, 0x38000000, v0
                                        ; implicit-def: $vgpr0
.LBB6_3369:                             ;   in Loop: Header=BB6_130 Depth=2
	s_and_not1_saveexec_b32 s42, s10
; %bb.3370:                             ;   in Loop: Header=BB6_130 Depth=2
	v_bfe_i32 v0, v0, 0, 8
	v_cmp_eq_u32_e32 vcc_lo, 0, v1
	s_delay_alu instid0(VALU_DEP_2) | instskip(NEXT) | instid1(VALU_DEP_1)
	v_cmp_lt_i16_e64 s10, -1, v0
	v_cndmask_b32_e64 v0, 0xff800000, v62, s10
	s_delay_alu instid0(VALU_DEP_1)
	v_cndmask_b32_e32 v4, 0x7f800001, v0, vcc_lo
; %bb.3371:                             ;   in Loop: Header=BB6_130 Depth=2
	s_or_b32 exec_lo, exec_lo, s42
.LBB6_3372:                             ;   in Loop: Header=BB6_130 Depth=2
	s_delay_alu instid0(SALU_CYCLE_1)
	s_or_b32 exec_lo, exec_lo, s15
.LBB6_3373:                             ;   in Loop: Header=BB6_130 Depth=2
	s_delay_alu instid0(SALU_CYCLE_1) | instskip(NEXT) | instid1(VALU_DEP_1)
	s_or_b32 exec_lo, exec_lo, s11
	v_dual_max_num_f32 v0, v4, v4 :: v_dual_max_num_f32 v1, v3, v3
	s_delay_alu instid0(VALU_DEP_1)
	v_min_num_f32_e32 v3, v1, v0
.LBB6_3374:                             ;   in Loop: Header=BB6_130 Depth=2
	s_delay_alu instid0(VALU_DEP_1) | instskip(SKIP_2) | instid1(VALU_DEP_2)
	v_and_b32_e32 v0, 0x7f800000, v3
	v_mov_b32_e32 v1, v25
	v_and_b32_e32 v24, 0x7fffff, v3
                                        ; implicit-def: $vgpr99
	v_cmp_ne_u64_e32 vcc_lo, 0x7f800000, v[0:1]
	v_lshrrev_b32_e32 v0, 24, v3
	s_and_saveexec_b32 s10, vcc_lo
	s_delay_alu instid0(SALU_CYCLE_1)
	s_xor_b32 s11, exec_lo, s10
	s_cbranch_execz .LBB6_3388
; %bb.3375:                             ;   in Loop: Header=BB6_130 Depth=2
	v_and_b32_e32 v4, 0x7fffffff, v3
	v_mov_b32_e32 v5, v25
                                        ; implicit-def: $vgpr99
	s_delay_alu instid0(VALU_DEP_1) | instskip(SKIP_2) | instid1(SALU_CYCLE_1)
	v_cmp_gt_u64_e32 vcc_lo, 0x47600001, v[4:5]
	v_and_b32_e32 v4, 0x80, v0
	s_and_saveexec_b32 s10, vcc_lo
	s_xor_b32 s15, exec_lo, s10
	s_cbranch_execz .LBB6_3385
; %bb.3376:                             ;   in Loop: Header=BB6_130 Depth=2
	v_mov_b32_e32 v99, 0
	s_mov_b32 s42, exec_lo
	v_cmpx_ne_u32_e32 0, v3
	s_cbranch_execz .LBB6_3384
; %bb.3377:                             ;   in Loop: Header=BB6_130 Depth=2
	v_bfe_u32 v5, v3, 23, 8
	v_or_b32_e32 v1, 0x800000, v24
	s_delay_alu instid0(VALU_DEP_2) | instskip(SKIP_2) | instid1(VALU_DEP_2)
	v_cmp_gt_u32_e64 s10, 0x72, v5
	v_sub_nc_u32_e32 v0, 0x71, v5
	v_cmp_eq_u32_e32 vcc_lo, 0, v5
	v_cndmask_b32_e64 v0, 0, v0, s10
	s_delay_alu instid0(VALU_DEP_1) | instskip(NEXT) | instid1(VALU_DEP_1)
	v_cndmask_b32_e64 v99, v0, 0x70, vcc_lo
	v_dual_cndmask_b32 v24, v1, v24, vcc_lo :: v_dual_add_nc_u32 v0, 21, v99
	v_add_nc_u32_e32 v2, 20, v99
	s_delay_alu instid0(VALU_DEP_2) | instskip(NEXT) | instid1(VALU_DEP_2)
	v_lshlrev_b64_e64 v[0:1], v0, -1
	v_lshlrev_b64_e64 v[2:3], v2, 1
	s_delay_alu instid0(VALU_DEP_2) | instskip(NEXT) | instid1(VALU_DEP_3)
	v_bfi_b32 v1, v1, 0, 0
	v_bfi_b32 v0, v0, 0, v24
	s_delay_alu instid0(VALU_DEP_1) | instskip(SKIP_1) | instid1(VALU_DEP_1)
	v_cmp_eq_u64_e64 s10, v[0:1], v[2:3]
	v_lshrrev_b64 v[0:1], v99, v[24:25]
	v_mov_b64_e32 v[2:3], v[0:1]
	s_and_saveexec_b32 s43, s10
; %bb.3378:                             ;   in Loop: Header=BB6_130 Depth=2
	v_bfe_u32 v24, v0, 21, 1
	s_delay_alu instid0(VALU_DEP_1) | instskip(NEXT) | instid1(VALU_DEP_1)
	v_add_nc_u64_e32 v[2:3], v[0:1], v[24:25]
	v_add_nc_u64_e32 v[2:3], -1, v[2:3]
; %bb.3379:                             ;   in Loop: Header=BB6_130 Depth=2
	s_or_b32 exec_lo, exec_lo, s43
	v_add_nc_u32_e32 v1, 0xffffff81, v5
	v_lshrrev_b32_e32 v3, 23, v0
	s_mov_b32 s10, exec_lo
	s_delay_alu instid0(VALU_DEP_2) | instskip(NEXT) | instid1(VALU_DEP_1)
	v_cndmask_b32_e64 v1, v1, 0xffffff82, vcc_lo
	v_add3_u32 v5, v99, v1, v3
	v_and_b32_e32 v1, 0x1fffff, v2
                                        ; implicit-def: $vgpr2
	s_delay_alu instid0(VALU_DEP_1) | instskip(NEXT) | instid1(VALU_DEP_1)
	v_dual_add_nc_u32 v3, 14, v5 :: v_dual_add_nc_u32 v24, v1, v0
                                        ; implicit-def: $vgpr0_vgpr1
	v_cmpx_ne_u32_e32 0, v3
	s_xor_b32 s10, exec_lo, s10
; %bb.3380:                             ;   in Loop: Header=BB6_130 Depth=2
	s_delay_alu instid0(VALU_DEP_2) | instskip(SKIP_1) | instid1(VALU_DEP_1)
	v_cmp_lt_u64_e32 vcc_lo, 0xffffff, v[24:25]
	v_add_nc_u32_e32 v0, 15, v5
	v_cndmask_b32_e32 v2, v3, v0, vcc_lo
	v_cndmask_b32_e64 v0, 0, 1, vcc_lo
	s_delay_alu instid0(VALU_DEP_1)
	v_lshrrev_b64 v[0:1], v0, v[24:25]
; %bb.3381:                             ;   in Loop: Header=BB6_130 Depth=2
	s_and_not1_saveexec_b32 s10, s10
; %bb.3382:                             ;   in Loop: Header=BB6_130 Depth=2
	v_mov_b64_e32 v[0:1], v[24:25]
	v_bfe_u32 v2, v24, 23, 1
; %bb.3383:                             ;   in Loop: Header=BB6_130 Depth=2
	s_or_b32 exec_lo, exec_lo, s10
	s_delay_alu instid0(VALU_DEP_2) | instskip(NEXT) | instid1(VALU_DEP_2)
	v_lshrrev_b64 v[0:1], 21, v[0:1]
	v_cmp_gt_i32_e32 vcc_lo, 32, v2
	v_min_i32_e32 v3, 31, v2
	v_cmp_eq_u32_e64 s10, 0, v2
	s_delay_alu instid0(VALU_DEP_2) | instskip(SKIP_1) | instid1(VALU_DEP_2)
	v_dual_cndmask_b32 v1, 0, v1, vcc_lo :: v_dual_lshlrev_b32 v3, 2, v3
	v_cndmask_b32_e32 v0, 3, v0, vcc_lo
	v_and_b32_e32 v3, 0xfc, v3
	s_delay_alu instid0(VALU_DEP_2) | instskip(NEXT) | instid1(VALU_DEP_2)
	v_cmp_eq_u64_e32 vcc_lo, 0, v[0:1]
	v_and_or_b32 v0, v0, 3, v3
	s_and_b32 s10, s10, vcc_lo
	s_delay_alu instid0(VALU_DEP_1) | instid1(SALU_CYCLE_1)
	v_cndmask_b32_e64 v0, v0, 0, s10
	s_delay_alu instid0(VALU_DEP_1)
	v_or_b32_e32 v99, v0, v4
.LBB6_3384:                             ;   in Loop: Header=BB6_130 Depth=2
	s_or_b32 exec_lo, exec_lo, s42
                                        ; implicit-def: $vgpr4
.LBB6_3385:                             ;   in Loop: Header=BB6_130 Depth=2
	s_and_not1_saveexec_b32 s10, s15
; %bb.3386:                             ;   in Loop: Header=BB6_130 Depth=2
	v_or_b32_e32 v99, 0x7b, v4
; %bb.3387:                             ;   in Loop: Header=BB6_130 Depth=2
	s_or_b32 exec_lo, exec_lo, s10
                                        ; implicit-def: $vgpr3
                                        ; implicit-def: $vgpr0
.LBB6_3388:                             ;   in Loop: Header=BB6_130 Depth=2
	s_and_not1_saveexec_b32 s10, s11
	s_cbranch_execz .LBB6_3394
; %bb.3389:                             ;   in Loop: Header=BB6_130 Depth=2
	s_mov_b32 s11, exec_lo
                                        ; implicit-def: $vgpr99
	v_cmpx_ne_u64_e32 0, v[24:25]
	s_xor_b32 s11, exec_lo, s11
; %bb.3390:                             ;   in Loop: Header=BB6_130 Depth=2
	v_or_b32_e32 v99, 0x7f, v0
                                        ; implicit-def: $vgpr3
; %bb.3391:                             ;   in Loop: Header=BB6_130 Depth=2
	s_and_not1_saveexec_b32 s11, s11
; %bb.3392:                             ;   in Loop: Header=BB6_130 Depth=2
	v_cmp_lt_i32_e32 vcc_lo, -1, v3
	v_cndmask_b32_e32 v99, 0xfc, v93, vcc_lo
; %bb.3393:                             ;   in Loop: Header=BB6_130 Depth=2
	s_or_b32 exec_lo, exec_lo, s11
.LBB6_3394:                             ;   in Loop: Header=BB6_130 Depth=2
	s_delay_alu instid0(SALU_CYCLE_1)
	s_or_b32 exec_lo, exec_lo, s10
	v_lshrrev_b32_e32 v2, 24, v14
	v_lshrrev_b32_e32 v0, 24, v10
	v_cmp_lt_u32_e64 s10, 0xffffff, v14
	s_mov_b32 s11, -1
	s_and_not1_b32 vcc_lo, exec_lo, s14
                                        ; implicit-def: $vgpr1
	s_cbranch_vccnz .LBB6_3416
; %bb.3395:                             ;   in Loop: Header=BB6_130 Depth=2
	v_dual_mov_b32 v3, 0 :: v_dual_mov_b32 v1, 0
	s_and_saveexec_b32 s15, s10
	s_cbranch_execz .LBB6_3405
; %bb.3396:                             ;   in Loop: Header=BB6_130 Depth=2
	v_bfrev_b32_e32 v1, 1
	s_mov_b32 s42, exec_lo
	v_cmpx_ne_u32_e32 0x80, v2
	s_cbranch_execz .LBB6_3404
; %bb.3397:                             ;   in Loop: Header=BB6_130 Depth=2
	v_and_b32_e32 v1, 0x7c000000, v14
	v_bfe_u32 v4, v14, 24, 2
	s_delay_alu instid0(VALU_DEP_2) | instskip(SKIP_1) | instid1(SALU_CYCLE_1)
	v_cmp_ne_u32_e32 vcc_lo, 0x7c000000, v1
                                        ; implicit-def: $vgpr1
	s_and_saveexec_b32 s11, vcc_lo
	s_xor_b32 s11, exec_lo, s11
	s_cbranch_execz .LBB6_3401
; %bb.3398:                             ;   in Loop: Header=BB6_130 Depth=2
	v_bfe_u32 v1, v14, 26, 5
	s_mov_b32 s43, exec_lo
	s_delay_alu instid0(VALU_DEP_1)
	v_cmpx_eq_u32_e32 0, v1
; %bb.3399:                             ;   in Loop: Header=BB6_130 Depth=2
	v_clz_i32_u32_e32 v1, v4
	s_delay_alu instid0(VALU_DEP_1) | instskip(NEXT) | instid1(VALU_DEP_1)
	v_min_u32_e32 v1, 32, v1
	v_subrev_nc_u32_e32 v4, 29, v1
	s_delay_alu instid0(VALU_DEP_1) | instskip(NEXT) | instid1(VALU_DEP_1)
	v_lshlrev_b64_e32 v[4:5], v4, v[2:3]
	v_dual_sub_nc_u32 v1, 30, v1 :: v_dual_bitop2_b32 v4, 3, v4 bitop3:0x40
; %bb.3400:                             ;   in Loop: Header=BB6_130 Depth=2
	s_or_b32 exec_lo, exec_lo, s43
	v_and_b32_e32 v5, 0x80000000, v14
	s_delay_alu instid0(VALU_DEP_1) | instskip(NEXT) | instid1(VALU_DEP_1)
	v_lshl_add_u32 v1, v1, 23, v5
	v_lshl_or_b32 v1, v4, 21, v1
                                        ; implicit-def: $vgpr4
	s_delay_alu instid0(VALU_DEP_1)
	v_add_nc_u32_e32 v1, 0x38000000, v1
.LBB6_3401:                             ;   in Loop: Header=BB6_130 Depth=2
	s_and_not1_saveexec_b32 s43, s11
; %bb.3402:                             ;   in Loop: Header=BB6_130 Depth=2
	v_cmp_lt_i32_e64 s11, -1, v14
	v_cmp_eq_u32_e32 vcc_lo, 0, v4
	s_delay_alu instid0(VALU_DEP_2) | instskip(NEXT) | instid1(VALU_DEP_1)
	v_cndmask_b32_e64 v1, 0xff800000, v62, s11
	v_cndmask_b32_e32 v1, 0x7f800001, v1, vcc_lo
; %bb.3403:                             ;   in Loop: Header=BB6_130 Depth=2
	s_or_b32 exec_lo, exec_lo, s43
.LBB6_3404:                             ;   in Loop: Header=BB6_130 Depth=2
	s_delay_alu instid0(SALU_CYCLE_1)
	s_or_b32 exec_lo, exec_lo, s42
.LBB6_3405:                             ;   in Loop: Header=BB6_130 Depth=2
	s_delay_alu instid0(SALU_CYCLE_1) | instskip(NEXT) | instid1(SALU_CYCLE_1)
	s_or_b32 exec_lo, exec_lo, s15
	s_mov_b32 s15, exec_lo
	v_cmpx_lt_u32_e32 0xffffff, v10
	s_cbranch_execz .LBB6_3415
; %bb.3406:                             ;   in Loop: Header=BB6_130 Depth=2
	v_bfrev_b32_e32 v3, 1
	s_mov_b32 s42, exec_lo
	v_cmpx_ne_u32_e32 0x80, v0
	s_cbranch_execz .LBB6_3414
; %bb.3407:                             ;   in Loop: Header=BB6_130 Depth=2
	v_and_b32_e32 v3, 0x7c000000, v10
	v_bfe_u32 v4, v10, 24, 2
	s_delay_alu instid0(VALU_DEP_2) | instskip(SKIP_1) | instid1(SALU_CYCLE_1)
	v_cmp_ne_u32_e32 vcc_lo, 0x7c000000, v3
                                        ; implicit-def: $vgpr3
	s_and_saveexec_b32 s11, vcc_lo
	s_xor_b32 s11, exec_lo, s11
	s_cbranch_execz .LBB6_3411
; %bb.3408:                             ;   in Loop: Header=BB6_130 Depth=2
	v_bfe_u32 v3, v10, 26, 5
	s_mov_b32 s43, exec_lo
	s_delay_alu instid0(VALU_DEP_1)
	v_cmpx_eq_u32_e32 0, v3
; %bb.3409:                             ;   in Loop: Header=BB6_130 Depth=2
	v_clz_i32_u32_e32 v3, v4
	s_delay_alu instid0(VALU_DEP_1) | instskip(NEXT) | instid1(VALU_DEP_1)
	v_min_u32_e32 v3, 32, v3
	v_subrev_nc_u32_e32 v4, 29, v3
	s_delay_alu instid0(VALU_DEP_1) | instskip(NEXT) | instid1(VALU_DEP_1)
	v_lshlrev_b64_e32 v[4:5], v4, v[0:1]
	v_dual_sub_nc_u32 v3, 30, v3 :: v_dual_bitop2_b32 v4, 3, v4 bitop3:0x40
; %bb.3410:                             ;   in Loop: Header=BB6_130 Depth=2
	s_or_b32 exec_lo, exec_lo, s43
	v_and_b32_e32 v5, 0x80000000, v10
	s_delay_alu instid0(VALU_DEP_1) | instskip(NEXT) | instid1(VALU_DEP_1)
	v_lshl_add_u32 v3, v3, 23, v5
	v_lshl_or_b32 v3, v4, 21, v3
                                        ; implicit-def: $vgpr4
	s_delay_alu instid0(VALU_DEP_1)
	v_add_nc_u32_e32 v3, 0x38000000, v3
.LBB6_3411:                             ;   in Loop: Header=BB6_130 Depth=2
	s_and_not1_saveexec_b32 s43, s11
; %bb.3412:                             ;   in Loop: Header=BB6_130 Depth=2
	v_cmp_lt_i32_e64 s11, -1, v10
	v_cmp_eq_u32_e32 vcc_lo, 0, v4
	s_delay_alu instid0(VALU_DEP_2) | instskip(NEXT) | instid1(VALU_DEP_1)
	v_cndmask_b32_e64 v3, 0xff800000, v62, s11
	v_cndmask_b32_e32 v3, 0x7f800001, v3, vcc_lo
; %bb.3413:                             ;   in Loop: Header=BB6_130 Depth=2
	s_or_b32 exec_lo, exec_lo, s43
.LBB6_3414:                             ;   in Loop: Header=BB6_130 Depth=2
	s_delay_alu instid0(SALU_CYCLE_1)
	s_or_b32 exec_lo, exec_lo, s42
.LBB6_3415:                             ;   in Loop: Header=BB6_130 Depth=2
	s_delay_alu instid0(SALU_CYCLE_1) | instskip(NEXT) | instid1(VALU_DEP_1)
	s_or_b32 exec_lo, exec_lo, s15
	v_dual_max_num_f32 v3, v3, v3 :: v_dual_max_num_f32 v1, v1, v1
	s_mov_b32 s11, 0
	s_delay_alu instid0(VALU_DEP_1)
	v_max_num_f32_e32 v1, v1, v3
.LBB6_3416:                             ;   in Loop: Header=BB6_130 Depth=2
	s_and_b32 vcc_lo, exec_lo, s11
	s_cbranch_vccz .LBB6_3438
; %bb.3417:                             ;   in Loop: Header=BB6_130 Depth=2
	v_dual_mov_b32 v3, 0 :: v_dual_mov_b32 v1, 0
	s_and_saveexec_b32 s11, s10
	s_cbranch_execz .LBB6_3427
; %bb.3418:                             ;   in Loop: Header=BB6_130 Depth=2
	v_bfrev_b32_e32 v1, 1
	s_mov_b32 s15, exec_lo
	v_cmpx_ne_u32_e32 0x80, v2
	s_cbranch_execz .LBB6_3426
; %bb.3419:                             ;   in Loop: Header=BB6_130 Depth=2
	v_and_b32_e32 v1, 0x7c000000, v14
	v_bfe_u32 v4, v14, 24, 2
	s_delay_alu instid0(VALU_DEP_2) | instskip(SKIP_1) | instid1(SALU_CYCLE_1)
	v_cmp_ne_u32_e32 vcc_lo, 0x7c000000, v1
                                        ; implicit-def: $vgpr1
	s_and_saveexec_b32 s10, vcc_lo
	s_xor_b32 s10, exec_lo, s10
	s_cbranch_execz .LBB6_3423
; %bb.3420:                             ;   in Loop: Header=BB6_130 Depth=2
	v_bfe_u32 v1, v14, 26, 5
	s_mov_b32 s42, exec_lo
	s_delay_alu instid0(VALU_DEP_1)
	v_cmpx_eq_u32_e32 0, v1
; %bb.3421:                             ;   in Loop: Header=BB6_130 Depth=2
	v_clz_i32_u32_e32 v1, v4
	s_delay_alu instid0(VALU_DEP_1) | instskip(NEXT) | instid1(VALU_DEP_1)
	v_min_u32_e32 v1, 32, v1
	v_subrev_nc_u32_e32 v4, 29, v1
	s_delay_alu instid0(VALU_DEP_1) | instskip(NEXT) | instid1(VALU_DEP_1)
	v_lshlrev_b64_e32 v[4:5], v4, v[2:3]
	v_dual_sub_nc_u32 v1, 30, v1 :: v_dual_bitop2_b32 v4, 3, v4 bitop3:0x40
; %bb.3422:                             ;   in Loop: Header=BB6_130 Depth=2
	s_or_b32 exec_lo, exec_lo, s42
	v_and_b32_e32 v2, 0x80000000, v14
	s_delay_alu instid0(VALU_DEP_1) | instskip(NEXT) | instid1(VALU_DEP_1)
	v_lshl_add_u32 v1, v1, 23, v2
	v_lshl_or_b32 v1, v4, 21, v1
                                        ; implicit-def: $vgpr4
	s_delay_alu instid0(VALU_DEP_1)
	v_add_nc_u32_e32 v1, 0x38000000, v1
.LBB6_3423:                             ;   in Loop: Header=BB6_130 Depth=2
	s_and_not1_saveexec_b32 s42, s10
; %bb.3424:                             ;   in Loop: Header=BB6_130 Depth=2
	v_cmp_lt_i32_e64 s10, -1, v14
	v_cmp_eq_u32_e32 vcc_lo, 0, v4
	s_delay_alu instid0(VALU_DEP_2) | instskip(NEXT) | instid1(VALU_DEP_1)
	v_cndmask_b32_e64 v1, 0xff800000, v62, s10
	v_cndmask_b32_e32 v1, 0x7f800001, v1, vcc_lo
; %bb.3425:                             ;   in Loop: Header=BB6_130 Depth=2
	s_or_b32 exec_lo, exec_lo, s42
.LBB6_3426:                             ;   in Loop: Header=BB6_130 Depth=2
	s_delay_alu instid0(SALU_CYCLE_1)
	s_or_b32 exec_lo, exec_lo, s15
.LBB6_3427:                             ;   in Loop: Header=BB6_130 Depth=2
	s_delay_alu instid0(SALU_CYCLE_1) | instskip(NEXT) | instid1(SALU_CYCLE_1)
	s_or_b32 exec_lo, exec_lo, s11
	s_mov_b32 s11, exec_lo
	v_cmpx_lt_u32_e32 0xffffff, v10
	s_cbranch_execz .LBB6_3437
; %bb.3428:                             ;   in Loop: Header=BB6_130 Depth=2
	v_bfrev_b32_e32 v3, 1
	s_mov_b32 s15, exec_lo
	v_cmpx_ne_u32_e32 0x80, v0
	s_cbranch_execz .LBB6_3436
; %bb.3429:                             ;   in Loop: Header=BB6_130 Depth=2
	v_and_b32_e32 v3, 0x7c000000, v10
	v_bfe_u32 v2, v10, 24, 2
	s_delay_alu instid0(VALU_DEP_2) | instskip(SKIP_1) | instid1(SALU_CYCLE_1)
	v_cmp_ne_u32_e32 vcc_lo, 0x7c000000, v3
                                        ; implicit-def: $vgpr3
	s_and_saveexec_b32 s10, vcc_lo
	s_xor_b32 s10, exec_lo, s10
	s_cbranch_execz .LBB6_3433
; %bb.3430:                             ;   in Loop: Header=BB6_130 Depth=2
	v_bfe_u32 v3, v10, 26, 5
	s_mov_b32 s42, exec_lo
	s_delay_alu instid0(VALU_DEP_1)
	v_cmpx_eq_u32_e32 0, v3
; %bb.3431:                             ;   in Loop: Header=BB6_130 Depth=2
	v_clz_i32_u32_e32 v2, v2
	s_delay_alu instid0(VALU_DEP_1) | instskip(NEXT) | instid1(VALU_DEP_1)
	v_min_u32_e32 v4, 32, v2
	v_subrev_nc_u32_e32 v2, 29, v4
	s_delay_alu instid0(VALU_DEP_1) | instskip(NEXT) | instid1(VALU_DEP_1)
	v_lshlrev_b64_e32 v[2:3], v2, v[0:1]
	v_dual_sub_nc_u32 v3, 30, v4 :: v_dual_bitop2_b32 v2, 3, v2 bitop3:0x40
; %bb.3432:                             ;   in Loop: Header=BB6_130 Depth=2
	s_or_b32 exec_lo, exec_lo, s42
	v_and_b32_e32 v0, 0x80000000, v10
	s_delay_alu instid0(VALU_DEP_1) | instskip(NEXT) | instid1(VALU_DEP_1)
	v_lshl_add_u32 v0, v3, 23, v0
	v_lshl_or_b32 v0, v2, 21, v0
                                        ; implicit-def: $vgpr2
	s_delay_alu instid0(VALU_DEP_1)
	v_add_nc_u32_e32 v3, 0x38000000, v0
.LBB6_3433:                             ;   in Loop: Header=BB6_130 Depth=2
	s_and_not1_saveexec_b32 s42, s10
; %bb.3434:                             ;   in Loop: Header=BB6_130 Depth=2
	v_cmp_lt_i32_e64 s10, -1, v10
	v_cmp_eq_u32_e32 vcc_lo, 0, v2
	s_delay_alu instid0(VALU_DEP_2) | instskip(NEXT) | instid1(VALU_DEP_1)
	v_cndmask_b32_e64 v0, 0xff800000, v62, s10
	v_cndmask_b32_e32 v3, 0x7f800001, v0, vcc_lo
; %bb.3435:                             ;   in Loop: Header=BB6_130 Depth=2
	s_or_b32 exec_lo, exec_lo, s42
.LBB6_3436:                             ;   in Loop: Header=BB6_130 Depth=2
	s_delay_alu instid0(SALU_CYCLE_1)
	s_or_b32 exec_lo, exec_lo, s15
.LBB6_3437:                             ;   in Loop: Header=BB6_130 Depth=2
	s_delay_alu instid0(SALU_CYCLE_1) | instskip(NEXT) | instid1(VALU_DEP_1)
	s_or_b32 exec_lo, exec_lo, s11
	v_dual_max_num_f32 v0, v3, v3 :: v_dual_max_num_f32 v1, v1, v1
	s_delay_alu instid0(VALU_DEP_1)
	v_min_num_f32_e32 v1, v1, v0
.LBB6_3438:                             ;   in Loop: Header=BB6_130 Depth=2
	s_delay_alu instid0(VALU_DEP_1) | instskip(SKIP_3) | instid1(VALU_DEP_2)
	v_and_b32_e32 v2, 0x7f800000, v1
	v_dual_mov_b32 v3, v25 :: v_dual_lshrrev_b32 v0, 24, v1
	v_and_b32_e32 v24, 0x7fffff, v1
                                        ; implicit-def: $vgpr100
	s_mov_b32 s10, exec_lo
	v_cmpx_ne_u64_e32 0x7f800000, v[2:3]
	s_xor_b32 s11, exec_lo, s10
	s_cbranch_execz .LBB6_3452
; %bb.3439:                             ;   in Loop: Header=BB6_130 Depth=2
	v_and_b32_e32 v2, 0x7fffffff, v1
	v_mov_b32_e32 v3, v25
	v_and_b32_e32 v4, 0x80, v0
                                        ; implicit-def: $vgpr100
	s_mov_b32 s10, exec_lo
	s_delay_alu instid0(VALU_DEP_2)
	v_cmpx_gt_u64_e32 0x47600001, v[2:3]
	s_xor_b32 s15, exec_lo, s10
	s_cbranch_execz .LBB6_3449
; %bb.3440:                             ;   in Loop: Header=BB6_130 Depth=2
	v_mov_b32_e32 v100, 0
	s_mov_b32 s42, exec_lo
	v_cmpx_ne_u32_e32 0, v1
	s_cbranch_execz .LBB6_3448
; %bb.3441:                             ;   in Loop: Header=BB6_130 Depth=2
	v_bfe_u32 v5, v1, 23, 8
	v_or_b32_e32 v1, 0x800000, v24
	s_delay_alu instid0(VALU_DEP_2) | instskip(SKIP_2) | instid1(VALU_DEP_2)
	v_cmp_gt_u32_e64 s10, 0x72, v5
	v_sub_nc_u32_e32 v0, 0x71, v5
	v_cmp_eq_u32_e32 vcc_lo, 0, v5
	v_cndmask_b32_e64 v0, 0, v0, s10
	v_cndmask_b32_e32 v24, v1, v24, vcc_lo
	s_delay_alu instid0(VALU_DEP_2) | instskip(NEXT) | instid1(VALU_DEP_1)
	v_cndmask_b32_e64 v100, v0, 0x70, vcc_lo
	v_dual_add_nc_u32 v0, 21, v100 :: v_dual_add_nc_u32 v2, 20, v100
	s_delay_alu instid0(VALU_DEP_1) | instskip(NEXT) | instid1(VALU_DEP_2)
	v_lshlrev_b64_e64 v[0:1], v0, -1
	v_lshlrev_b64_e64 v[2:3], v2, 1
	s_delay_alu instid0(VALU_DEP_2) | instskip(NEXT) | instid1(VALU_DEP_3)
	v_bfi_b32 v1, v1, 0, 0
	v_bfi_b32 v0, v0, 0, v24
	s_delay_alu instid0(VALU_DEP_1) | instskip(SKIP_1) | instid1(VALU_DEP_1)
	v_cmp_eq_u64_e64 s10, v[0:1], v[2:3]
	v_lshrrev_b64 v[0:1], v100, v[24:25]
	v_mov_b64_e32 v[2:3], v[0:1]
	s_and_saveexec_b32 s43, s10
; %bb.3442:                             ;   in Loop: Header=BB6_130 Depth=2
	v_bfe_u32 v24, v0, 21, 1
	s_delay_alu instid0(VALU_DEP_1) | instskip(NEXT) | instid1(VALU_DEP_1)
	v_add_nc_u64_e32 v[2:3], v[0:1], v[24:25]
	v_add_nc_u64_e32 v[2:3], -1, v[2:3]
; %bb.3443:                             ;   in Loop: Header=BB6_130 Depth=2
	s_or_b32 exec_lo, exec_lo, s43
	v_add_nc_u32_e32 v1, 0xffffff81, v5
	v_lshrrev_b32_e32 v3, 23, v0
	s_mov_b32 s10, exec_lo
	s_delay_alu instid0(VALU_DEP_2) | instskip(NEXT) | instid1(VALU_DEP_1)
	v_cndmask_b32_e64 v1, v1, 0xffffff82, vcc_lo
	v_add3_u32 v5, v100, v1, v3
	v_and_b32_e32 v1, 0x1fffff, v2
                                        ; implicit-def: $vgpr2
	s_delay_alu instid0(VALU_DEP_1) | instskip(NEXT) | instid1(VALU_DEP_1)
	v_dual_add_nc_u32 v3, 14, v5 :: v_dual_add_nc_u32 v24, v1, v0
                                        ; implicit-def: $vgpr0_vgpr1
	v_cmpx_ne_u32_e32 0, v3
	s_xor_b32 s10, exec_lo, s10
; %bb.3444:                             ;   in Loop: Header=BB6_130 Depth=2
	s_delay_alu instid0(VALU_DEP_2) | instskip(SKIP_1) | instid1(VALU_DEP_1)
	v_cmp_lt_u64_e32 vcc_lo, 0xffffff, v[24:25]
	v_add_nc_u32_e32 v0, 15, v5
	v_cndmask_b32_e32 v2, v3, v0, vcc_lo
	v_cndmask_b32_e64 v0, 0, 1, vcc_lo
	s_delay_alu instid0(VALU_DEP_1)
	v_lshrrev_b64 v[0:1], v0, v[24:25]
; %bb.3445:                             ;   in Loop: Header=BB6_130 Depth=2
	s_and_not1_saveexec_b32 s10, s10
; %bb.3446:                             ;   in Loop: Header=BB6_130 Depth=2
	v_mov_b64_e32 v[0:1], v[24:25]
	v_bfe_u32 v2, v24, 23, 1
; %bb.3447:                             ;   in Loop: Header=BB6_130 Depth=2
	s_or_b32 exec_lo, exec_lo, s10
	s_delay_alu instid0(VALU_DEP_2) | instskip(NEXT) | instid1(VALU_DEP_2)
	v_lshrrev_b64 v[0:1], 21, v[0:1]
	v_cmp_gt_i32_e32 vcc_lo, 32, v2
	v_min_i32_e32 v3, 31, v2
	v_cmp_eq_u32_e64 s10, 0, v2
	s_delay_alu instid0(VALU_DEP_2) | instskip(SKIP_1) | instid1(VALU_DEP_2)
	v_dual_cndmask_b32 v1, 0, v1, vcc_lo :: v_dual_lshlrev_b32 v3, 2, v3
	v_cndmask_b32_e32 v0, 3, v0, vcc_lo
	v_and_b32_e32 v3, 0xfc, v3
	s_delay_alu instid0(VALU_DEP_2) | instskip(NEXT) | instid1(VALU_DEP_2)
	v_cmp_eq_u64_e32 vcc_lo, 0, v[0:1]
	v_and_or_b32 v0, v0, 3, v3
	s_and_b32 s10, s10, vcc_lo
	s_delay_alu instid0(VALU_DEP_1) | instid1(SALU_CYCLE_1)
	v_cndmask_b32_e64 v0, v0, 0, s10
	s_delay_alu instid0(VALU_DEP_1)
	v_or_b32_e32 v100, v0, v4
.LBB6_3448:                             ;   in Loop: Header=BB6_130 Depth=2
	s_or_b32 exec_lo, exec_lo, s42
                                        ; implicit-def: $vgpr4
.LBB6_3449:                             ;   in Loop: Header=BB6_130 Depth=2
	s_and_not1_saveexec_b32 s10, s15
; %bb.3450:                             ;   in Loop: Header=BB6_130 Depth=2
	v_or_b32_e32 v100, 0x7b, v4
; %bb.3451:                             ;   in Loop: Header=BB6_130 Depth=2
	s_or_b32 exec_lo, exec_lo, s10
                                        ; implicit-def: $vgpr1
                                        ; implicit-def: $vgpr0
.LBB6_3452:                             ;   in Loop: Header=BB6_130 Depth=2
	s_and_not1_saveexec_b32 s10, s11
	s_cbranch_execz .LBB6_3458
; %bb.3453:                             ;   in Loop: Header=BB6_130 Depth=2
	s_mov_b32 s11, exec_lo
                                        ; implicit-def: $vgpr100
	v_cmpx_ne_u64_e32 0, v[24:25]
	s_xor_b32 s11, exec_lo, s11
; %bb.3454:                             ;   in Loop: Header=BB6_130 Depth=2
	v_or_b32_e32 v100, 0x7f, v0
                                        ; implicit-def: $vgpr1
; %bb.3455:                             ;   in Loop: Header=BB6_130 Depth=2
	s_and_not1_saveexec_b32 s11, s11
; %bb.3456:                             ;   in Loop: Header=BB6_130 Depth=2
	v_cmp_lt_i32_e32 vcc_lo, -1, v1
	v_cndmask_b32_e32 v100, 0xfc, v93, vcc_lo
; %bb.3457:                             ;   in Loop: Header=BB6_130 Depth=2
	s_or_b32 exec_lo, exec_lo, s11
.LBB6_3458:                             ;   in Loop: Header=BB6_130 Depth=2
	s_delay_alu instid0(SALU_CYCLE_1) | instskip(SKIP_4) | instid1(VALU_DEP_3)
	s_or_b32 exec_lo, exec_lo, s10
	v_and_b32_e32 v2, 0xff, v15
	v_dual_mov_b32 v24, v15 :: v_dual_mov_b32 v0, v11
	v_mov_b32_e32 v1, v25
	s_mov_b32 s11, -1
	v_cmp_ne_u16_e64 s10, 0, v2
	s_and_not1_b32 vcc_lo, exec_lo, s14
                                        ; implicit-def: $vgpr4
	s_cbranch_vccnz .LBB6_3480
; %bb.3459:                             ;   in Loop: Header=BB6_130 Depth=2
	v_dual_mov_b32 v4, 0 :: v_dual_mov_b32 v3, 0
	s_and_saveexec_b32 s15, s10
	s_cbranch_execz .LBB6_3469
; %bb.3460:                             ;   in Loop: Header=BB6_130 Depth=2
	v_bfrev_b32_e32 v3, 1
	s_mov_b32 s42, exec_lo
	v_cmpx_ne_u16_e32 0x80, v2
	s_cbranch_execz .LBB6_3468
; %bb.3461:                             ;   in Loop: Header=BB6_130 Depth=2
	v_and_b32_e32 v3, 0x7c, v15
	v_and_b32_e32 v5, 3, v15
	s_delay_alu instid0(VALU_DEP_2) | instskip(SKIP_1) | instid1(SALU_CYCLE_1)
	v_cmp_ne_u32_e32 vcc_lo, 0x7c, v3
                                        ; implicit-def: $vgpr3
	s_and_saveexec_b32 s11, vcc_lo
	s_xor_b32 s11, exec_lo, s11
	s_cbranch_execz .LBB6_3465
; %bb.3462:                             ;   in Loop: Header=BB6_130 Depth=2
	v_bfe_u32 v3, v15, 2, 5
	s_mov_b32 s43, exec_lo
	s_delay_alu instid0(VALU_DEP_1)
	v_cmpx_eq_u32_e32 0, v3
; %bb.3463:                             ;   in Loop: Header=BB6_130 Depth=2
	v_clz_i32_u32_e32 v3, v5
	s_delay_alu instid0(VALU_DEP_1) | instskip(NEXT) | instid1(VALU_DEP_1)
	v_min_u32_e32 v3, 32, v3
	v_subrev_nc_u32_e32 v5, 29, v3
	s_delay_alu instid0(VALU_DEP_1) | instskip(NEXT) | instid1(VALU_DEP_1)
	v_lshlrev_b64_e32 v[102:103], v5, v[24:25]
	v_dual_sub_nc_u32 v3, 30, v3 :: v_dual_bitop2_b32 v5, 3, v102 bitop3:0x40
; %bb.3464:                             ;   in Loop: Header=BB6_130 Depth=2
	s_or_b32 exec_lo, exec_lo, s43
	v_lshlrev_b32_e32 v101, 24, v15
	s_delay_alu instid0(VALU_DEP_1) | instskip(NEXT) | instid1(VALU_DEP_1)
	v_and_b32_e32 v101, 0x80000000, v101
	v_lshl_add_u32 v3, v3, 23, v101
	s_delay_alu instid0(VALU_DEP_1) | instskip(NEXT) | instid1(VALU_DEP_1)
	v_lshl_or_b32 v3, v5, 21, v3
                                        ; implicit-def: $vgpr5
	v_add_nc_u32_e32 v3, 0x38000000, v3
.LBB6_3465:                             ;   in Loop: Header=BB6_130 Depth=2
	s_and_not1_saveexec_b32 s43, s11
; %bb.3466:                             ;   in Loop: Header=BB6_130 Depth=2
	v_bfe_i32 v3, v15, 0, 8
	v_cmp_eq_u32_e32 vcc_lo, 0, v5
	s_delay_alu instid0(VALU_DEP_2) | instskip(NEXT) | instid1(VALU_DEP_1)
	v_cmp_lt_i16_e64 s11, -1, v3
	v_cndmask_b32_e64 v3, 0xff800000, v62, s11
	s_delay_alu instid0(VALU_DEP_1)
	v_cndmask_b32_e32 v3, 0x7f800001, v3, vcc_lo
; %bb.3467:                             ;   in Loop: Header=BB6_130 Depth=2
	s_or_b32 exec_lo, exec_lo, s43
.LBB6_3468:                             ;   in Loop: Header=BB6_130 Depth=2
	s_delay_alu instid0(SALU_CYCLE_1)
	s_or_b32 exec_lo, exec_lo, s42
.LBB6_3469:                             ;   in Loop: Header=BB6_130 Depth=2
	s_delay_alu instid0(SALU_CYCLE_1) | instskip(SKIP_2) | instid1(VALU_DEP_1)
	s_or_b32 exec_lo, exec_lo, s15
	v_and_b32_e32 v5, 0xff, v11
	s_mov_b32 s15, exec_lo
	v_cmpx_ne_u16_e32 0, v5
	s_cbranch_execz .LBB6_3479
; %bb.3470:                             ;   in Loop: Header=BB6_130 Depth=2
	v_bfrev_b32_e32 v4, 1
	s_mov_b32 s42, exec_lo
	v_cmpx_ne_u16_e32 0x80, v5
	s_cbranch_execz .LBB6_3478
; %bb.3471:                             ;   in Loop: Header=BB6_130 Depth=2
	v_and_b32_e32 v4, 0x7c, v11
	v_and_b32_e32 v5, 3, v11
	s_delay_alu instid0(VALU_DEP_2) | instskip(SKIP_1) | instid1(SALU_CYCLE_1)
	v_cmp_ne_u32_e32 vcc_lo, 0x7c, v4
                                        ; implicit-def: $vgpr4
	s_and_saveexec_b32 s11, vcc_lo
	s_xor_b32 s11, exec_lo, s11
	s_cbranch_execz .LBB6_3475
; %bb.3472:                             ;   in Loop: Header=BB6_130 Depth=2
	v_bfe_u32 v4, v11, 2, 5
	s_mov_b32 s43, exec_lo
	s_delay_alu instid0(VALU_DEP_1)
	v_cmpx_eq_u32_e32 0, v4
; %bb.3473:                             ;   in Loop: Header=BB6_130 Depth=2
	v_clz_i32_u32_e32 v4, v5
	s_delay_alu instid0(VALU_DEP_1) | instskip(NEXT) | instid1(VALU_DEP_1)
	v_min_u32_e32 v4, 32, v4
	v_subrev_nc_u32_e32 v5, 29, v4
	s_delay_alu instid0(VALU_DEP_1) | instskip(NEXT) | instid1(VALU_DEP_1)
	v_lshlrev_b64_e32 v[102:103], v5, v[0:1]
	v_dual_sub_nc_u32 v4, 30, v4 :: v_dual_bitop2_b32 v5, 3, v102 bitop3:0x40
; %bb.3474:                             ;   in Loop: Header=BB6_130 Depth=2
	s_or_b32 exec_lo, exec_lo, s43
	v_lshlrev_b32_e32 v101, 24, v11
	s_delay_alu instid0(VALU_DEP_1) | instskip(NEXT) | instid1(VALU_DEP_1)
	v_and_b32_e32 v101, 0x80000000, v101
	v_lshl_add_u32 v4, v4, 23, v101
	s_delay_alu instid0(VALU_DEP_1) | instskip(NEXT) | instid1(VALU_DEP_1)
	v_lshl_or_b32 v4, v5, 21, v4
                                        ; implicit-def: $vgpr5
	v_add_nc_u32_e32 v4, 0x38000000, v4
.LBB6_3475:                             ;   in Loop: Header=BB6_130 Depth=2
	s_and_not1_saveexec_b32 s43, s11
; %bb.3476:                             ;   in Loop: Header=BB6_130 Depth=2
	v_bfe_i32 v4, v11, 0, 8
	v_cmp_eq_u32_e32 vcc_lo, 0, v5
	s_delay_alu instid0(VALU_DEP_2) | instskip(NEXT) | instid1(VALU_DEP_1)
	v_cmp_lt_i16_e64 s11, -1, v4
	v_cndmask_b32_e64 v4, 0xff800000, v62, s11
	s_delay_alu instid0(VALU_DEP_1)
	v_cndmask_b32_e32 v4, 0x7f800001, v4, vcc_lo
; %bb.3477:                             ;   in Loop: Header=BB6_130 Depth=2
	s_or_b32 exec_lo, exec_lo, s43
.LBB6_3478:                             ;   in Loop: Header=BB6_130 Depth=2
	s_delay_alu instid0(SALU_CYCLE_1)
	s_or_b32 exec_lo, exec_lo, s42
.LBB6_3479:                             ;   in Loop: Header=BB6_130 Depth=2
	s_delay_alu instid0(SALU_CYCLE_1) | instskip(NEXT) | instid1(VALU_DEP_1)
	s_or_b32 exec_lo, exec_lo, s15
	v_dual_max_num_f32 v4, v4, v4 :: v_dual_max_num_f32 v3, v3, v3
	s_mov_b32 s11, 0
	s_delay_alu instid0(VALU_DEP_1)
	v_max_num_f32_e32 v4, v3, v4
.LBB6_3480:                             ;   in Loop: Header=BB6_130 Depth=2
	s_and_b32 vcc_lo, exec_lo, s11
	s_cbranch_vccz .LBB6_3502
; %bb.3481:                             ;   in Loop: Header=BB6_130 Depth=2
	v_dual_mov_b32 v4, 0 :: v_dual_mov_b32 v3, 0
	s_and_saveexec_b32 s11, s10
	s_cbranch_execz .LBB6_3491
; %bb.3482:                             ;   in Loop: Header=BB6_130 Depth=2
	v_bfrev_b32_e32 v3, 1
	s_mov_b32 s15, exec_lo
	v_cmpx_ne_u16_e32 0x80, v2
	s_cbranch_execz .LBB6_3490
; %bb.3483:                             ;   in Loop: Header=BB6_130 Depth=2
	v_and_b32_e32 v3, 0x7c, v15
	v_and_b32_e32 v2, 3, v15
	s_delay_alu instid0(VALU_DEP_2) | instskip(SKIP_1) | instid1(SALU_CYCLE_1)
	v_cmp_ne_u32_e32 vcc_lo, 0x7c, v3
                                        ; implicit-def: $vgpr3
	s_and_saveexec_b32 s10, vcc_lo
	s_xor_b32 s10, exec_lo, s10
	s_cbranch_execz .LBB6_3487
; %bb.3484:                             ;   in Loop: Header=BB6_130 Depth=2
	v_bfe_u32 v3, v15, 2, 5
	s_mov_b32 s42, exec_lo
	s_delay_alu instid0(VALU_DEP_1)
	v_cmpx_eq_u32_e32 0, v3
; %bb.3485:                             ;   in Loop: Header=BB6_130 Depth=2
	v_clz_i32_u32_e32 v2, v2
	s_delay_alu instid0(VALU_DEP_1) | instskip(NEXT) | instid1(VALU_DEP_1)
	v_min_u32_e32 v5, 32, v2
	v_subrev_nc_u32_e32 v2, 29, v5
	s_delay_alu instid0(VALU_DEP_1) | instskip(NEXT) | instid1(VALU_DEP_1)
	v_lshlrev_b64_e32 v[2:3], v2, v[24:25]
	v_dual_sub_nc_u32 v3, 30, v5 :: v_dual_bitop2_b32 v2, 3, v2 bitop3:0x40
; %bb.3486:                             ;   in Loop: Header=BB6_130 Depth=2
	s_or_b32 exec_lo, exec_lo, s42
	v_lshlrev_b32_e32 v5, 24, v15
	s_delay_alu instid0(VALU_DEP_1) | instskip(NEXT) | instid1(VALU_DEP_1)
	v_and_b32_e32 v5, 0x80000000, v5
	v_lshl_add_u32 v3, v3, 23, v5
	s_delay_alu instid0(VALU_DEP_1) | instskip(NEXT) | instid1(VALU_DEP_1)
	v_lshl_or_b32 v2, v2, 21, v3
	v_add_nc_u32_e32 v3, 0x38000000, v2
                                        ; implicit-def: $vgpr2
.LBB6_3487:                             ;   in Loop: Header=BB6_130 Depth=2
	s_and_not1_saveexec_b32 s42, s10
; %bb.3488:                             ;   in Loop: Header=BB6_130 Depth=2
	v_bfe_i32 v3, v15, 0, 8
	v_cmp_eq_u32_e32 vcc_lo, 0, v2
	s_delay_alu instid0(VALU_DEP_2) | instskip(NEXT) | instid1(VALU_DEP_1)
	v_cmp_lt_i16_e64 s10, -1, v3
	v_cndmask_b32_e64 v2, 0xff800000, v62, s10
	s_delay_alu instid0(VALU_DEP_1)
	v_cndmask_b32_e32 v3, 0x7f800001, v2, vcc_lo
; %bb.3489:                             ;   in Loop: Header=BB6_130 Depth=2
	s_or_b32 exec_lo, exec_lo, s42
.LBB6_3490:                             ;   in Loop: Header=BB6_130 Depth=2
	s_delay_alu instid0(SALU_CYCLE_1)
	s_or_b32 exec_lo, exec_lo, s15
.LBB6_3491:                             ;   in Loop: Header=BB6_130 Depth=2
	s_delay_alu instid0(SALU_CYCLE_1) | instskip(SKIP_2) | instid1(VALU_DEP_1)
	s_or_b32 exec_lo, exec_lo, s11
	v_and_b32_e32 v2, 0xff, v11
	s_mov_b32 s11, exec_lo
	v_cmpx_ne_u16_e32 0, v2
	s_cbranch_execz .LBB6_3501
; %bb.3492:                             ;   in Loop: Header=BB6_130 Depth=2
	v_bfrev_b32_e32 v4, 1
	s_mov_b32 s15, exec_lo
	v_cmpx_ne_u16_e32 0x80, v2
	s_cbranch_execz .LBB6_3500
; %bb.3493:                             ;   in Loop: Header=BB6_130 Depth=2
	v_and_b32_e32 v4, 0x7c, v11
	v_and_b32_e32 v2, 3, v11
	s_delay_alu instid0(VALU_DEP_2) | instskip(SKIP_1) | instid1(SALU_CYCLE_1)
	v_cmp_ne_u32_e32 vcc_lo, 0x7c, v4
                                        ; implicit-def: $vgpr4
	s_and_saveexec_b32 s10, vcc_lo
	s_xor_b32 s10, exec_lo, s10
	s_cbranch_execz .LBB6_3497
; %bb.3494:                             ;   in Loop: Header=BB6_130 Depth=2
	v_bfe_u32 v4, v11, 2, 5
	s_mov_b32 s42, exec_lo
	s_delay_alu instid0(VALU_DEP_1)
	v_cmpx_eq_u32_e32 0, v4
; %bb.3495:                             ;   in Loop: Header=BB6_130 Depth=2
	v_clz_i32_u32_e32 v2, v2
	s_delay_alu instid0(VALU_DEP_1) | instskip(NEXT) | instid1(VALU_DEP_1)
	v_min_u32_e32 v2, 32, v2
	v_subrev_nc_u32_e32 v4, 29, v2
	s_delay_alu instid0(VALU_DEP_1) | instskip(SKIP_1) | instid1(VALU_DEP_2)
	v_lshlrev_b64_e32 v[102:103], v4, v[0:1]
	v_sub_nc_u32_e32 v4, 30, v2
	v_and_b32_e32 v2, 3, v102
; %bb.3496:                             ;   in Loop: Header=BB6_130 Depth=2
	s_or_b32 exec_lo, exec_lo, s42
	v_lshlrev_b32_e32 v1, 24, v11
	s_delay_alu instid0(VALU_DEP_1) | instskip(NEXT) | instid1(VALU_DEP_1)
	v_and_b32_e32 v1, 0x80000000, v1
	v_lshl_add_u32 v1, v4, 23, v1
	s_delay_alu instid0(VALU_DEP_1) | instskip(NEXT) | instid1(VALU_DEP_1)
	v_lshl_or_b32 v1, v2, 21, v1
                                        ; implicit-def: $vgpr2
	v_add_nc_u32_e32 v4, 0x38000000, v1
.LBB6_3497:                             ;   in Loop: Header=BB6_130 Depth=2
	s_and_not1_saveexec_b32 s42, s10
; %bb.3498:                             ;   in Loop: Header=BB6_130 Depth=2
	v_bfe_i32 v1, v11, 0, 8
	v_cmp_eq_u32_e32 vcc_lo, 0, v2
	s_delay_alu instid0(VALU_DEP_2) | instskip(NEXT) | instid1(VALU_DEP_1)
	v_cmp_lt_i16_e64 s10, -1, v1
	v_cndmask_b32_e64 v1, 0xff800000, v62, s10
	s_delay_alu instid0(VALU_DEP_1)
	v_cndmask_b32_e32 v4, 0x7f800001, v1, vcc_lo
; %bb.3499:                             ;   in Loop: Header=BB6_130 Depth=2
	s_or_b32 exec_lo, exec_lo, s42
.LBB6_3500:                             ;   in Loop: Header=BB6_130 Depth=2
	s_delay_alu instid0(SALU_CYCLE_1)
	s_or_b32 exec_lo, exec_lo, s15
.LBB6_3501:                             ;   in Loop: Header=BB6_130 Depth=2
	s_delay_alu instid0(SALU_CYCLE_1) | instskip(NEXT) | instid1(VALU_DEP_1)
	s_or_b32 exec_lo, exec_lo, s11
	v_dual_max_num_f32 v1, v4, v4 :: v_dual_max_num_f32 v2, v3, v3
	s_delay_alu instid0(VALU_DEP_1)
	v_min_num_f32_e32 v4, v2, v1
.LBB6_3502:                             ;   in Loop: Header=BB6_130 Depth=2
	s_delay_alu instid0(VALU_DEP_1) | instskip(SKIP_4) | instid1(VALU_DEP_3)
	v_and_b32_e32 v102, 0x7f800000, v4
	v_dual_mov_b32 v103, v25 :: v_dual_mov_b32 v3, v25
	v_and_b32_e32 v2, 0x7fffff, v4
	v_lshrrev_b32_e32 v1, 24, v4
                                        ; implicit-def: $vgpr101
	s_mov_b32 s10, exec_lo
	v_cmpx_ne_u64_e32 0x7f800000, v[102:103]
	s_xor_b32 s11, exec_lo, s10
	s_cbranch_execz .LBB6_3516
; %bb.3503:                             ;   in Loop: Header=BB6_130 Depth=2
	v_and_b32_e32 v102, 0x7fffffff, v4
	v_mov_b32_e32 v103, v25
	v_and_b32_e32 v1, 0x80, v1
                                        ; implicit-def: $vgpr101
	s_mov_b32 s10, exec_lo
	s_delay_alu instid0(VALU_DEP_2)
	v_cmpx_gt_u64_e32 0x47600001, v[102:103]
	s_xor_b32 s15, exec_lo, s10
	s_cbranch_execz .LBB6_3513
; %bb.3504:                             ;   in Loop: Header=BB6_130 Depth=2
	v_mov_b32_e32 v101, 0
	s_mov_b32 s42, exec_lo
	v_cmpx_ne_u32_e32 0, v4
	s_cbranch_execz .LBB6_3512
; %bb.3505:                             ;   in Loop: Header=BB6_130 Depth=2
	v_bfe_u32 v101, v4, 23, 8
	v_or_b32_e32 v5, 0x800000, v2
	s_delay_alu instid0(VALU_DEP_2) | instskip(SKIP_2) | instid1(VALU_DEP_2)
	v_cmp_gt_u32_e64 s10, 0x72, v101
	v_sub_nc_u32_e32 v4, 0x71, v101
	v_cmp_eq_u32_e32 vcc_lo, 0, v101
	v_dual_cndmask_b32 v4, 0, v4, s10 :: v_dual_cndmask_b32 v2, v5, v2, vcc_lo
	s_delay_alu instid0(VALU_DEP_1) | instskip(NEXT) | instid1(VALU_DEP_1)
	v_cndmask_b32_e64 v102, v4, 0x70, vcc_lo
	v_dual_add_nc_u32 v4, 21, v102 :: v_dual_add_nc_u32 v103, 20, v102
	s_delay_alu instid0(VALU_DEP_1) | instskip(NEXT) | instid1(VALU_DEP_2)
	v_lshlrev_b64_e64 v[4:5], v4, -1
	v_lshlrev_b64_e64 v[112:113], v103, 1
	s_delay_alu instid0(VALU_DEP_2) | instskip(SKIP_1) | instid1(VALU_DEP_4)
	v_bfi_b32 v4, v4, 0, v2
	v_lshrrev_b64 v[2:3], v102, v[2:3]
	v_bfi_b32 v5, v5, 0, 0
	s_delay_alu instid0(VALU_DEP_1) | instskip(NEXT) | instid1(VALU_DEP_3)
	v_cmp_eq_u64_e64 s10, v[4:5], v[112:113]
	v_mov_b64_e32 v[4:5], v[2:3]
	s_and_saveexec_b32 s43, s10
; %bb.3506:                             ;   in Loop: Header=BB6_130 Depth=2
	v_bfe_u32 v4, v2, 21, 1
	v_mov_b32_e32 v5, v25
	s_delay_alu instid0(VALU_DEP_1) | instskip(NEXT) | instid1(VALU_DEP_1)
	v_add_nc_u64_e32 v[4:5], v[2:3], v[4:5]
	v_add_nc_u64_e32 v[4:5], -1, v[4:5]
; %bb.3507:                             ;   in Loop: Header=BB6_130 Depth=2
	s_or_b32 exec_lo, exec_lo, s43
	v_add_nc_u32_e32 v3, 0xffffff81, v101
	v_lshrrev_b32_e32 v5, 23, v2
	s_mov_b32 s10, exec_lo
	s_delay_alu instid0(VALU_DEP_2) | instskip(NEXT) | instid1(VALU_DEP_1)
	v_cndmask_b32_e64 v3, v3, 0xffffff82, vcc_lo
	v_add3_u32 v101, v102, v3, v5
	v_and_b32_e32 v3, 0x1fffff, v4
                                        ; implicit-def: $vgpr4
	s_delay_alu instid0(VALU_DEP_1) | instskip(SKIP_1) | instid1(VALU_DEP_2)
	v_dual_add_nc_u32 v5, 14, v101 :: v_dual_add_nc_u32 v2, v3, v2
	v_mov_b32_e32 v3, v25
	v_cmpx_ne_u32_e32 0, v5
	s_xor_b32 s10, exec_lo, s10
; %bb.3508:                             ;   in Loop: Header=BB6_130 Depth=2
	s_delay_alu instid0(VALU_DEP_2) | instskip(SKIP_1) | instid1(VALU_DEP_1)
	v_cmp_lt_u64_e32 vcc_lo, 0xffffff, v[2:3]
	v_add_nc_u32_e32 v4, 15, v101
	v_cndmask_b32_e32 v4, v5, v4, vcc_lo
	v_cndmask_b32_e64 v5, 0, 1, vcc_lo
	s_delay_alu instid0(VALU_DEP_1)
	v_lshrrev_b64 v[2:3], v5, v[2:3]
; %bb.3509:                             ;   in Loop: Header=BB6_130 Depth=2
	s_and_not1_saveexec_b32 s10, s10
; %bb.3510:                             ;   in Loop: Header=BB6_130 Depth=2
	s_delay_alu instid0(VALU_DEP_1)
	v_bfe_u32 v4, v2, 23, 1
; %bb.3511:                             ;   in Loop: Header=BB6_130 Depth=2
	s_or_b32 exec_lo, exec_lo, s10
	s_delay_alu instid0(VALU_DEP_2) | instskip(NEXT) | instid1(VALU_DEP_2)
	v_lshrrev_b64 v[2:3], 21, v[2:3]
	v_cmp_gt_i32_e32 vcc_lo, 32, v4
	v_min_i32_e32 v5, 31, v4
	v_cmp_eq_u32_e64 s10, 0, v4
	s_delay_alu instid0(VALU_DEP_2) | instskip(SKIP_1) | instid1(VALU_DEP_2)
	v_dual_cndmask_b32 v3, 0, v3, vcc_lo :: v_dual_lshlrev_b32 v5, 2, v5
	v_cndmask_b32_e32 v2, 3, v2, vcc_lo
	v_and_b32_e32 v5, 0xfc, v5
	s_delay_alu instid0(VALU_DEP_2) | instskip(NEXT) | instid1(VALU_DEP_2)
	v_cmp_eq_u64_e32 vcc_lo, 0, v[2:3]
	v_and_or_b32 v2, v2, 3, v5
	s_and_b32 s10, s10, vcc_lo
	s_delay_alu instid0(VALU_DEP_1) | instid1(SALU_CYCLE_1)
	v_cndmask_b32_e64 v2, v2, 0, s10
	s_delay_alu instid0(VALU_DEP_1)
	v_or_b32_e32 v101, v2, v1
.LBB6_3512:                             ;   in Loop: Header=BB6_130 Depth=2
	s_or_b32 exec_lo, exec_lo, s42
                                        ; implicit-def: $vgpr1
.LBB6_3513:                             ;   in Loop: Header=BB6_130 Depth=2
	s_and_not1_saveexec_b32 s10, s15
; %bb.3514:                             ;   in Loop: Header=BB6_130 Depth=2
	v_or_b32_e32 v101, 0x7b, v1
; %bb.3515:                             ;   in Loop: Header=BB6_130 Depth=2
	s_or_b32 exec_lo, exec_lo, s10
                                        ; implicit-def: $vgpr4
                                        ; implicit-def: $vgpr2_vgpr3
                                        ; implicit-def: $vgpr1
.LBB6_3516:                             ;   in Loop: Header=BB6_130 Depth=2
	s_and_not1_saveexec_b32 s10, s11
	s_cbranch_execz .LBB6_3522
; %bb.3517:                             ;   in Loop: Header=BB6_130 Depth=2
	s_mov_b32 s11, exec_lo
                                        ; implicit-def: $vgpr101
	v_cmpx_ne_u64_e32 0, v[2:3]
	s_xor_b32 s11, exec_lo, s11
; %bb.3518:                             ;   in Loop: Header=BB6_130 Depth=2
	v_or_b32_e32 v101, 0x7f, v1
                                        ; implicit-def: $vgpr4
; %bb.3519:                             ;   in Loop: Header=BB6_130 Depth=2
	s_and_not1_saveexec_b32 s11, s11
; %bb.3520:                             ;   in Loop: Header=BB6_130 Depth=2
	v_cmp_lt_i32_e32 vcc_lo, -1, v4
	v_cndmask_b32_e32 v101, 0xfc, v93, vcc_lo
; %bb.3521:                             ;   in Loop: Header=BB6_130 Depth=2
	s_or_b32 exec_lo, exec_lo, s11
.LBB6_3522:                             ;   in Loop: Header=BB6_130 Depth=2
	s_delay_alu instid0(SALU_CYCLE_1) | instskip(SKIP_4) | instid1(VALU_DEP_2)
	s_or_b32 exec_lo, exec_lo, s10
	v_lshrrev_b16 v4, 8, v24
	v_lshrrev_b16 v2, 8, v0
	s_mov_b32 s11, -1
	s_and_not1_b32 vcc_lo, exec_lo, s14
                                        ; implicit-def: $vgpr3
	v_and_b32_e32 v1, 0xffff, v4
	v_cmp_ne_u16_e64 s10, 0, v4
	s_cbranch_vccnz .LBB6_3544
; %bb.3523:                             ;   in Loop: Header=BB6_130 Depth=2
	v_dual_mov_b32 v3, 0 :: v_dual_mov_b32 v5, 0
	s_and_saveexec_b32 s15, s10
	s_cbranch_execz .LBB6_3533
; %bb.3524:                             ;   in Loop: Header=BB6_130 Depth=2
	v_bfrev_b32_e32 v5, 1
	s_mov_b32 s42, exec_lo
	v_cmpx_ne_u16_e32 0x80, v4
	s_cbranch_execz .LBB6_3532
; %bb.3525:                             ;   in Loop: Header=BB6_130 Depth=2
	v_and_b32_e32 v5, 0x7c, v1
	v_and_b32_e32 v102, 3, v1
	s_delay_alu instid0(VALU_DEP_2) | instskip(SKIP_1) | instid1(SALU_CYCLE_1)
	v_cmp_ne_u32_e32 vcc_lo, 0x7c, v5
                                        ; implicit-def: $vgpr5
	s_and_saveexec_b32 s11, vcc_lo
	s_xor_b32 s11, exec_lo, s11
	s_cbranch_execz .LBB6_3529
; %bb.3526:                             ;   in Loop: Header=BB6_130 Depth=2
	v_bfe_u32 v5, v1, 2, 5
	s_mov_b32 s43, exec_lo
	s_delay_alu instid0(VALU_DEP_1)
	v_cmpx_eq_u32_e32 0, v5
; %bb.3527:                             ;   in Loop: Header=BB6_130 Depth=2
	v_clz_i32_u32_e32 v5, v102
	s_delay_alu instid0(VALU_DEP_1) | instskip(SKIP_1) | instid1(VALU_DEP_2)
	v_min_u32_e32 v112, 32, v5
	v_mov_b32_e32 v5, v25
	v_subrev_nc_u32_e32 v102, 29, v112
	s_delay_alu instid0(VALU_DEP_1) | instskip(NEXT) | instid1(VALU_DEP_1)
	v_lshlrev_b64_e32 v[102:103], v102, v[4:5]
	v_dual_sub_nc_u32 v5, 30, v112 :: v_dual_bitop2_b32 v102, 3, v102 bitop3:0x40
; %bb.3528:                             ;   in Loop: Header=BB6_130 Depth=2
	s_or_b32 exec_lo, exec_lo, s43
	v_lshlrev_b32_e32 v103, 16, v24
	s_delay_alu instid0(VALU_DEP_1) | instskip(NEXT) | instid1(VALU_DEP_1)
	v_and_b32_e32 v103, 0x80000000, v103
	v_lshl_add_u32 v5, v5, 23, v103
	s_delay_alu instid0(VALU_DEP_1) | instskip(NEXT) | instid1(VALU_DEP_1)
	v_lshl_or_b32 v5, v102, 21, v5
                                        ; implicit-def: $vgpr102
	v_add_nc_u32_e32 v5, 0x38000000, v5
.LBB6_3529:                             ;   in Loop: Header=BB6_130 Depth=2
	s_and_not1_saveexec_b32 s43, s11
; %bb.3530:                             ;   in Loop: Header=BB6_130 Depth=2
	v_cmp_lt_i16_e64 s11, -1, v24
	v_cmp_eq_u32_e32 vcc_lo, 0, v102
	s_delay_alu instid0(VALU_DEP_2) | instskip(NEXT) | instid1(VALU_DEP_1)
	v_cndmask_b32_e64 v5, 0xff800000, v62, s11
	v_cndmask_b32_e32 v5, 0x7f800001, v5, vcc_lo
; %bb.3531:                             ;   in Loop: Header=BB6_130 Depth=2
	s_or_b32 exec_lo, exec_lo, s43
.LBB6_3532:                             ;   in Loop: Header=BB6_130 Depth=2
	s_delay_alu instid0(SALU_CYCLE_1)
	s_or_b32 exec_lo, exec_lo, s42
.LBB6_3533:                             ;   in Loop: Header=BB6_130 Depth=2
	s_delay_alu instid0(SALU_CYCLE_1) | instskip(NEXT) | instid1(SALU_CYCLE_1)
	s_or_b32 exec_lo, exec_lo, s15
	s_mov_b32 s15, exec_lo
	v_cmpx_ne_u16_e32 0, v2
	s_cbranch_execz .LBB6_3543
; %bb.3534:                             ;   in Loop: Header=BB6_130 Depth=2
	v_bfrev_b32_e32 v3, 1
	s_mov_b32 s42, exec_lo
	v_cmpx_ne_u16_e32 0x80, v2
	s_cbranch_execz .LBB6_3542
; %bb.3535:                             ;   in Loop: Header=BB6_130 Depth=2
	v_and_b32_e32 v103, 0xffff, v2
	s_delay_alu instid0(VALU_DEP_1) | instskip(SKIP_1) | instid1(VALU_DEP_2)
	v_and_b32_e32 v3, 0x7c, v103
	v_and_b32_e32 v102, 3, v103
	v_cmp_ne_u32_e32 vcc_lo, 0x7c, v3
                                        ; implicit-def: $vgpr3
	s_and_saveexec_b32 s11, vcc_lo
	s_delay_alu instid0(SALU_CYCLE_1)
	s_xor_b32 s11, exec_lo, s11
	s_cbranch_execz .LBB6_3539
; %bb.3536:                             ;   in Loop: Header=BB6_130 Depth=2
	v_bfe_u32 v3, v103, 2, 5
	s_mov_b32 s43, exec_lo
	s_delay_alu instid0(VALU_DEP_1)
	v_cmpx_eq_u32_e32 0, v3
; %bb.3537:                             ;   in Loop: Header=BB6_130 Depth=2
	v_clz_i32_u32_e32 v3, v102
	s_delay_alu instid0(VALU_DEP_1) | instskip(SKIP_1) | instid1(VALU_DEP_2)
	v_min_u32_e32 v112, 32, v3
	v_mov_b32_e32 v3, v25
	v_subrev_nc_u32_e32 v102, 29, v112
	s_delay_alu instid0(VALU_DEP_1) | instskip(NEXT) | instid1(VALU_DEP_1)
	v_lshlrev_b64_e32 v[102:103], v102, v[2:3]
	v_dual_sub_nc_u32 v3, 30, v112 :: v_dual_bitop2_b32 v102, 3, v102 bitop3:0x40
; %bb.3538:                             ;   in Loop: Header=BB6_130 Depth=2
	s_or_b32 exec_lo, exec_lo, s43
	v_lshlrev_b32_e32 v103, 16, v0
	s_delay_alu instid0(VALU_DEP_1) | instskip(NEXT) | instid1(VALU_DEP_1)
	v_and_b32_e32 v103, 0x80000000, v103
	v_lshl_add_u32 v3, v3, 23, v103
	s_delay_alu instid0(VALU_DEP_1) | instskip(NEXT) | instid1(VALU_DEP_1)
	v_lshl_or_b32 v3, v102, 21, v3
                                        ; implicit-def: $vgpr102
	v_add_nc_u32_e32 v3, 0x38000000, v3
.LBB6_3539:                             ;   in Loop: Header=BB6_130 Depth=2
	s_and_not1_saveexec_b32 s43, s11
; %bb.3540:                             ;   in Loop: Header=BB6_130 Depth=2
	v_cmp_lt_i16_e64 s11, -1, v0
	v_cmp_eq_u32_e32 vcc_lo, 0, v102
	s_delay_alu instid0(VALU_DEP_2) | instskip(NEXT) | instid1(VALU_DEP_1)
	v_cndmask_b32_e64 v3, 0xff800000, v62, s11
	v_cndmask_b32_e32 v3, 0x7f800001, v3, vcc_lo
; %bb.3541:                             ;   in Loop: Header=BB6_130 Depth=2
	s_or_b32 exec_lo, exec_lo, s43
.LBB6_3542:                             ;   in Loop: Header=BB6_130 Depth=2
	s_delay_alu instid0(SALU_CYCLE_1)
	s_or_b32 exec_lo, exec_lo, s42
.LBB6_3543:                             ;   in Loop: Header=BB6_130 Depth=2
	s_delay_alu instid0(SALU_CYCLE_1) | instskip(NEXT) | instid1(VALU_DEP_1)
	s_or_b32 exec_lo, exec_lo, s15
	v_dual_max_num_f32 v3, v3, v3 :: v_dual_max_num_f32 v5, v5, v5
	s_mov_b32 s11, 0
	s_delay_alu instid0(VALU_DEP_1)
	v_max_num_f32_e32 v3, v5, v3
.LBB6_3544:                             ;   in Loop: Header=BB6_130 Depth=2
	s_and_b32 vcc_lo, exec_lo, s11
	s_cbranch_vccz .LBB6_3566
; %bb.3545:                             ;   in Loop: Header=BB6_130 Depth=2
	v_dual_mov_b32 v3, 0 :: v_dual_mov_b32 v5, 0
	s_and_saveexec_b32 s11, s10
	s_cbranch_execz .LBB6_3555
; %bb.3546:                             ;   in Loop: Header=BB6_130 Depth=2
	v_bfrev_b32_e32 v5, 1
	s_mov_b32 s15, exec_lo
	v_cmpx_ne_u16_e32 0x80, v4
	s_cbranch_execz .LBB6_3554
; %bb.3547:                             ;   in Loop: Header=BB6_130 Depth=2
	v_and_b32_e32 v5, 0x7c, v1
	v_and_b32_e32 v102, 3, v1
	s_delay_alu instid0(VALU_DEP_2) | instskip(SKIP_1) | instid1(SALU_CYCLE_1)
	v_cmp_ne_u32_e32 vcc_lo, 0x7c, v5
                                        ; implicit-def: $vgpr5
	s_and_saveexec_b32 s10, vcc_lo
	s_xor_b32 s10, exec_lo, s10
	s_cbranch_execz .LBB6_3551
; %bb.3548:                             ;   in Loop: Header=BB6_130 Depth=2
	v_bfe_u32 v1, v1, 2, 5
	s_mov_b32 s42, exec_lo
	s_delay_alu instid0(VALU_DEP_1)
	v_cmpx_eq_u32_e32 0, v1
	s_cbranch_execz .LBB6_3550
; %bb.3549:                             ;   in Loop: Header=BB6_130 Depth=2
	v_clz_i32_u32_e32 v1, v102
	s_delay_alu instid0(VALU_DEP_1) | instskip(SKIP_1) | instid1(VALU_DEP_2)
	v_min_u32_e32 v1, 32, v1
	v_mov_b32_e32 v5, v25
	v_subrev_nc_u32_e32 v102, 29, v1
	v_sub_nc_u32_e32 v1, 30, v1
	s_delay_alu instid0(VALU_DEP_2) | instskip(NEXT) | instid1(VALU_DEP_1)
	v_lshlrev_b64_e32 v[4:5], v102, v[4:5]
	v_and_b32_e32 v102, 3, v4
.LBB6_3550:                             ;   in Loop: Header=BB6_130 Depth=2
	s_or_b32 exec_lo, exec_lo, s42
	v_lshlrev_b32_e32 v4, 16, v24
	s_delay_alu instid0(VALU_DEP_1) | instskip(NEXT) | instid1(VALU_DEP_1)
	v_and_b32_e32 v4, 0x80000000, v4
	v_lshl_add_u32 v1, v1, 23, v4
	s_delay_alu instid0(VALU_DEP_1) | instskip(NEXT) | instid1(VALU_DEP_1)
	v_lshl_or_b32 v1, v102, 21, v1
                                        ; implicit-def: $vgpr102
	v_add_nc_u32_e32 v5, 0x38000000, v1
.LBB6_3551:                             ;   in Loop: Header=BB6_130 Depth=2
	s_and_not1_saveexec_b32 s42, s10
; %bb.3552:                             ;   in Loop: Header=BB6_130 Depth=2
	v_cmp_lt_i16_e64 s10, -1, v24
	v_cmp_eq_u32_e32 vcc_lo, 0, v102
	s_delay_alu instid0(VALU_DEP_2) | instskip(NEXT) | instid1(VALU_DEP_1)
	v_cndmask_b32_e64 v1, 0xff800000, v62, s10
	v_cndmask_b32_e32 v5, 0x7f800001, v1, vcc_lo
; %bb.3553:                             ;   in Loop: Header=BB6_130 Depth=2
	s_or_b32 exec_lo, exec_lo, s42
.LBB6_3554:                             ;   in Loop: Header=BB6_130 Depth=2
	s_delay_alu instid0(SALU_CYCLE_1)
	s_or_b32 exec_lo, exec_lo, s15
.LBB6_3555:                             ;   in Loop: Header=BB6_130 Depth=2
	s_delay_alu instid0(SALU_CYCLE_1) | instskip(NEXT) | instid1(SALU_CYCLE_1)
	s_or_b32 exec_lo, exec_lo, s11
	s_mov_b32 s11, exec_lo
	v_cmpx_ne_u16_e32 0, v2
	s_cbranch_execz .LBB6_3565
; %bb.3556:                             ;   in Loop: Header=BB6_130 Depth=2
	v_bfrev_b32_e32 v3, 1
	s_mov_b32 s15, exec_lo
	v_cmpx_ne_u16_e32 0x80, v2
	s_cbranch_execz .LBB6_3564
; %bb.3557:                             ;   in Loop: Header=BB6_130 Depth=2
	v_and_b32_e32 v1, 0xffff, v2
	s_delay_alu instid0(VALU_DEP_1) | instskip(SKIP_1) | instid1(VALU_DEP_2)
	v_and_b32_e32 v3, 0x7c, v1
	v_and_b32_e32 v4, 3, v1
	v_cmp_ne_u32_e32 vcc_lo, 0x7c, v3
                                        ; implicit-def: $vgpr3
	s_and_saveexec_b32 s10, vcc_lo
	s_delay_alu instid0(SALU_CYCLE_1)
	s_xor_b32 s10, exec_lo, s10
	s_cbranch_execz .LBB6_3561
; %bb.3558:                             ;   in Loop: Header=BB6_130 Depth=2
	v_bfe_u32 v1, v1, 2, 5
	s_mov_b32 s42, exec_lo
	s_delay_alu instid0(VALU_DEP_1)
	v_cmpx_eq_u32_e32 0, v1
	s_cbranch_execz .LBB6_3560
; %bb.3559:                             ;   in Loop: Header=BB6_130 Depth=2
	v_clz_i32_u32_e32 v1, v4
	s_delay_alu instid0(VALU_DEP_1) | instskip(SKIP_1) | instid1(VALU_DEP_2)
	v_min_u32_e32 v1, 32, v1
	v_mov_b32_e32 v3, v25
	v_subrev_nc_u32_e32 v4, 29, v1
	v_sub_nc_u32_e32 v1, 30, v1
	s_delay_alu instid0(VALU_DEP_2) | instskip(NEXT) | instid1(VALU_DEP_1)
	v_lshlrev_b64_e32 v[2:3], v4, v[2:3]
	v_and_b32_e32 v4, 3, v2
.LBB6_3560:                             ;   in Loop: Header=BB6_130 Depth=2
	s_or_b32 exec_lo, exec_lo, s42
	v_lshlrev_b32_e32 v0, 16, v0
	s_delay_alu instid0(VALU_DEP_1) | instskip(NEXT) | instid1(VALU_DEP_1)
	v_and_b32_e32 v0, 0x80000000, v0
	v_lshl_add_u32 v0, v1, 23, v0
	s_delay_alu instid0(VALU_DEP_1) | instskip(NEXT) | instid1(VALU_DEP_1)
	v_lshl_or_b32 v0, v4, 21, v0
                                        ; implicit-def: $vgpr4
	v_add_nc_u32_e32 v3, 0x38000000, v0
                                        ; implicit-def: $vgpr0_vgpr1
.LBB6_3561:                             ;   in Loop: Header=BB6_130 Depth=2
	s_and_not1_saveexec_b32 s42, s10
; %bb.3562:                             ;   in Loop: Header=BB6_130 Depth=2
	v_cmp_lt_i16_e64 s10, -1, v0
	v_cmp_eq_u32_e32 vcc_lo, 0, v4
	s_delay_alu instid0(VALU_DEP_2) | instskip(NEXT) | instid1(VALU_DEP_1)
	v_cndmask_b32_e64 v0, 0xff800000, v62, s10
	v_cndmask_b32_e32 v3, 0x7f800001, v0, vcc_lo
; %bb.3563:                             ;   in Loop: Header=BB6_130 Depth=2
	s_or_b32 exec_lo, exec_lo, s42
.LBB6_3564:                             ;   in Loop: Header=BB6_130 Depth=2
	s_delay_alu instid0(SALU_CYCLE_1)
	s_or_b32 exec_lo, exec_lo, s15
.LBB6_3565:                             ;   in Loop: Header=BB6_130 Depth=2
	s_delay_alu instid0(SALU_CYCLE_1) | instskip(NEXT) | instid1(VALU_DEP_1)
	s_or_b32 exec_lo, exec_lo, s11
	v_dual_max_num_f32 v0, v3, v3 :: v_dual_max_num_f32 v1, v5, v5
	s_delay_alu instid0(VALU_DEP_1)
	v_min_num_f32_e32 v3, v1, v0
.LBB6_3566:                             ;   in Loop: Header=BB6_130 Depth=2
	s_delay_alu instid0(VALU_DEP_1) | instskip(SKIP_2) | instid1(VALU_DEP_2)
	v_and_b32_e32 v0, 0x7f800000, v3
	v_mov_b32_e32 v1, v25
	v_and_b32_e32 v24, 0x7fffff, v3
                                        ; implicit-def: $vgpr102
	v_cmp_ne_u64_e32 vcc_lo, 0x7f800000, v[0:1]
	v_lshrrev_b32_e32 v0, 24, v3
	s_and_saveexec_b32 s10, vcc_lo
	s_delay_alu instid0(SALU_CYCLE_1)
	s_xor_b32 s11, exec_lo, s10
	s_cbranch_execz .LBB6_3580
; %bb.3567:                             ;   in Loop: Header=BB6_130 Depth=2
	v_and_b32_e32 v4, 0x7fffffff, v3
	v_mov_b32_e32 v5, v25
                                        ; implicit-def: $vgpr102
	s_delay_alu instid0(VALU_DEP_1) | instskip(SKIP_2) | instid1(SALU_CYCLE_1)
	v_cmp_gt_u64_e32 vcc_lo, 0x47600001, v[4:5]
	v_and_b32_e32 v4, 0x80, v0
	s_and_saveexec_b32 s10, vcc_lo
	s_xor_b32 s15, exec_lo, s10
	s_cbranch_execz .LBB6_3577
; %bb.3568:                             ;   in Loop: Header=BB6_130 Depth=2
	v_mov_b32_e32 v102, 0
	s_mov_b32 s42, exec_lo
	v_cmpx_ne_u32_e32 0, v3
	s_cbranch_execz .LBB6_3576
; %bb.3569:                             ;   in Loop: Header=BB6_130 Depth=2
	v_bfe_u32 v5, v3, 23, 8
	v_or_b32_e32 v1, 0x800000, v24
	s_delay_alu instid0(VALU_DEP_2) | instskip(SKIP_2) | instid1(VALU_DEP_2)
	v_cmp_gt_u32_e64 s10, 0x72, v5
	v_sub_nc_u32_e32 v0, 0x71, v5
	v_cmp_eq_u32_e32 vcc_lo, 0, v5
	v_cndmask_b32_e64 v0, 0, v0, s10
	s_delay_alu instid0(VALU_DEP_1) | instskip(NEXT) | instid1(VALU_DEP_1)
	v_cndmask_b32_e64 v102, v0, 0x70, vcc_lo
	v_dual_cndmask_b32 v24, v1, v24, vcc_lo :: v_dual_add_nc_u32 v0, 21, v102
	v_add_nc_u32_e32 v2, 20, v102
	s_delay_alu instid0(VALU_DEP_2) | instskip(NEXT) | instid1(VALU_DEP_2)
	v_lshlrev_b64_e64 v[0:1], v0, -1
	v_lshlrev_b64_e64 v[2:3], v2, 1
	s_delay_alu instid0(VALU_DEP_2) | instskip(NEXT) | instid1(VALU_DEP_3)
	v_bfi_b32 v1, v1, 0, 0
	v_bfi_b32 v0, v0, 0, v24
	s_delay_alu instid0(VALU_DEP_1) | instskip(SKIP_1) | instid1(VALU_DEP_1)
	v_cmp_eq_u64_e64 s10, v[0:1], v[2:3]
	v_lshrrev_b64 v[0:1], v102, v[24:25]
	v_mov_b64_e32 v[2:3], v[0:1]
	s_and_saveexec_b32 s43, s10
; %bb.3570:                             ;   in Loop: Header=BB6_130 Depth=2
	v_bfe_u32 v24, v0, 21, 1
	s_delay_alu instid0(VALU_DEP_1) | instskip(NEXT) | instid1(VALU_DEP_1)
	v_add_nc_u64_e32 v[2:3], v[0:1], v[24:25]
	v_add_nc_u64_e32 v[2:3], -1, v[2:3]
; %bb.3571:                             ;   in Loop: Header=BB6_130 Depth=2
	s_or_b32 exec_lo, exec_lo, s43
	v_add_nc_u32_e32 v1, 0xffffff81, v5
	v_lshrrev_b32_e32 v3, 23, v0
	s_mov_b32 s10, exec_lo
	s_delay_alu instid0(VALU_DEP_2) | instskip(NEXT) | instid1(VALU_DEP_1)
	v_cndmask_b32_e64 v1, v1, 0xffffff82, vcc_lo
	v_add3_u32 v5, v102, v1, v3
	v_and_b32_e32 v1, 0x1fffff, v2
                                        ; implicit-def: $vgpr2
	s_delay_alu instid0(VALU_DEP_1) | instskip(NEXT) | instid1(VALU_DEP_1)
	v_dual_add_nc_u32 v3, 14, v5 :: v_dual_add_nc_u32 v24, v1, v0
                                        ; implicit-def: $vgpr0_vgpr1
	v_cmpx_ne_u32_e32 0, v3
	s_xor_b32 s10, exec_lo, s10
; %bb.3572:                             ;   in Loop: Header=BB6_130 Depth=2
	s_delay_alu instid0(VALU_DEP_2) | instskip(SKIP_1) | instid1(VALU_DEP_1)
	v_cmp_lt_u64_e32 vcc_lo, 0xffffff, v[24:25]
	v_add_nc_u32_e32 v0, 15, v5
	v_cndmask_b32_e32 v2, v3, v0, vcc_lo
	v_cndmask_b32_e64 v0, 0, 1, vcc_lo
	s_delay_alu instid0(VALU_DEP_1)
	v_lshrrev_b64 v[0:1], v0, v[24:25]
; %bb.3573:                             ;   in Loop: Header=BB6_130 Depth=2
	s_and_not1_saveexec_b32 s10, s10
; %bb.3574:                             ;   in Loop: Header=BB6_130 Depth=2
	v_mov_b64_e32 v[0:1], v[24:25]
	v_bfe_u32 v2, v24, 23, 1
; %bb.3575:                             ;   in Loop: Header=BB6_130 Depth=2
	s_or_b32 exec_lo, exec_lo, s10
	s_delay_alu instid0(VALU_DEP_2) | instskip(NEXT) | instid1(VALU_DEP_2)
	v_lshrrev_b64 v[0:1], 21, v[0:1]
	v_cmp_gt_i32_e32 vcc_lo, 32, v2
	v_min_i32_e32 v3, 31, v2
	v_cmp_eq_u32_e64 s10, 0, v2
	s_delay_alu instid0(VALU_DEP_2) | instskip(SKIP_1) | instid1(VALU_DEP_2)
	v_dual_cndmask_b32 v1, 0, v1, vcc_lo :: v_dual_lshlrev_b32 v3, 2, v3
	v_cndmask_b32_e32 v0, 3, v0, vcc_lo
	v_and_b32_e32 v3, 0xfc, v3
	s_delay_alu instid0(VALU_DEP_2) | instskip(NEXT) | instid1(VALU_DEP_2)
	v_cmp_eq_u64_e32 vcc_lo, 0, v[0:1]
	v_and_or_b32 v0, v0, 3, v3
	s_and_b32 s10, s10, vcc_lo
	s_delay_alu instid0(VALU_DEP_1) | instid1(SALU_CYCLE_1)
	v_cndmask_b32_e64 v0, v0, 0, s10
	s_delay_alu instid0(VALU_DEP_1)
	v_or_b32_e32 v102, v0, v4
.LBB6_3576:                             ;   in Loop: Header=BB6_130 Depth=2
	s_or_b32 exec_lo, exec_lo, s42
                                        ; implicit-def: $vgpr4
.LBB6_3577:                             ;   in Loop: Header=BB6_130 Depth=2
	s_and_not1_saveexec_b32 s10, s15
; %bb.3578:                             ;   in Loop: Header=BB6_130 Depth=2
	v_or_b32_e32 v102, 0x7b, v4
; %bb.3579:                             ;   in Loop: Header=BB6_130 Depth=2
	s_or_b32 exec_lo, exec_lo, s10
                                        ; implicit-def: $vgpr3
                                        ; implicit-def: $vgpr0
.LBB6_3580:                             ;   in Loop: Header=BB6_130 Depth=2
	s_and_not1_saveexec_b32 s10, s11
	s_cbranch_execz .LBB6_3586
; %bb.3581:                             ;   in Loop: Header=BB6_130 Depth=2
	s_mov_b32 s11, exec_lo
                                        ; implicit-def: $vgpr102
	v_cmpx_ne_u64_e32 0, v[24:25]
	s_xor_b32 s11, exec_lo, s11
; %bb.3582:                             ;   in Loop: Header=BB6_130 Depth=2
	v_or_b32_e32 v102, 0x7f, v0
                                        ; implicit-def: $vgpr3
; %bb.3583:                             ;   in Loop: Header=BB6_130 Depth=2
	s_and_not1_saveexec_b32 s11, s11
; %bb.3584:                             ;   in Loop: Header=BB6_130 Depth=2
	v_cmp_lt_i32_e32 vcc_lo, -1, v3
	v_cndmask_b32_e32 v102, 0xfc, v93, vcc_lo
; %bb.3585:                             ;   in Loop: Header=BB6_130 Depth=2
	s_or_b32 exec_lo, exec_lo, s11
.LBB6_3586:                             ;   in Loop: Header=BB6_130 Depth=2
	s_delay_alu instid0(SALU_CYCLE_1) | instskip(SKIP_4) | instid1(VALU_DEP_2)
	s_or_b32 exec_lo, exec_lo, s10
	v_lshrrev_b32_e32 v2, 16, v15
	v_lshrrev_b32_e32 v0, 16, v11
	s_mov_b32 s11, -1
	s_and_not1_b32 vcc_lo, exec_lo, s14
                                        ; implicit-def: $vgpr3
	v_and_b32_e32 v1, 0xff, v2
	s_delay_alu instid0(VALU_DEP_1)
	v_cmp_ne_u16_e64 s10, 0, v1
	s_cbranch_vccnz .LBB6_3608
; %bb.3587:                             ;   in Loop: Header=BB6_130 Depth=2
	v_dual_mov_b32 v4, 0 :: v_dual_mov_b32 v3, 0
	s_and_saveexec_b32 s15, s10
	s_cbranch_execz .LBB6_3597
; %bb.3588:                             ;   in Loop: Header=BB6_130 Depth=2
	v_bfrev_b32_e32 v3, 1
	s_mov_b32 s42, exec_lo
	v_cmpx_ne_u16_e32 0x80, v1
	s_cbranch_execz .LBB6_3596
; %bb.3589:                             ;   in Loop: Header=BB6_130 Depth=2
	v_and_b32_e32 v3, 0x7c0000, v15
	v_bfe_u32 v5, v15, 16, 2
	s_delay_alu instid0(VALU_DEP_2) | instskip(SKIP_1) | instid1(SALU_CYCLE_1)
	v_cmp_ne_u32_e32 vcc_lo, 0x7c0000, v3
                                        ; implicit-def: $vgpr3
	s_and_saveexec_b32 s11, vcc_lo
	s_xor_b32 s11, exec_lo, s11
	s_cbranch_execz .LBB6_3593
; %bb.3590:                             ;   in Loop: Header=BB6_130 Depth=2
	v_bfe_u32 v3, v15, 18, 5
	s_mov_b32 s43, exec_lo
	s_delay_alu instid0(VALU_DEP_1)
	v_cmpx_eq_u32_e32 0, v3
; %bb.3591:                             ;   in Loop: Header=BB6_130 Depth=2
	v_clz_i32_u32_e32 v3, v5
	s_delay_alu instid0(VALU_DEP_1) | instskip(NEXT) | instid1(VALU_DEP_1)
	v_min_u32_e32 v3, 32, v3
	v_subrev_nc_u32_e32 v5, 29, v3
	s_delay_alu instid0(VALU_DEP_1) | instskip(NEXT) | instid1(VALU_DEP_1)
	v_lshlrev_b64_e32 v[112:113], v5, v[2:3]
	v_dual_sub_nc_u32 v3, 30, v3 :: v_dual_bitop2_b32 v5, 3, v112 bitop3:0x40
; %bb.3592:                             ;   in Loop: Header=BB6_130 Depth=2
	s_or_b32 exec_lo, exec_lo, s43
	v_lshlrev_b32_e32 v24, 24, v2
	s_delay_alu instid0(VALU_DEP_1) | instskip(NEXT) | instid1(VALU_DEP_1)
	v_and_b32_e32 v24, 0x80000000, v24
	v_lshl_add_u32 v3, v3, 23, v24
	s_delay_alu instid0(VALU_DEP_1) | instskip(NEXT) | instid1(VALU_DEP_1)
	v_lshl_or_b32 v3, v5, 21, v3
                                        ; implicit-def: $vgpr5
	v_add_nc_u32_e32 v3, 0x38000000, v3
.LBB6_3593:                             ;   in Loop: Header=BB6_130 Depth=2
	s_and_not1_saveexec_b32 s43, s11
; %bb.3594:                             ;   in Loop: Header=BB6_130 Depth=2
	v_bfe_i32 v3, v2, 0, 8
	v_cmp_eq_u32_e32 vcc_lo, 0, v5
	s_delay_alu instid0(VALU_DEP_2) | instskip(NEXT) | instid1(VALU_DEP_1)
	v_cmp_lt_i16_e64 s11, -1, v3
	v_cndmask_b32_e64 v3, 0xff800000, v62, s11
	s_delay_alu instid0(VALU_DEP_1)
	v_cndmask_b32_e32 v3, 0x7f800001, v3, vcc_lo
; %bb.3595:                             ;   in Loop: Header=BB6_130 Depth=2
	s_or_b32 exec_lo, exec_lo, s43
.LBB6_3596:                             ;   in Loop: Header=BB6_130 Depth=2
	s_delay_alu instid0(SALU_CYCLE_1)
	s_or_b32 exec_lo, exec_lo, s42
.LBB6_3597:                             ;   in Loop: Header=BB6_130 Depth=2
	s_delay_alu instid0(SALU_CYCLE_1) | instskip(SKIP_2) | instid1(VALU_DEP_1)
	s_or_b32 exec_lo, exec_lo, s15
	v_and_b32_e32 v5, 0xff, v0
	s_mov_b32 s15, exec_lo
	v_cmpx_ne_u16_e32 0, v5
	s_cbranch_execz .LBB6_3607
; %bb.3598:                             ;   in Loop: Header=BB6_130 Depth=2
	v_bfrev_b32_e32 v4, 1
	s_mov_b32 s42, exec_lo
	v_cmpx_ne_u16_e32 0x80, v5
	s_cbranch_execz .LBB6_3606
; %bb.3599:                             ;   in Loop: Header=BB6_130 Depth=2
	v_and_b32_e32 v4, 0x7c0000, v11
	v_bfe_u32 v5, v11, 16, 2
	s_delay_alu instid0(VALU_DEP_2) | instskip(SKIP_1) | instid1(SALU_CYCLE_1)
	v_cmp_ne_u32_e32 vcc_lo, 0x7c0000, v4
                                        ; implicit-def: $vgpr4
	s_and_saveexec_b32 s11, vcc_lo
	s_xor_b32 s11, exec_lo, s11
	s_cbranch_execz .LBB6_3603
; %bb.3600:                             ;   in Loop: Header=BB6_130 Depth=2
	v_bfe_u32 v4, v11, 18, 5
	s_mov_b32 s43, exec_lo
	s_delay_alu instid0(VALU_DEP_1)
	v_cmpx_eq_u32_e32 0, v4
; %bb.3601:                             ;   in Loop: Header=BB6_130 Depth=2
	v_clz_i32_u32_e32 v4, v5
	s_delay_alu instid0(VALU_DEP_1) | instskip(NEXT) | instid1(VALU_DEP_1)
	v_min_u32_e32 v4, 32, v4
	v_subrev_nc_u32_e32 v5, 29, v4
	v_sub_nc_u32_e32 v4, 30, v4
	s_delay_alu instid0(VALU_DEP_2) | instskip(NEXT) | instid1(VALU_DEP_1)
	v_lshlrev_b64_e32 v[112:113], v5, v[0:1]
	v_and_b32_e32 v5, 3, v112
; %bb.3602:                             ;   in Loop: Header=BB6_130 Depth=2
	s_or_b32 exec_lo, exec_lo, s43
	v_lshlrev_b32_e32 v24, 24, v0
	s_delay_alu instid0(VALU_DEP_1) | instskip(NEXT) | instid1(VALU_DEP_1)
	v_and_b32_e32 v24, 0x80000000, v24
	v_lshl_add_u32 v4, v4, 23, v24
	s_delay_alu instid0(VALU_DEP_1) | instskip(NEXT) | instid1(VALU_DEP_1)
	v_lshl_or_b32 v4, v5, 21, v4
                                        ; implicit-def: $vgpr5
	v_add_nc_u32_e32 v4, 0x38000000, v4
.LBB6_3603:                             ;   in Loop: Header=BB6_130 Depth=2
	s_and_not1_saveexec_b32 s43, s11
; %bb.3604:                             ;   in Loop: Header=BB6_130 Depth=2
	v_bfe_i32 v4, v0, 0, 8
	v_cmp_eq_u32_e32 vcc_lo, 0, v5
	s_delay_alu instid0(VALU_DEP_2) | instskip(NEXT) | instid1(VALU_DEP_1)
	v_cmp_lt_i16_e64 s11, -1, v4
	v_cndmask_b32_e64 v4, 0xff800000, v62, s11
	s_delay_alu instid0(VALU_DEP_1)
	v_cndmask_b32_e32 v4, 0x7f800001, v4, vcc_lo
; %bb.3605:                             ;   in Loop: Header=BB6_130 Depth=2
	s_or_b32 exec_lo, exec_lo, s43
.LBB6_3606:                             ;   in Loop: Header=BB6_130 Depth=2
	s_delay_alu instid0(SALU_CYCLE_1)
	s_or_b32 exec_lo, exec_lo, s42
.LBB6_3607:                             ;   in Loop: Header=BB6_130 Depth=2
	s_delay_alu instid0(SALU_CYCLE_1) | instskip(NEXT) | instid1(VALU_DEP_1)
	s_or_b32 exec_lo, exec_lo, s15
	v_dual_max_num_f32 v4, v4, v4 :: v_dual_max_num_f32 v3, v3, v3
	s_mov_b32 s11, 0
	s_delay_alu instid0(VALU_DEP_1)
	v_max_num_f32_e32 v3, v3, v4
.LBB6_3608:                             ;   in Loop: Header=BB6_130 Depth=2
	s_and_b32 vcc_lo, exec_lo, s11
	s_cbranch_vccz .LBB6_3630
; %bb.3609:                             ;   in Loop: Header=BB6_130 Depth=2
	v_dual_mov_b32 v4, 0 :: v_dual_mov_b32 v3, 0
	s_and_saveexec_b32 s11, s10
	s_cbranch_execz .LBB6_3619
; %bb.3610:                             ;   in Loop: Header=BB6_130 Depth=2
	v_bfrev_b32_e32 v3, 1
	s_mov_b32 s15, exec_lo
	v_cmpx_ne_u16_e32 0x80, v1
	s_cbranch_execz .LBB6_3618
; %bb.3611:                             ;   in Loop: Header=BB6_130 Depth=2
	v_and_b32_e32 v3, 0x7c0000, v15
	v_bfe_u32 v1, v15, 16, 2
	s_delay_alu instid0(VALU_DEP_2) | instskip(SKIP_1) | instid1(SALU_CYCLE_1)
	v_cmp_ne_u32_e32 vcc_lo, 0x7c0000, v3
                                        ; implicit-def: $vgpr3
	s_and_saveexec_b32 s10, vcc_lo
	s_xor_b32 s10, exec_lo, s10
	s_cbranch_execz .LBB6_3615
; %bb.3612:                             ;   in Loop: Header=BB6_130 Depth=2
	v_bfe_u32 v3, v15, 18, 5
	s_mov_b32 s42, exec_lo
	s_delay_alu instid0(VALU_DEP_1)
	v_cmpx_eq_u32_e32 0, v3
; %bb.3613:                             ;   in Loop: Header=BB6_130 Depth=2
	v_clz_i32_u32_e32 v1, v1
	s_delay_alu instid0(VALU_DEP_1) | instskip(NEXT) | instid1(VALU_DEP_1)
	v_min_u32_e32 v1, 32, v1
	v_subrev_nc_u32_e32 v3, 29, v1
	s_delay_alu instid0(VALU_DEP_1) | instskip(NEXT) | instid1(VALU_DEP_1)
	v_lshlrev_b64_e32 v[112:113], v3, v[2:3]
	v_dual_sub_nc_u32 v3, 30, v1 :: v_dual_bitop2_b32 v1, 3, v112 bitop3:0x40
; %bb.3614:                             ;   in Loop: Header=BB6_130 Depth=2
	s_or_b32 exec_lo, exec_lo, s42
	v_lshlrev_b32_e32 v2, 24, v2
	s_delay_alu instid0(VALU_DEP_1) | instskip(NEXT) | instid1(VALU_DEP_1)
	v_and_b32_e32 v2, 0x80000000, v2
	v_lshl_add_u32 v2, v3, 23, v2
	s_delay_alu instid0(VALU_DEP_1) | instskip(NEXT) | instid1(VALU_DEP_1)
	v_lshl_or_b32 v1, v1, 21, v2
                                        ; implicit-def: $vgpr2
	v_add_nc_u32_e32 v3, 0x38000000, v1
                                        ; implicit-def: $vgpr1
.LBB6_3615:                             ;   in Loop: Header=BB6_130 Depth=2
	s_and_not1_saveexec_b32 s42, s10
; %bb.3616:                             ;   in Loop: Header=BB6_130 Depth=2
	v_bfe_i32 v2, v2, 0, 8
	v_cmp_eq_u32_e32 vcc_lo, 0, v1
	s_delay_alu instid0(VALU_DEP_2) | instskip(NEXT) | instid1(VALU_DEP_1)
	v_cmp_lt_i16_e64 s10, -1, v2
	v_cndmask_b32_e64 v1, 0xff800000, v62, s10
	s_delay_alu instid0(VALU_DEP_1)
	v_cndmask_b32_e32 v3, 0x7f800001, v1, vcc_lo
; %bb.3617:                             ;   in Loop: Header=BB6_130 Depth=2
	s_or_b32 exec_lo, exec_lo, s42
.LBB6_3618:                             ;   in Loop: Header=BB6_130 Depth=2
	s_delay_alu instid0(SALU_CYCLE_1)
	s_or_b32 exec_lo, exec_lo, s15
.LBB6_3619:                             ;   in Loop: Header=BB6_130 Depth=2
	s_delay_alu instid0(SALU_CYCLE_1) | instskip(SKIP_2) | instid1(VALU_DEP_1)
	s_or_b32 exec_lo, exec_lo, s11
	v_and_b32_e32 v1, 0xff, v0
	s_mov_b32 s11, exec_lo
	v_cmpx_ne_u16_e32 0, v1
	s_cbranch_execz .LBB6_3629
; %bb.3620:                             ;   in Loop: Header=BB6_130 Depth=2
	v_bfrev_b32_e32 v4, 1
	s_mov_b32 s15, exec_lo
	v_cmpx_ne_u16_e32 0x80, v1
	s_cbranch_execz .LBB6_3628
; %bb.3621:                             ;   in Loop: Header=BB6_130 Depth=2
	v_and_b32_e32 v2, 0x7c0000, v11
	v_bfe_u32 v1, v11, 16, 2
	s_mov_b32 s10, exec_lo
                                        ; implicit-def: $vgpr4
	s_delay_alu instid0(VALU_DEP_2)
	v_cmpx_ne_u32_e32 0x7c0000, v2
	s_xor_b32 s10, exec_lo, s10
	s_cbranch_execz .LBB6_3625
; %bb.3622:                             ;   in Loop: Header=BB6_130 Depth=2
	v_bfe_u32 v2, v11, 18, 5
	s_mov_b32 s42, exec_lo
	s_delay_alu instid0(VALU_DEP_1)
	v_cmpx_eq_u32_e32 0, v2
; %bb.3623:                             ;   in Loop: Header=BB6_130 Depth=2
	v_clz_i32_u32_e32 v1, v1
	s_delay_alu instid0(VALU_DEP_1) | instskip(NEXT) | instid1(VALU_DEP_1)
	v_min_u32_e32 v1, 32, v1
	v_subrev_nc_u32_e32 v2, 29, v1
	s_delay_alu instid0(VALU_DEP_1) | instskip(NEXT) | instid1(VALU_DEP_1)
	v_lshlrev_b64_e32 v[4:5], v2, v[0:1]
	v_dual_sub_nc_u32 v2, 30, v1 :: v_dual_bitop2_b32 v1, 3, v4 bitop3:0x40
; %bb.3624:                             ;   in Loop: Header=BB6_130 Depth=2
	s_or_b32 exec_lo, exec_lo, s42
	v_lshlrev_b32_e32 v0, 24, v0
	s_delay_alu instid0(VALU_DEP_1) | instskip(NEXT) | instid1(VALU_DEP_1)
	v_and_b32_e32 v0, 0x80000000, v0
	v_lshl_add_u32 v0, v2, 23, v0
	s_delay_alu instid0(VALU_DEP_1) | instskip(NEXT) | instid1(VALU_DEP_1)
	v_lshl_or_b32 v0, v1, 21, v0
                                        ; implicit-def: $vgpr1
	v_add_nc_u32_e32 v4, 0x38000000, v0
                                        ; implicit-def: $vgpr0
.LBB6_3625:                             ;   in Loop: Header=BB6_130 Depth=2
	s_and_not1_saveexec_b32 s42, s10
; %bb.3626:                             ;   in Loop: Header=BB6_130 Depth=2
	v_bfe_i32 v0, v0, 0, 8
	v_cmp_eq_u32_e32 vcc_lo, 0, v1
	s_delay_alu instid0(VALU_DEP_2) | instskip(NEXT) | instid1(VALU_DEP_1)
	v_cmp_lt_i16_e64 s10, -1, v0
	v_cndmask_b32_e64 v0, 0xff800000, v62, s10
	s_delay_alu instid0(VALU_DEP_1)
	v_cndmask_b32_e32 v4, 0x7f800001, v0, vcc_lo
; %bb.3627:                             ;   in Loop: Header=BB6_130 Depth=2
	s_or_b32 exec_lo, exec_lo, s42
.LBB6_3628:                             ;   in Loop: Header=BB6_130 Depth=2
	s_delay_alu instid0(SALU_CYCLE_1)
	s_or_b32 exec_lo, exec_lo, s15
.LBB6_3629:                             ;   in Loop: Header=BB6_130 Depth=2
	s_delay_alu instid0(SALU_CYCLE_1) | instskip(NEXT) | instid1(VALU_DEP_1)
	s_or_b32 exec_lo, exec_lo, s11
	v_dual_max_num_f32 v0, v4, v4 :: v_dual_max_num_f32 v1, v3, v3
	s_delay_alu instid0(VALU_DEP_1)
	v_min_num_f32_e32 v3, v1, v0
.LBB6_3630:                             ;   in Loop: Header=BB6_130 Depth=2
	s_delay_alu instid0(VALU_DEP_1) | instskip(SKIP_2) | instid1(VALU_DEP_2)
	v_and_b32_e32 v0, 0x7f800000, v3
	v_mov_b32_e32 v1, v25
	v_and_b32_e32 v24, 0x7fffff, v3
                                        ; implicit-def: $vgpr103
	v_cmp_ne_u64_e32 vcc_lo, 0x7f800000, v[0:1]
	v_lshrrev_b32_e32 v0, 24, v3
	s_and_saveexec_b32 s10, vcc_lo
	s_delay_alu instid0(SALU_CYCLE_1)
	s_xor_b32 s11, exec_lo, s10
	s_cbranch_execz .LBB6_3644
; %bb.3631:                             ;   in Loop: Header=BB6_130 Depth=2
	v_and_b32_e32 v4, 0x7fffffff, v3
	v_mov_b32_e32 v5, v25
                                        ; implicit-def: $vgpr103
	s_delay_alu instid0(VALU_DEP_1) | instskip(SKIP_2) | instid1(SALU_CYCLE_1)
	v_cmp_gt_u64_e32 vcc_lo, 0x47600001, v[4:5]
	v_and_b32_e32 v4, 0x80, v0
	s_and_saveexec_b32 s10, vcc_lo
	s_xor_b32 s15, exec_lo, s10
	s_cbranch_execz .LBB6_3641
; %bb.3632:                             ;   in Loop: Header=BB6_130 Depth=2
	v_mov_b32_e32 v103, 0
	s_mov_b32 s42, exec_lo
	v_cmpx_ne_u32_e32 0, v3
	s_cbranch_execz .LBB6_3640
; %bb.3633:                             ;   in Loop: Header=BB6_130 Depth=2
	v_bfe_u32 v5, v3, 23, 8
	v_or_b32_e32 v1, 0x800000, v24
	s_delay_alu instid0(VALU_DEP_2) | instskip(SKIP_2) | instid1(VALU_DEP_2)
	v_cmp_gt_u32_e64 s10, 0x72, v5
	v_sub_nc_u32_e32 v0, 0x71, v5
	v_cmp_eq_u32_e32 vcc_lo, 0, v5
	v_cndmask_b32_e64 v0, 0, v0, s10
	s_delay_alu instid0(VALU_DEP_1) | instskip(NEXT) | instid1(VALU_DEP_1)
	v_cndmask_b32_e64 v103, v0, 0x70, vcc_lo
	v_dual_cndmask_b32 v24, v1, v24, vcc_lo :: v_dual_add_nc_u32 v0, 21, v103
	v_add_nc_u32_e32 v2, 20, v103
	s_delay_alu instid0(VALU_DEP_2) | instskip(NEXT) | instid1(VALU_DEP_2)
	v_lshlrev_b64_e64 v[0:1], v0, -1
	v_lshlrev_b64_e64 v[2:3], v2, 1
	s_delay_alu instid0(VALU_DEP_2) | instskip(NEXT) | instid1(VALU_DEP_3)
	v_bfi_b32 v1, v1, 0, 0
	v_bfi_b32 v0, v0, 0, v24
	s_delay_alu instid0(VALU_DEP_1) | instskip(SKIP_1) | instid1(VALU_DEP_1)
	v_cmp_eq_u64_e64 s10, v[0:1], v[2:3]
	v_lshrrev_b64 v[0:1], v103, v[24:25]
	v_mov_b64_e32 v[2:3], v[0:1]
	s_and_saveexec_b32 s43, s10
; %bb.3634:                             ;   in Loop: Header=BB6_130 Depth=2
	v_bfe_u32 v24, v0, 21, 1
	s_delay_alu instid0(VALU_DEP_1) | instskip(NEXT) | instid1(VALU_DEP_1)
	v_add_nc_u64_e32 v[2:3], v[0:1], v[24:25]
	v_add_nc_u64_e32 v[2:3], -1, v[2:3]
; %bb.3635:                             ;   in Loop: Header=BB6_130 Depth=2
	s_or_b32 exec_lo, exec_lo, s43
	v_add_nc_u32_e32 v1, 0xffffff81, v5
	v_lshrrev_b32_e32 v3, 23, v0
	s_mov_b32 s10, exec_lo
	s_delay_alu instid0(VALU_DEP_2) | instskip(NEXT) | instid1(VALU_DEP_1)
	v_cndmask_b32_e64 v1, v1, 0xffffff82, vcc_lo
	v_add3_u32 v5, v103, v1, v3
	v_and_b32_e32 v1, 0x1fffff, v2
                                        ; implicit-def: $vgpr2
	s_delay_alu instid0(VALU_DEP_1) | instskip(NEXT) | instid1(VALU_DEP_1)
	v_dual_add_nc_u32 v3, 14, v5 :: v_dual_add_nc_u32 v24, v1, v0
                                        ; implicit-def: $vgpr0_vgpr1
	v_cmpx_ne_u32_e32 0, v3
	s_xor_b32 s10, exec_lo, s10
; %bb.3636:                             ;   in Loop: Header=BB6_130 Depth=2
	s_delay_alu instid0(VALU_DEP_2) | instskip(SKIP_1) | instid1(VALU_DEP_1)
	v_cmp_lt_u64_e32 vcc_lo, 0xffffff, v[24:25]
	v_add_nc_u32_e32 v0, 15, v5
	v_cndmask_b32_e32 v2, v3, v0, vcc_lo
	v_cndmask_b32_e64 v0, 0, 1, vcc_lo
	s_delay_alu instid0(VALU_DEP_1)
	v_lshrrev_b64 v[0:1], v0, v[24:25]
; %bb.3637:                             ;   in Loop: Header=BB6_130 Depth=2
	s_and_not1_saveexec_b32 s10, s10
; %bb.3638:                             ;   in Loop: Header=BB6_130 Depth=2
	v_mov_b64_e32 v[0:1], v[24:25]
	v_bfe_u32 v2, v24, 23, 1
; %bb.3639:                             ;   in Loop: Header=BB6_130 Depth=2
	s_or_b32 exec_lo, exec_lo, s10
	s_delay_alu instid0(VALU_DEP_2) | instskip(NEXT) | instid1(VALU_DEP_2)
	v_lshrrev_b64 v[0:1], 21, v[0:1]
	v_cmp_gt_i32_e32 vcc_lo, 32, v2
	v_min_i32_e32 v3, 31, v2
	v_cmp_eq_u32_e64 s10, 0, v2
	s_delay_alu instid0(VALU_DEP_2) | instskip(SKIP_1) | instid1(VALU_DEP_2)
	v_dual_cndmask_b32 v1, 0, v1, vcc_lo :: v_dual_lshlrev_b32 v3, 2, v3
	v_cndmask_b32_e32 v0, 3, v0, vcc_lo
	v_and_b32_e32 v3, 0xfc, v3
	s_delay_alu instid0(VALU_DEP_2) | instskip(NEXT) | instid1(VALU_DEP_2)
	v_cmp_eq_u64_e32 vcc_lo, 0, v[0:1]
	v_and_or_b32 v0, v0, 3, v3
	s_and_b32 s10, s10, vcc_lo
	s_delay_alu instid0(VALU_DEP_1) | instid1(SALU_CYCLE_1)
	v_cndmask_b32_e64 v0, v0, 0, s10
	s_delay_alu instid0(VALU_DEP_1)
	v_or_b32_e32 v103, v0, v4
.LBB6_3640:                             ;   in Loop: Header=BB6_130 Depth=2
	s_or_b32 exec_lo, exec_lo, s42
                                        ; implicit-def: $vgpr4
.LBB6_3641:                             ;   in Loop: Header=BB6_130 Depth=2
	s_and_not1_saveexec_b32 s10, s15
; %bb.3642:                             ;   in Loop: Header=BB6_130 Depth=2
	v_or_b32_e32 v103, 0x7b, v4
; %bb.3643:                             ;   in Loop: Header=BB6_130 Depth=2
	s_or_b32 exec_lo, exec_lo, s10
                                        ; implicit-def: $vgpr3
                                        ; implicit-def: $vgpr0
.LBB6_3644:                             ;   in Loop: Header=BB6_130 Depth=2
	s_and_not1_saveexec_b32 s10, s11
	s_cbranch_execz .LBB6_3650
; %bb.3645:                             ;   in Loop: Header=BB6_130 Depth=2
	s_mov_b32 s11, exec_lo
                                        ; implicit-def: $vgpr103
	v_cmpx_ne_u64_e32 0, v[24:25]
	s_xor_b32 s11, exec_lo, s11
; %bb.3646:                             ;   in Loop: Header=BB6_130 Depth=2
	v_or_b32_e32 v103, 0x7f, v0
                                        ; implicit-def: $vgpr3
; %bb.3647:                             ;   in Loop: Header=BB6_130 Depth=2
	s_and_not1_saveexec_b32 s11, s11
; %bb.3648:                             ;   in Loop: Header=BB6_130 Depth=2
	v_cmp_lt_i32_e32 vcc_lo, -1, v3
	v_cndmask_b32_e32 v103, 0xfc, v93, vcc_lo
; %bb.3649:                             ;   in Loop: Header=BB6_130 Depth=2
	s_or_b32 exec_lo, exec_lo, s11
.LBB6_3650:                             ;   in Loop: Header=BB6_130 Depth=2
	s_delay_alu instid0(SALU_CYCLE_1)
	s_or_b32 exec_lo, exec_lo, s10
	v_cmp_lt_u64_e64 s10, s[16:17], v[14:15]
	v_lshrrev_b32_e32 v2, 24, v15
	v_lshrrev_b32_e32 v0, 24, v11
	s_mov_b32 s11, -1
	s_and_not1_b32 vcc_lo, exec_lo, s14
                                        ; implicit-def: $vgpr1
	s_cbranch_vccnz .LBB6_3672
; %bb.3651:                             ;   in Loop: Header=BB6_130 Depth=2
	v_dual_mov_b32 v3, 0 :: v_dual_mov_b32 v1, 0
	s_and_saveexec_b32 s15, s10
	s_cbranch_execz .LBB6_3661
; %bb.3652:                             ;   in Loop: Header=BB6_130 Depth=2
	v_bfrev_b32_e32 v1, 1
	s_mov_b32 s42, exec_lo
	v_cmpx_ne_u32_e32 0x80, v2
	s_cbranch_execz .LBB6_3660
; %bb.3653:                             ;   in Loop: Header=BB6_130 Depth=2
	v_and_b32_e32 v1, 0x7c000000, v15
	v_bfe_u32 v4, v15, 24, 2
	s_delay_alu instid0(VALU_DEP_2) | instskip(SKIP_1) | instid1(SALU_CYCLE_1)
	v_cmp_ne_u32_e32 vcc_lo, 0x7c000000, v1
                                        ; implicit-def: $vgpr1
	s_and_saveexec_b32 s11, vcc_lo
	s_xor_b32 s11, exec_lo, s11
	s_cbranch_execz .LBB6_3657
; %bb.3654:                             ;   in Loop: Header=BB6_130 Depth=2
	v_bfe_u32 v1, v15, 26, 5
	s_mov_b32 s43, exec_lo
	s_delay_alu instid0(VALU_DEP_1)
	v_cmpx_eq_u32_e32 0, v1
; %bb.3655:                             ;   in Loop: Header=BB6_130 Depth=2
	v_clz_i32_u32_e32 v1, v4
	s_delay_alu instid0(VALU_DEP_1) | instskip(NEXT) | instid1(VALU_DEP_1)
	v_min_u32_e32 v1, 32, v1
	v_subrev_nc_u32_e32 v4, 29, v1
	s_delay_alu instid0(VALU_DEP_1) | instskip(NEXT) | instid1(VALU_DEP_1)
	v_lshlrev_b64_e32 v[4:5], v4, v[2:3]
	v_dual_sub_nc_u32 v1, 30, v1 :: v_dual_bitop2_b32 v4, 3, v4 bitop3:0x40
; %bb.3656:                             ;   in Loop: Header=BB6_130 Depth=2
	s_or_b32 exec_lo, exec_lo, s43
	v_and_b32_e32 v5, 0x80000000, v15
	s_delay_alu instid0(VALU_DEP_1) | instskip(NEXT) | instid1(VALU_DEP_1)
	v_lshl_add_u32 v1, v1, 23, v5
	v_lshl_or_b32 v1, v4, 21, v1
                                        ; implicit-def: $vgpr4
	s_delay_alu instid0(VALU_DEP_1)
	v_add_nc_u32_e32 v1, 0x38000000, v1
.LBB6_3657:                             ;   in Loop: Header=BB6_130 Depth=2
	s_and_not1_saveexec_b32 s43, s11
; %bb.3658:                             ;   in Loop: Header=BB6_130 Depth=2
	v_cmp_lt_i64_e64 s11, -1, v[14:15]
	v_cmp_eq_u32_e32 vcc_lo, 0, v4
	s_delay_alu instid0(VALU_DEP_2) | instskip(NEXT) | instid1(VALU_DEP_1)
	v_cndmask_b32_e64 v1, 0xff800000, v62, s11
	v_cndmask_b32_e32 v1, 0x7f800001, v1, vcc_lo
; %bb.3659:                             ;   in Loop: Header=BB6_130 Depth=2
	s_or_b32 exec_lo, exec_lo, s43
.LBB6_3660:                             ;   in Loop: Header=BB6_130 Depth=2
	s_delay_alu instid0(SALU_CYCLE_1)
	s_or_b32 exec_lo, exec_lo, s42
.LBB6_3661:                             ;   in Loop: Header=BB6_130 Depth=2
	s_delay_alu instid0(SALU_CYCLE_1) | instskip(NEXT) | instid1(SALU_CYCLE_1)
	s_or_b32 exec_lo, exec_lo, s15
	s_mov_b32 s15, exec_lo
	v_cmpx_lt_u64_e64 s[16:17], v[10:11]
	s_cbranch_execz .LBB6_3671
; %bb.3662:                             ;   in Loop: Header=BB6_130 Depth=2
	v_bfrev_b32_e32 v3, 1
	s_mov_b32 s42, exec_lo
	v_cmpx_ne_u32_e32 0x80, v0
	s_cbranch_execz .LBB6_3670
; %bb.3663:                             ;   in Loop: Header=BB6_130 Depth=2
	v_and_b32_e32 v3, 0x7c000000, v11
	v_bfe_u32 v4, v11, 24, 2
	s_delay_alu instid0(VALU_DEP_2) | instskip(SKIP_1) | instid1(SALU_CYCLE_1)
	v_cmp_ne_u32_e32 vcc_lo, 0x7c000000, v3
                                        ; implicit-def: $vgpr3
	s_and_saveexec_b32 s11, vcc_lo
	s_xor_b32 s11, exec_lo, s11
	s_cbranch_execz .LBB6_3667
; %bb.3664:                             ;   in Loop: Header=BB6_130 Depth=2
	v_bfe_u32 v3, v11, 26, 5
	s_mov_b32 s43, exec_lo
	s_delay_alu instid0(VALU_DEP_1)
	v_cmpx_eq_u32_e32 0, v3
; %bb.3665:                             ;   in Loop: Header=BB6_130 Depth=2
	v_clz_i32_u32_e32 v3, v4
	s_delay_alu instid0(VALU_DEP_1) | instskip(NEXT) | instid1(VALU_DEP_1)
	v_min_u32_e32 v3, 32, v3
	v_subrev_nc_u32_e32 v4, 29, v3
	s_delay_alu instid0(VALU_DEP_1) | instskip(NEXT) | instid1(VALU_DEP_1)
	v_lshlrev_b64_e32 v[4:5], v4, v[0:1]
	v_dual_sub_nc_u32 v3, 30, v3 :: v_dual_bitop2_b32 v4, 3, v4 bitop3:0x40
; %bb.3666:                             ;   in Loop: Header=BB6_130 Depth=2
	s_or_b32 exec_lo, exec_lo, s43
	v_and_b32_e32 v5, 0x80000000, v11
	s_delay_alu instid0(VALU_DEP_1) | instskip(NEXT) | instid1(VALU_DEP_1)
	v_lshl_add_u32 v3, v3, 23, v5
	v_lshl_or_b32 v3, v4, 21, v3
                                        ; implicit-def: $vgpr4
	s_delay_alu instid0(VALU_DEP_1)
	v_add_nc_u32_e32 v3, 0x38000000, v3
.LBB6_3667:                             ;   in Loop: Header=BB6_130 Depth=2
	s_and_not1_saveexec_b32 s43, s11
; %bb.3668:                             ;   in Loop: Header=BB6_130 Depth=2
	v_cmp_lt_i64_e64 s11, -1, v[10:11]
	v_cmp_eq_u32_e32 vcc_lo, 0, v4
	s_delay_alu instid0(VALU_DEP_2) | instskip(NEXT) | instid1(VALU_DEP_1)
	v_cndmask_b32_e64 v3, 0xff800000, v62, s11
	v_cndmask_b32_e32 v3, 0x7f800001, v3, vcc_lo
; %bb.3669:                             ;   in Loop: Header=BB6_130 Depth=2
	s_or_b32 exec_lo, exec_lo, s43
.LBB6_3670:                             ;   in Loop: Header=BB6_130 Depth=2
	s_delay_alu instid0(SALU_CYCLE_1)
	s_or_b32 exec_lo, exec_lo, s42
.LBB6_3671:                             ;   in Loop: Header=BB6_130 Depth=2
	s_delay_alu instid0(SALU_CYCLE_1) | instskip(NEXT) | instid1(VALU_DEP_1)
	s_or_b32 exec_lo, exec_lo, s15
	v_dual_max_num_f32 v3, v3, v3 :: v_dual_max_num_f32 v1, v1, v1
	s_mov_b32 s11, 0
	s_delay_alu instid0(VALU_DEP_1)
	v_max_num_f32_e32 v1, v1, v3
.LBB6_3672:                             ;   in Loop: Header=BB6_130 Depth=2
	s_and_b32 vcc_lo, exec_lo, s11
	s_cbranch_vccz .LBB6_3694
; %bb.3673:                             ;   in Loop: Header=BB6_130 Depth=2
	v_dual_mov_b32 v3, 0 :: v_dual_mov_b32 v1, 0
	s_and_saveexec_b32 s11, s10
	s_cbranch_execz .LBB6_3683
; %bb.3674:                             ;   in Loop: Header=BB6_130 Depth=2
	v_bfrev_b32_e32 v1, 1
	s_mov_b32 s15, exec_lo
	v_cmpx_ne_u32_e32 0x80, v2
	s_cbranch_execz .LBB6_3682
; %bb.3675:                             ;   in Loop: Header=BB6_130 Depth=2
	v_and_b32_e32 v1, 0x7c000000, v15
	v_bfe_u32 v4, v15, 24, 2
	s_delay_alu instid0(VALU_DEP_2) | instskip(SKIP_1) | instid1(SALU_CYCLE_1)
	v_cmp_ne_u32_e32 vcc_lo, 0x7c000000, v1
                                        ; implicit-def: $vgpr1
	s_and_saveexec_b32 s10, vcc_lo
	s_xor_b32 s10, exec_lo, s10
	s_cbranch_execz .LBB6_3679
; %bb.3676:                             ;   in Loop: Header=BB6_130 Depth=2
	v_bfe_u32 v1, v15, 26, 5
	s_mov_b32 s42, exec_lo
	s_delay_alu instid0(VALU_DEP_1)
	v_cmpx_eq_u32_e32 0, v1
; %bb.3677:                             ;   in Loop: Header=BB6_130 Depth=2
	v_clz_i32_u32_e32 v1, v4
	s_delay_alu instid0(VALU_DEP_1) | instskip(NEXT) | instid1(VALU_DEP_1)
	v_min_u32_e32 v1, 32, v1
	v_subrev_nc_u32_e32 v4, 29, v1
	s_delay_alu instid0(VALU_DEP_1) | instskip(NEXT) | instid1(VALU_DEP_1)
	v_lshlrev_b64_e32 v[4:5], v4, v[2:3]
	v_dual_sub_nc_u32 v1, 30, v1 :: v_dual_bitop2_b32 v4, 3, v4 bitop3:0x40
; %bb.3678:                             ;   in Loop: Header=BB6_130 Depth=2
	s_or_b32 exec_lo, exec_lo, s42
	v_and_b32_e32 v2, 0x80000000, v15
	s_delay_alu instid0(VALU_DEP_1) | instskip(NEXT) | instid1(VALU_DEP_1)
	v_lshl_add_u32 v1, v1, 23, v2
	v_lshl_or_b32 v1, v4, 21, v1
                                        ; implicit-def: $vgpr4
	s_delay_alu instid0(VALU_DEP_1)
	v_add_nc_u32_e32 v1, 0x38000000, v1
.LBB6_3679:                             ;   in Loop: Header=BB6_130 Depth=2
	s_and_not1_saveexec_b32 s42, s10
; %bb.3680:                             ;   in Loop: Header=BB6_130 Depth=2
	v_cmp_lt_i64_e64 s10, -1, v[14:15]
	v_cmp_eq_u32_e32 vcc_lo, 0, v4
	s_delay_alu instid0(VALU_DEP_2) | instskip(NEXT) | instid1(VALU_DEP_1)
	v_cndmask_b32_e64 v1, 0xff800000, v62, s10
	v_cndmask_b32_e32 v1, 0x7f800001, v1, vcc_lo
; %bb.3681:                             ;   in Loop: Header=BB6_130 Depth=2
	s_or_b32 exec_lo, exec_lo, s42
.LBB6_3682:                             ;   in Loop: Header=BB6_130 Depth=2
	s_delay_alu instid0(SALU_CYCLE_1)
	s_or_b32 exec_lo, exec_lo, s15
.LBB6_3683:                             ;   in Loop: Header=BB6_130 Depth=2
	s_delay_alu instid0(SALU_CYCLE_1) | instskip(NEXT) | instid1(SALU_CYCLE_1)
	s_or_b32 exec_lo, exec_lo, s11
	s_mov_b32 s11, exec_lo
	v_cmpx_lt_u64_e64 s[16:17], v[10:11]
	s_cbranch_execz .LBB6_3693
; %bb.3684:                             ;   in Loop: Header=BB6_130 Depth=2
	v_bfrev_b32_e32 v3, 1
	s_mov_b32 s15, exec_lo
	v_cmpx_ne_u32_e32 0x80, v0
	s_cbranch_execz .LBB6_3692
; %bb.3685:                             ;   in Loop: Header=BB6_130 Depth=2
	v_and_b32_e32 v3, 0x7c000000, v11
	v_bfe_u32 v2, v11, 24, 2
	s_delay_alu instid0(VALU_DEP_2) | instskip(SKIP_1) | instid1(SALU_CYCLE_1)
	v_cmp_ne_u32_e32 vcc_lo, 0x7c000000, v3
                                        ; implicit-def: $vgpr3
	s_and_saveexec_b32 s10, vcc_lo
	s_xor_b32 s10, exec_lo, s10
	s_cbranch_execz .LBB6_3689
; %bb.3686:                             ;   in Loop: Header=BB6_130 Depth=2
	v_bfe_u32 v3, v11, 26, 5
	s_mov_b32 s42, exec_lo
	s_delay_alu instid0(VALU_DEP_1)
	v_cmpx_eq_u32_e32 0, v3
; %bb.3687:                             ;   in Loop: Header=BB6_130 Depth=2
	v_clz_i32_u32_e32 v2, v2
	s_delay_alu instid0(VALU_DEP_1) | instskip(NEXT) | instid1(VALU_DEP_1)
	v_min_u32_e32 v4, 32, v2
	v_subrev_nc_u32_e32 v2, 29, v4
	s_delay_alu instid0(VALU_DEP_1) | instskip(NEXT) | instid1(VALU_DEP_1)
	v_lshlrev_b64_e32 v[2:3], v2, v[0:1]
	v_dual_sub_nc_u32 v3, 30, v4 :: v_dual_bitop2_b32 v2, 3, v2 bitop3:0x40
; %bb.3688:                             ;   in Loop: Header=BB6_130 Depth=2
	s_or_b32 exec_lo, exec_lo, s42
	v_and_b32_e32 v0, 0x80000000, v11
	s_delay_alu instid0(VALU_DEP_1) | instskip(NEXT) | instid1(VALU_DEP_1)
	v_lshl_add_u32 v0, v3, 23, v0
	v_lshl_or_b32 v0, v2, 21, v0
                                        ; implicit-def: $vgpr2
	s_delay_alu instid0(VALU_DEP_1)
	v_add_nc_u32_e32 v3, 0x38000000, v0
.LBB6_3689:                             ;   in Loop: Header=BB6_130 Depth=2
	s_and_not1_saveexec_b32 s42, s10
; %bb.3690:                             ;   in Loop: Header=BB6_130 Depth=2
	v_cmp_lt_i64_e64 s10, -1, v[10:11]
	v_cmp_eq_u32_e32 vcc_lo, 0, v2
	s_delay_alu instid0(VALU_DEP_2) | instskip(NEXT) | instid1(VALU_DEP_1)
	v_cndmask_b32_e64 v0, 0xff800000, v62, s10
	v_cndmask_b32_e32 v3, 0x7f800001, v0, vcc_lo
; %bb.3691:                             ;   in Loop: Header=BB6_130 Depth=2
	s_or_b32 exec_lo, exec_lo, s42
.LBB6_3692:                             ;   in Loop: Header=BB6_130 Depth=2
	s_delay_alu instid0(SALU_CYCLE_1)
	s_or_b32 exec_lo, exec_lo, s15
.LBB6_3693:                             ;   in Loop: Header=BB6_130 Depth=2
	s_delay_alu instid0(SALU_CYCLE_1) | instskip(NEXT) | instid1(VALU_DEP_1)
	s_or_b32 exec_lo, exec_lo, s11
	v_dual_max_num_f32 v0, v3, v3 :: v_dual_max_num_f32 v1, v1, v1
	s_delay_alu instid0(VALU_DEP_1)
	v_min_num_f32_e32 v1, v1, v0
.LBB6_3694:                             ;   in Loop: Header=BB6_130 Depth=2
	s_delay_alu instid0(VALU_DEP_1) | instskip(SKIP_3) | instid1(VALU_DEP_2)
	v_and_b32_e32 v2, 0x7f800000, v1
	v_dual_mov_b32 v3, v25 :: v_dual_lshrrev_b32 v0, 24, v1
	v_and_b32_e32 v24, 0x7fffff, v1
                                        ; implicit-def: $vgpr10
	s_mov_b32 s10, exec_lo
	v_cmpx_ne_u64_e32 0x7f800000, v[2:3]
	s_xor_b32 s11, exec_lo, s10
	s_cbranch_execz .LBB6_3708
; %bb.3695:                             ;   in Loop: Header=BB6_130 Depth=2
	v_and_b32_e32 v2, 0x7fffffff, v1
	v_mov_b32_e32 v3, v25
	v_and_b32_e32 v4, 0x80, v0
                                        ; implicit-def: $vgpr10
	s_mov_b32 s10, exec_lo
	s_delay_alu instid0(VALU_DEP_2)
	v_cmpx_gt_u64_e32 0x47600001, v[2:3]
	s_xor_b32 s15, exec_lo, s10
	s_cbranch_execz .LBB6_3705
; %bb.3696:                             ;   in Loop: Header=BB6_130 Depth=2
	v_mov_b32_e32 v10, 0
	s_mov_b32 s42, exec_lo
	v_cmpx_ne_u32_e32 0, v1
	s_cbranch_execz .LBB6_3704
; %bb.3697:                             ;   in Loop: Header=BB6_130 Depth=2
	v_bfe_u32 v5, v1, 23, 8
	v_or_b32_e32 v1, 0x800000, v24
	s_delay_alu instid0(VALU_DEP_2) | instskip(SKIP_2) | instid1(VALU_DEP_2)
	v_cmp_gt_u32_e64 s10, 0x72, v5
	v_sub_nc_u32_e32 v0, 0x71, v5
	v_cmp_eq_u32_e32 vcc_lo, 0, v5
	v_cndmask_b32_e64 v0, 0, v0, s10
	s_delay_alu instid0(VALU_DEP_1) | instskip(NEXT) | instid1(VALU_DEP_1)
	v_cndmask_b32_e64 v10, v0, 0x70, vcc_lo
	v_dual_cndmask_b32 v24, v1, v24, vcc_lo :: v_dual_add_nc_u32 v0, 21, v10
	v_add_nc_u32_e32 v2, 20, v10
	s_delay_alu instid0(VALU_DEP_2) | instskip(NEXT) | instid1(VALU_DEP_2)
	v_lshlrev_b64_e64 v[0:1], v0, -1
	v_lshlrev_b64_e64 v[2:3], v2, 1
	s_delay_alu instid0(VALU_DEP_2) | instskip(NEXT) | instid1(VALU_DEP_3)
	v_bfi_b32 v1, v1, 0, 0
	v_bfi_b32 v0, v0, 0, v24
	s_delay_alu instid0(VALU_DEP_1) | instskip(SKIP_1) | instid1(VALU_DEP_1)
	v_cmp_eq_u64_e64 s10, v[0:1], v[2:3]
	v_lshrrev_b64 v[0:1], v10, v[24:25]
	v_mov_b64_e32 v[2:3], v[0:1]
	s_and_saveexec_b32 s43, s10
; %bb.3698:                             ;   in Loop: Header=BB6_130 Depth=2
	v_bfe_u32 v24, v0, 21, 1
	s_delay_alu instid0(VALU_DEP_1) | instskip(NEXT) | instid1(VALU_DEP_1)
	v_add_nc_u64_e32 v[2:3], v[0:1], v[24:25]
	v_add_nc_u64_e32 v[2:3], -1, v[2:3]
; %bb.3699:                             ;   in Loop: Header=BB6_130 Depth=2
	s_or_b32 exec_lo, exec_lo, s43
	v_add_nc_u32_e32 v1, 0xffffff81, v5
	v_lshrrev_b32_e32 v3, 23, v0
	s_mov_b32 s10, exec_lo
	s_delay_alu instid0(VALU_DEP_2) | instskip(NEXT) | instid1(VALU_DEP_1)
	v_cndmask_b32_e64 v1, v1, 0xffffff82, vcc_lo
	v_add3_u32 v5, v10, v1, v3
	v_and_b32_e32 v1, 0x1fffff, v2
                                        ; implicit-def: $vgpr2
	s_delay_alu instid0(VALU_DEP_1) | instskip(NEXT) | instid1(VALU_DEP_1)
	v_dual_add_nc_u32 v3, 14, v5 :: v_dual_add_nc_u32 v24, v1, v0
                                        ; implicit-def: $vgpr0_vgpr1
	v_cmpx_ne_u32_e32 0, v3
	s_xor_b32 s10, exec_lo, s10
; %bb.3700:                             ;   in Loop: Header=BB6_130 Depth=2
	s_delay_alu instid0(VALU_DEP_2) | instskip(SKIP_1) | instid1(VALU_DEP_1)
	v_cmp_lt_u64_e32 vcc_lo, 0xffffff, v[24:25]
	v_add_nc_u32_e32 v0, 15, v5
	v_cndmask_b32_e32 v2, v3, v0, vcc_lo
	v_cndmask_b32_e64 v0, 0, 1, vcc_lo
	s_delay_alu instid0(VALU_DEP_1)
	v_lshrrev_b64 v[0:1], v0, v[24:25]
; %bb.3701:                             ;   in Loop: Header=BB6_130 Depth=2
	s_and_not1_saveexec_b32 s10, s10
; %bb.3702:                             ;   in Loop: Header=BB6_130 Depth=2
	v_mov_b64_e32 v[0:1], v[24:25]
	v_bfe_u32 v2, v24, 23, 1
; %bb.3703:                             ;   in Loop: Header=BB6_130 Depth=2
	s_or_b32 exec_lo, exec_lo, s10
	s_delay_alu instid0(VALU_DEP_2) | instskip(NEXT) | instid1(VALU_DEP_2)
	v_lshrrev_b64 v[0:1], 21, v[0:1]
	v_cmp_gt_i32_e32 vcc_lo, 32, v2
	v_min_i32_e32 v3, 31, v2
	v_cmp_eq_u32_e64 s10, 0, v2
	s_delay_alu instid0(VALU_DEP_2) | instskip(SKIP_1) | instid1(VALU_DEP_2)
	v_dual_cndmask_b32 v1, 0, v1, vcc_lo :: v_dual_lshlrev_b32 v3, 2, v3
	v_cndmask_b32_e32 v0, 3, v0, vcc_lo
	v_and_b32_e32 v3, 0xfc, v3
	s_delay_alu instid0(VALU_DEP_2) | instskip(NEXT) | instid1(VALU_DEP_2)
	v_cmp_eq_u64_e32 vcc_lo, 0, v[0:1]
	v_and_or_b32 v0, v0, 3, v3
	s_and_b32 s10, s10, vcc_lo
	s_delay_alu instid0(VALU_DEP_1) | instid1(SALU_CYCLE_1)
	v_cndmask_b32_e64 v0, v0, 0, s10
	s_delay_alu instid0(VALU_DEP_1)
	v_or_b32_e32 v10, v0, v4
.LBB6_3704:                             ;   in Loop: Header=BB6_130 Depth=2
	s_or_b32 exec_lo, exec_lo, s42
                                        ; implicit-def: $vgpr4
.LBB6_3705:                             ;   in Loop: Header=BB6_130 Depth=2
	s_and_not1_saveexec_b32 s10, s15
; %bb.3706:                             ;   in Loop: Header=BB6_130 Depth=2
	v_or_b32_e32 v10, 0x7b, v4
; %bb.3707:                             ;   in Loop: Header=BB6_130 Depth=2
	s_or_b32 exec_lo, exec_lo, s10
                                        ; implicit-def: $vgpr1
                                        ; implicit-def: $vgpr0
.LBB6_3708:                             ;   in Loop: Header=BB6_130 Depth=2
	s_and_not1_saveexec_b32 s10, s11
	s_cbranch_execz .LBB6_3714
; %bb.3709:                             ;   in Loop: Header=BB6_130 Depth=2
	s_mov_b32 s11, exec_lo
                                        ; implicit-def: $vgpr10
	v_cmpx_ne_u64_e32 0, v[24:25]
	s_xor_b32 s11, exec_lo, s11
; %bb.3710:                             ;   in Loop: Header=BB6_130 Depth=2
	v_or_b32_e32 v10, 0x7f, v0
                                        ; implicit-def: $vgpr1
; %bb.3711:                             ;   in Loop: Header=BB6_130 Depth=2
	s_and_not1_saveexec_b32 s11, s11
; %bb.3712:                             ;   in Loop: Header=BB6_130 Depth=2
	v_cmp_lt_i32_e32 vcc_lo, -1, v1
	v_cndmask_b32_e32 v10, 0xfc, v93, vcc_lo
; %bb.3713:                             ;   in Loop: Header=BB6_130 Depth=2
	s_or_b32 exec_lo, exec_lo, s11
.LBB6_3714:                             ;   in Loop: Header=BB6_130 Depth=2
	s_delay_alu instid0(SALU_CYCLE_1)
	s_or_b32 exec_lo, exec_lo, s10
	v_and_b32_e32 v2, 0xff, v16
	v_bfe_i32 v1, v16, 0, 8
	v_bfe_i32 v0, v12, 0, 8
	s_mov_b32 s11, -1
	s_and_not1_b32 vcc_lo, exec_lo, s14
	v_cmp_ne_u16_e64 s10, 0, v2
                                        ; implicit-def: $vgpr2
	s_cbranch_vccnz .LBB6_3736
; %bb.3715:                             ;   in Loop: Header=BB6_130 Depth=2
	v_dual_mov_b32 v3, 0 :: v_dual_mov_b32 v2, 0
	s_and_saveexec_b32 s15, s10
	s_cbranch_execz .LBB6_3725
; %bb.3716:                             ;   in Loop: Header=BB6_130 Depth=2
	v_bfrev_b32_e32 v2, 1
	s_mov_b32 s42, exec_lo
	v_cmpx_ne_u16_e32 0xff80, v1
	s_cbranch_execz .LBB6_3724
; %bb.3717:                             ;   in Loop: Header=BB6_130 Depth=2
	v_and_b32_e32 v2, 0x7c, v16
	v_and_b32_e32 v4, 3, v16
	s_delay_alu instid0(VALU_DEP_2) | instskip(SKIP_1) | instid1(SALU_CYCLE_1)
	v_cmp_ne_u32_e32 vcc_lo, 0x7c, v2
                                        ; implicit-def: $vgpr2
	s_and_saveexec_b32 s11, vcc_lo
	s_xor_b32 s11, exec_lo, s11
	s_cbranch_execz .LBB6_3721
; %bb.3718:                             ;   in Loop: Header=BB6_130 Depth=2
	v_bfe_u32 v2, v16, 2, 5
	s_mov_b32 s43, exec_lo
	s_delay_alu instid0(VALU_DEP_1)
	v_cmpx_eq_u32_e32 0, v2
; %bb.3719:                             ;   in Loop: Header=BB6_130 Depth=2
	v_clz_i32_u32_e32 v2, v4
	s_delay_alu instid0(VALU_DEP_1) | instskip(NEXT) | instid1(VALU_DEP_1)
	v_min_u32_e32 v2, 32, v2
	v_subrev_nc_u32_e32 v4, 29, v2
	s_delay_alu instid0(VALU_DEP_1) | instskip(NEXT) | instid1(VALU_DEP_1)
	v_lshlrev_b64_e32 v[4:5], v4, v[16:17]
	v_dual_sub_nc_u32 v2, 30, v2 :: v_dual_bitop2_b32 v4, 3, v4 bitop3:0x40
; %bb.3720:                             ;   in Loop: Header=BB6_130 Depth=2
	s_or_b32 exec_lo, exec_lo, s43
	v_lshlrev_b32_e32 v5, 24, v16
	s_delay_alu instid0(VALU_DEP_1) | instskip(NEXT) | instid1(VALU_DEP_1)
	v_and_b32_e32 v5, 0x80000000, v5
	v_lshl_add_u32 v2, v2, 23, v5
	s_delay_alu instid0(VALU_DEP_1) | instskip(NEXT) | instid1(VALU_DEP_1)
	v_lshl_or_b32 v2, v4, 21, v2
                                        ; implicit-def: $vgpr4
	v_add_nc_u32_e32 v2, 0x38000000, v2
.LBB6_3721:                             ;   in Loop: Header=BB6_130 Depth=2
	s_and_not1_saveexec_b32 s43, s11
; %bb.3722:                             ;   in Loop: Header=BB6_130 Depth=2
	v_cmp_lt_i16_e64 s11, -1, v1
	v_cmp_eq_u32_e32 vcc_lo, 0, v4
	s_delay_alu instid0(VALU_DEP_2) | instskip(NEXT) | instid1(VALU_DEP_1)
	v_cndmask_b32_e64 v2, 0xff800000, v62, s11
	v_cndmask_b32_e32 v2, 0x7f800001, v2, vcc_lo
; %bb.3723:                             ;   in Loop: Header=BB6_130 Depth=2
	s_or_b32 exec_lo, exec_lo, s43
.LBB6_3724:                             ;   in Loop: Header=BB6_130 Depth=2
	s_delay_alu instid0(SALU_CYCLE_1)
	s_or_b32 exec_lo, exec_lo, s42
.LBB6_3725:                             ;   in Loop: Header=BB6_130 Depth=2
	s_delay_alu instid0(SALU_CYCLE_1) | instskip(NEXT) | instid1(SALU_CYCLE_1)
	s_or_b32 exec_lo, exec_lo, s15
	s_mov_b32 s15, exec_lo
	v_cmpx_ne_u16_e32 0, v0
	s_cbranch_execz .LBB6_3735
; %bb.3726:                             ;   in Loop: Header=BB6_130 Depth=2
	v_bfrev_b32_e32 v3, 1
	s_mov_b32 s42, exec_lo
	v_cmpx_ne_u16_e32 0xff80, v0
	s_cbranch_execz .LBB6_3734
; %bb.3727:                             ;   in Loop: Header=BB6_130 Depth=2
	v_and_b32_e32 v3, 0x7c, v12
	v_and_b32_e32 v4, 3, v12
	s_delay_alu instid0(VALU_DEP_2) | instskip(SKIP_1) | instid1(SALU_CYCLE_1)
	v_cmp_ne_u32_e32 vcc_lo, 0x7c, v3
                                        ; implicit-def: $vgpr3
	s_and_saveexec_b32 s11, vcc_lo
	s_xor_b32 s11, exec_lo, s11
	s_cbranch_execz .LBB6_3731
; %bb.3728:                             ;   in Loop: Header=BB6_130 Depth=2
	v_bfe_u32 v3, v12, 2, 5
	s_mov_b32 s43, exec_lo
	s_delay_alu instid0(VALU_DEP_1)
	v_cmpx_eq_u32_e32 0, v3
; %bb.3729:                             ;   in Loop: Header=BB6_130 Depth=2
	v_clz_i32_u32_e32 v3, v4
	s_delay_alu instid0(VALU_DEP_1) | instskip(NEXT) | instid1(VALU_DEP_1)
	v_min_u32_e32 v3, 32, v3
	v_subrev_nc_u32_e32 v4, 29, v3
	s_delay_alu instid0(VALU_DEP_1) | instskip(NEXT) | instid1(VALU_DEP_1)
	v_lshlrev_b64_e32 v[4:5], v4, v[12:13]
	v_dual_sub_nc_u32 v3, 30, v3 :: v_dual_bitop2_b32 v4, 3, v4 bitop3:0x40
; %bb.3730:                             ;   in Loop: Header=BB6_130 Depth=2
	s_or_b32 exec_lo, exec_lo, s43
	v_lshlrev_b32_e32 v5, 24, v12
	s_delay_alu instid0(VALU_DEP_1) | instskip(NEXT) | instid1(VALU_DEP_1)
	v_and_b32_e32 v5, 0x80000000, v5
	v_lshl_add_u32 v3, v3, 23, v5
	s_delay_alu instid0(VALU_DEP_1) | instskip(NEXT) | instid1(VALU_DEP_1)
	v_lshl_or_b32 v3, v4, 21, v3
                                        ; implicit-def: $vgpr4
	v_add_nc_u32_e32 v3, 0x38000000, v3
.LBB6_3731:                             ;   in Loop: Header=BB6_130 Depth=2
	s_and_not1_saveexec_b32 s43, s11
; %bb.3732:                             ;   in Loop: Header=BB6_130 Depth=2
	v_cmp_lt_i16_e64 s11, -1, v0
	v_cmp_eq_u32_e32 vcc_lo, 0, v4
	s_delay_alu instid0(VALU_DEP_2) | instskip(NEXT) | instid1(VALU_DEP_1)
	v_cndmask_b32_e64 v3, 0xff800000, v62, s11
	v_cndmask_b32_e32 v3, 0x7f800001, v3, vcc_lo
; %bb.3733:                             ;   in Loop: Header=BB6_130 Depth=2
	s_or_b32 exec_lo, exec_lo, s43
.LBB6_3734:                             ;   in Loop: Header=BB6_130 Depth=2
	s_delay_alu instid0(SALU_CYCLE_1)
	s_or_b32 exec_lo, exec_lo, s42
.LBB6_3735:                             ;   in Loop: Header=BB6_130 Depth=2
	s_delay_alu instid0(SALU_CYCLE_1) | instskip(NEXT) | instid1(VALU_DEP_1)
	s_or_b32 exec_lo, exec_lo, s15
	v_dual_max_num_f32 v3, v3, v3 :: v_dual_max_num_f32 v2, v2, v2
	s_mov_b32 s11, 0
	s_delay_alu instid0(VALU_DEP_1)
	v_max_num_f32_e32 v2, v2, v3
.LBB6_3736:                             ;   in Loop: Header=BB6_130 Depth=2
	s_and_b32 vcc_lo, exec_lo, s11
	s_cbranch_vccz .LBB6_3758
; %bb.3737:                             ;   in Loop: Header=BB6_130 Depth=2
	v_dual_mov_b32 v3, 0 :: v_dual_mov_b32 v2, 0
	s_and_saveexec_b32 s11, s10
	s_cbranch_execz .LBB6_3747
; %bb.3738:                             ;   in Loop: Header=BB6_130 Depth=2
	v_bfrev_b32_e32 v2, 1
	s_mov_b32 s15, exec_lo
	v_cmpx_ne_u16_e32 0xff80, v1
	s_cbranch_execz .LBB6_3746
; %bb.3739:                             ;   in Loop: Header=BB6_130 Depth=2
	v_and_b32_e32 v2, 0x7c, v16
	v_and_b32_e32 v4, 3, v16
	s_delay_alu instid0(VALU_DEP_2) | instskip(SKIP_1) | instid1(SALU_CYCLE_1)
	v_cmp_ne_u32_e32 vcc_lo, 0x7c, v2
                                        ; implicit-def: $vgpr2
	s_and_saveexec_b32 s10, vcc_lo
	s_xor_b32 s10, exec_lo, s10
	s_cbranch_execz .LBB6_3743
; %bb.3740:                             ;   in Loop: Header=BB6_130 Depth=2
	v_bfe_u32 v1, v16, 2, 5
	s_mov_b32 s42, exec_lo
	s_delay_alu instid0(VALU_DEP_1)
	v_cmpx_eq_u32_e32 0, v1
; %bb.3741:                             ;   in Loop: Header=BB6_130 Depth=2
	v_clz_i32_u32_e32 v1, v4
	s_delay_alu instid0(VALU_DEP_1) | instskip(NEXT) | instid1(VALU_DEP_1)
	v_min_u32_e32 v1, 32, v1
	v_subrev_nc_u32_e32 v2, 29, v1
	s_delay_alu instid0(VALU_DEP_1) | instskip(NEXT) | instid1(VALU_DEP_1)
	v_lshlrev_b64_e32 v[4:5], v2, v[16:17]
	v_dual_sub_nc_u32 v1, 30, v1 :: v_dual_bitop2_b32 v4, 3, v4 bitop3:0x40
; %bb.3742:                             ;   in Loop: Header=BB6_130 Depth=2
	s_or_b32 exec_lo, exec_lo, s42
	v_lshlrev_b32_e32 v2, 24, v16
	s_delay_alu instid0(VALU_DEP_1) | instskip(NEXT) | instid1(VALU_DEP_1)
	v_and_b32_e32 v2, 0x80000000, v2
	v_lshl_add_u32 v1, v1, 23, v2
	s_delay_alu instid0(VALU_DEP_1) | instskip(NEXT) | instid1(VALU_DEP_1)
	v_lshl_or_b32 v1, v4, 21, v1
                                        ; implicit-def: $vgpr4
	v_add_nc_u32_e32 v2, 0x38000000, v1
                                        ; implicit-def: $vgpr1
.LBB6_3743:                             ;   in Loop: Header=BB6_130 Depth=2
	s_and_not1_saveexec_b32 s42, s10
; %bb.3744:                             ;   in Loop: Header=BB6_130 Depth=2
	v_cmp_lt_i16_e64 s10, -1, v1
	v_cmp_eq_u32_e32 vcc_lo, 0, v4
	s_delay_alu instid0(VALU_DEP_2) | instskip(NEXT) | instid1(VALU_DEP_1)
	v_cndmask_b32_e64 v1, 0xff800000, v62, s10
	v_cndmask_b32_e32 v2, 0x7f800001, v1, vcc_lo
; %bb.3745:                             ;   in Loop: Header=BB6_130 Depth=2
	s_or_b32 exec_lo, exec_lo, s42
.LBB6_3746:                             ;   in Loop: Header=BB6_130 Depth=2
	s_delay_alu instid0(SALU_CYCLE_1)
	s_or_b32 exec_lo, exec_lo, s15
.LBB6_3747:                             ;   in Loop: Header=BB6_130 Depth=2
	s_delay_alu instid0(SALU_CYCLE_1) | instskip(NEXT) | instid1(SALU_CYCLE_1)
	s_or_b32 exec_lo, exec_lo, s11
	s_mov_b32 s11, exec_lo
	v_cmpx_ne_u16_e32 0, v0
	s_cbranch_execz .LBB6_3757
; %bb.3748:                             ;   in Loop: Header=BB6_130 Depth=2
	v_bfrev_b32_e32 v3, 1
	s_mov_b32 s15, exec_lo
	v_cmpx_ne_u16_e32 0xff80, v0
	s_cbranch_execz .LBB6_3756
; %bb.3749:                             ;   in Loop: Header=BB6_130 Depth=2
	v_and_b32_e32 v3, 0x7c, v12
	v_and_b32_e32 v1, 3, v12
	s_delay_alu instid0(VALU_DEP_2) | instskip(SKIP_1) | instid1(SALU_CYCLE_1)
	v_cmp_ne_u32_e32 vcc_lo, 0x7c, v3
                                        ; implicit-def: $vgpr3
	s_and_saveexec_b32 s10, vcc_lo
	s_xor_b32 s10, exec_lo, s10
	s_cbranch_execz .LBB6_3753
; %bb.3750:                             ;   in Loop: Header=BB6_130 Depth=2
	v_bfe_u32 v0, v12, 2, 5
	s_mov_b32 s42, exec_lo
	s_delay_alu instid0(VALU_DEP_1)
	v_cmpx_eq_u32_e32 0, v0
; %bb.3751:                             ;   in Loop: Header=BB6_130 Depth=2
	v_clz_i32_u32_e32 v0, v1
	s_delay_alu instid0(VALU_DEP_1) | instskip(NEXT) | instid1(VALU_DEP_1)
	v_min_u32_e32 v0, 32, v0
	v_subrev_nc_u32_e32 v1, 29, v0
	v_sub_nc_u32_e32 v0, 30, v0
	s_delay_alu instid0(VALU_DEP_2) | instskip(NEXT) | instid1(VALU_DEP_1)
	v_lshlrev_b64_e32 v[4:5], v1, v[12:13]
	v_and_b32_e32 v1, 3, v4
; %bb.3752:                             ;   in Loop: Header=BB6_130 Depth=2
	s_or_b32 exec_lo, exec_lo, s42
	v_lshlrev_b32_e32 v3, 24, v12
	s_delay_alu instid0(VALU_DEP_1) | instskip(NEXT) | instid1(VALU_DEP_1)
	v_and_b32_e32 v3, 0x80000000, v3
	v_lshl_add_u32 v0, v0, 23, v3
	s_delay_alu instid0(VALU_DEP_1) | instskip(NEXT) | instid1(VALU_DEP_1)
	v_lshl_or_b32 v0, v1, 21, v0
                                        ; implicit-def: $vgpr1
	v_add_nc_u32_e32 v3, 0x38000000, v0
                                        ; implicit-def: $vgpr0
.LBB6_3753:                             ;   in Loop: Header=BB6_130 Depth=2
	s_and_not1_saveexec_b32 s42, s10
; %bb.3754:                             ;   in Loop: Header=BB6_130 Depth=2
	v_cmp_lt_i16_e64 s10, -1, v0
	v_cmp_eq_u32_e32 vcc_lo, 0, v1
	s_delay_alu instid0(VALU_DEP_2) | instskip(NEXT) | instid1(VALU_DEP_1)
	v_cndmask_b32_e64 v0, 0xff800000, v62, s10
	v_cndmask_b32_e32 v3, 0x7f800001, v0, vcc_lo
; %bb.3755:                             ;   in Loop: Header=BB6_130 Depth=2
	s_or_b32 exec_lo, exec_lo, s42
.LBB6_3756:                             ;   in Loop: Header=BB6_130 Depth=2
	s_delay_alu instid0(SALU_CYCLE_1)
	s_or_b32 exec_lo, exec_lo, s15
.LBB6_3757:                             ;   in Loop: Header=BB6_130 Depth=2
	s_delay_alu instid0(SALU_CYCLE_1) | instskip(NEXT) | instid1(VALU_DEP_1)
	s_or_b32 exec_lo, exec_lo, s11
	v_dual_max_num_f32 v0, v3, v3 :: v_dual_max_num_f32 v1, v2, v2
	s_delay_alu instid0(VALU_DEP_1)
	v_min_num_f32_e32 v2, v1, v0
.LBB6_3758:                             ;   in Loop: Header=BB6_130 Depth=2
	s_delay_alu instid0(VALU_DEP_1) | instskip(SKIP_2) | instid1(VALU_DEP_2)
	v_and_b32_e32 v0, 0x7f800000, v2
	v_mov_b32_e32 v1, v25
	v_and_b32_e32 v24, 0x7fffff, v2
                                        ; implicit-def: $vgpr11
	v_cmp_ne_u64_e32 vcc_lo, 0x7f800000, v[0:1]
	v_lshrrev_b32_e32 v0, 24, v2
	s_and_saveexec_b32 s10, vcc_lo
	s_delay_alu instid0(SALU_CYCLE_1)
	s_xor_b32 s11, exec_lo, s10
	s_cbranch_execz .LBB6_3772
; %bb.3759:                             ;   in Loop: Header=BB6_130 Depth=2
	v_and_b32_e32 v4, 0x7fffffff, v2
	v_mov_b32_e32 v5, v25
                                        ; implicit-def: $vgpr11
	s_delay_alu instid0(VALU_DEP_1) | instskip(SKIP_2) | instid1(SALU_CYCLE_1)
	v_cmp_gt_u64_e32 vcc_lo, 0x47600001, v[4:5]
	v_and_b32_e32 v4, 0x80, v0
	s_and_saveexec_b32 s10, vcc_lo
	s_xor_b32 s15, exec_lo, s10
	s_cbranch_execz .LBB6_3769
; %bb.3760:                             ;   in Loop: Header=BB6_130 Depth=2
	v_mov_b32_e32 v11, 0
	s_mov_b32 s42, exec_lo
	v_cmpx_ne_u32_e32 0, v2
	s_cbranch_execz .LBB6_3768
; %bb.3761:                             ;   in Loop: Header=BB6_130 Depth=2
	v_bfe_u32 v5, v2, 23, 8
	v_or_b32_e32 v1, 0x800000, v24
	s_delay_alu instid0(VALU_DEP_2) | instskip(SKIP_2) | instid1(VALU_DEP_2)
	v_cmp_gt_u32_e64 s10, 0x72, v5
	v_sub_nc_u32_e32 v0, 0x71, v5
	v_cmp_eq_u32_e32 vcc_lo, 0, v5
	v_cndmask_b32_e64 v0, 0, v0, s10
	s_delay_alu instid0(VALU_DEP_1) | instskip(NEXT) | instid1(VALU_DEP_1)
	v_cndmask_b32_e64 v11, v0, 0x70, vcc_lo
	v_dual_cndmask_b32 v24, v1, v24, vcc_lo :: v_dual_add_nc_u32 v0, 21, v11
	v_add_nc_u32_e32 v2, 20, v11
	s_delay_alu instid0(VALU_DEP_2) | instskip(NEXT) | instid1(VALU_DEP_2)
	v_lshlrev_b64_e64 v[0:1], v0, -1
	v_lshlrev_b64_e64 v[2:3], v2, 1
	s_delay_alu instid0(VALU_DEP_2) | instskip(NEXT) | instid1(VALU_DEP_3)
	v_bfi_b32 v1, v1, 0, 0
	v_bfi_b32 v0, v0, 0, v24
	s_delay_alu instid0(VALU_DEP_1) | instskip(SKIP_1) | instid1(VALU_DEP_1)
	v_cmp_eq_u64_e64 s10, v[0:1], v[2:3]
	v_lshrrev_b64 v[0:1], v11, v[24:25]
	v_mov_b64_e32 v[2:3], v[0:1]
	s_and_saveexec_b32 s43, s10
; %bb.3762:                             ;   in Loop: Header=BB6_130 Depth=2
	v_bfe_u32 v24, v0, 21, 1
	s_delay_alu instid0(VALU_DEP_1) | instskip(NEXT) | instid1(VALU_DEP_1)
	v_add_nc_u64_e32 v[2:3], v[0:1], v[24:25]
	v_add_nc_u64_e32 v[2:3], -1, v[2:3]
; %bb.3763:                             ;   in Loop: Header=BB6_130 Depth=2
	s_or_b32 exec_lo, exec_lo, s43
	v_add_nc_u32_e32 v1, 0xffffff81, v5
	v_lshrrev_b32_e32 v3, 23, v0
	s_mov_b32 s10, exec_lo
	s_delay_alu instid0(VALU_DEP_2) | instskip(NEXT) | instid1(VALU_DEP_1)
	v_cndmask_b32_e64 v1, v1, 0xffffff82, vcc_lo
	v_add3_u32 v5, v11, v1, v3
	v_and_b32_e32 v1, 0x1fffff, v2
                                        ; implicit-def: $vgpr2
	s_delay_alu instid0(VALU_DEP_1) | instskip(NEXT) | instid1(VALU_DEP_1)
	v_dual_add_nc_u32 v3, 14, v5 :: v_dual_add_nc_u32 v24, v1, v0
                                        ; implicit-def: $vgpr0_vgpr1
	v_cmpx_ne_u32_e32 0, v3
	s_xor_b32 s10, exec_lo, s10
; %bb.3764:                             ;   in Loop: Header=BB6_130 Depth=2
	s_delay_alu instid0(VALU_DEP_2) | instskip(SKIP_1) | instid1(VALU_DEP_1)
	v_cmp_lt_u64_e32 vcc_lo, 0xffffff, v[24:25]
	v_add_nc_u32_e32 v0, 15, v5
	v_cndmask_b32_e32 v2, v3, v0, vcc_lo
	v_cndmask_b32_e64 v0, 0, 1, vcc_lo
	s_delay_alu instid0(VALU_DEP_1)
	v_lshrrev_b64 v[0:1], v0, v[24:25]
; %bb.3765:                             ;   in Loop: Header=BB6_130 Depth=2
	s_and_not1_saveexec_b32 s10, s10
; %bb.3766:                             ;   in Loop: Header=BB6_130 Depth=2
	v_mov_b64_e32 v[0:1], v[24:25]
	v_bfe_u32 v2, v24, 23, 1
; %bb.3767:                             ;   in Loop: Header=BB6_130 Depth=2
	s_or_b32 exec_lo, exec_lo, s10
	s_delay_alu instid0(VALU_DEP_2) | instskip(NEXT) | instid1(VALU_DEP_2)
	v_lshrrev_b64 v[0:1], 21, v[0:1]
	v_cmp_gt_i32_e32 vcc_lo, 32, v2
	v_min_i32_e32 v3, 31, v2
	v_cmp_eq_u32_e64 s10, 0, v2
	s_delay_alu instid0(VALU_DEP_2) | instskip(SKIP_1) | instid1(VALU_DEP_2)
	v_dual_cndmask_b32 v1, 0, v1, vcc_lo :: v_dual_lshlrev_b32 v3, 2, v3
	v_cndmask_b32_e32 v0, 3, v0, vcc_lo
	v_and_b32_e32 v3, 0xfc, v3
	s_delay_alu instid0(VALU_DEP_2) | instskip(NEXT) | instid1(VALU_DEP_2)
	v_cmp_eq_u64_e32 vcc_lo, 0, v[0:1]
	v_and_or_b32 v0, v0, 3, v3
	s_and_b32 s10, s10, vcc_lo
	s_delay_alu instid0(VALU_DEP_1) | instid1(SALU_CYCLE_1)
	v_cndmask_b32_e64 v0, v0, 0, s10
	s_delay_alu instid0(VALU_DEP_1)
	v_or_b32_e32 v11, v0, v4
.LBB6_3768:                             ;   in Loop: Header=BB6_130 Depth=2
	s_or_b32 exec_lo, exec_lo, s42
                                        ; implicit-def: $vgpr4
.LBB6_3769:                             ;   in Loop: Header=BB6_130 Depth=2
	s_and_not1_saveexec_b32 s10, s15
; %bb.3770:                             ;   in Loop: Header=BB6_130 Depth=2
	v_or_b32_e32 v11, 0x7b, v4
; %bb.3771:                             ;   in Loop: Header=BB6_130 Depth=2
	s_or_b32 exec_lo, exec_lo, s10
                                        ; implicit-def: $vgpr2
                                        ; implicit-def: $vgpr0
.LBB6_3772:                             ;   in Loop: Header=BB6_130 Depth=2
	s_and_not1_saveexec_b32 s10, s11
	s_cbranch_execz .LBB6_3778
; %bb.3773:                             ;   in Loop: Header=BB6_130 Depth=2
	s_mov_b32 s11, exec_lo
                                        ; implicit-def: $vgpr11
	v_cmpx_ne_u64_e32 0, v[24:25]
	s_xor_b32 s11, exec_lo, s11
; %bb.3774:                             ;   in Loop: Header=BB6_130 Depth=2
	v_or_b32_e32 v11, 0x7f, v0
                                        ; implicit-def: $vgpr2
; %bb.3775:                             ;   in Loop: Header=BB6_130 Depth=2
	s_and_not1_saveexec_b32 s11, s11
; %bb.3776:                             ;   in Loop: Header=BB6_130 Depth=2
	v_cmp_lt_i32_e32 vcc_lo, -1, v2
	v_cndmask_b32_e32 v11, 0xfc, v93, vcc_lo
; %bb.3777:                             ;   in Loop: Header=BB6_130 Depth=2
	s_or_b32 exec_lo, exec_lo, s11
.LBB6_3778:                             ;   in Loop: Header=BB6_130 Depth=2
	s_delay_alu instid0(SALU_CYCLE_1) | instskip(SKIP_4) | instid1(VALU_DEP_2)
	s_or_b32 exec_lo, exec_lo, s10
	v_lshrrev_b16 v24, 8, v16
	v_lshrrev_b16 v0, 8, v12
	s_mov_b32 s11, -1
	s_and_not1_b32 vcc_lo, exec_lo, s14
                                        ; implicit-def: $vgpr1
	v_and_b32_e32 v2, 0xffff, v24
	v_cmp_ne_u16_e64 s10, 0, v24
	s_cbranch_vccnz .LBB6_3800
; %bb.3779:                             ;   in Loop: Header=BB6_130 Depth=2
	v_dual_mov_b32 v1, 0 :: v_dual_mov_b32 v3, 0
	s_and_saveexec_b32 s15, s10
	s_cbranch_execz .LBB6_3789
; %bb.3780:                             ;   in Loop: Header=BB6_130 Depth=2
	v_bfrev_b32_e32 v3, 1
	s_mov_b32 s42, exec_lo
	v_cmpx_ne_u16_e32 0x80, v24
	s_cbranch_execz .LBB6_3788
; %bb.3781:                             ;   in Loop: Header=BB6_130 Depth=2
	v_and_b32_e32 v3, 0x7c, v2
	v_and_b32_e32 v4, 3, v2
	s_delay_alu instid0(VALU_DEP_2) | instskip(SKIP_1) | instid1(SALU_CYCLE_1)
	v_cmp_ne_u32_e32 vcc_lo, 0x7c, v3
                                        ; implicit-def: $vgpr3
	s_and_saveexec_b32 s11, vcc_lo
	s_xor_b32 s11, exec_lo, s11
	s_cbranch_execz .LBB6_3785
; %bb.3782:                             ;   in Loop: Header=BB6_130 Depth=2
	v_bfe_u32 v3, v2, 2, 5
	s_mov_b32 s43, exec_lo
	s_delay_alu instid0(VALU_DEP_1)
	v_cmpx_eq_u32_e32 0, v3
; %bb.3783:                             ;   in Loop: Header=BB6_130 Depth=2
	v_clz_i32_u32_e32 v3, v4
	s_delay_alu instid0(VALU_DEP_1) | instskip(NEXT) | instid1(VALU_DEP_1)
	v_min_u32_e32 v3, 32, v3
	v_subrev_nc_u32_e32 v4, 29, v3
	s_delay_alu instid0(VALU_DEP_1) | instskip(NEXT) | instid1(VALU_DEP_1)
	v_lshlrev_b64_e32 v[4:5], v4, v[24:25]
	v_dual_sub_nc_u32 v3, 30, v3 :: v_dual_bitop2_b32 v4, 3, v4 bitop3:0x40
; %bb.3784:                             ;   in Loop: Header=BB6_130 Depth=2
	s_or_b32 exec_lo, exec_lo, s43
	v_lshlrev_b32_e32 v5, 16, v16
	s_delay_alu instid0(VALU_DEP_1) | instskip(NEXT) | instid1(VALU_DEP_1)
	v_and_b32_e32 v5, 0x80000000, v5
	v_lshl_add_u32 v3, v3, 23, v5
	s_delay_alu instid0(VALU_DEP_1) | instskip(NEXT) | instid1(VALU_DEP_1)
	v_lshl_or_b32 v3, v4, 21, v3
                                        ; implicit-def: $vgpr4
	v_add_nc_u32_e32 v3, 0x38000000, v3
.LBB6_3785:                             ;   in Loop: Header=BB6_130 Depth=2
	s_and_not1_saveexec_b32 s43, s11
; %bb.3786:                             ;   in Loop: Header=BB6_130 Depth=2
	v_cmp_lt_i16_e64 s11, -1, v16
	v_cmp_eq_u32_e32 vcc_lo, 0, v4
	s_delay_alu instid0(VALU_DEP_2) | instskip(NEXT) | instid1(VALU_DEP_1)
	v_cndmask_b32_e64 v3, 0xff800000, v62, s11
	v_cndmask_b32_e32 v3, 0x7f800001, v3, vcc_lo
; %bb.3787:                             ;   in Loop: Header=BB6_130 Depth=2
	s_or_b32 exec_lo, exec_lo, s43
.LBB6_3788:                             ;   in Loop: Header=BB6_130 Depth=2
	s_delay_alu instid0(SALU_CYCLE_1)
	s_or_b32 exec_lo, exec_lo, s42
.LBB6_3789:                             ;   in Loop: Header=BB6_130 Depth=2
	s_delay_alu instid0(SALU_CYCLE_1) | instskip(NEXT) | instid1(SALU_CYCLE_1)
	s_or_b32 exec_lo, exec_lo, s15
	s_mov_b32 s15, exec_lo
	v_cmpx_ne_u16_e32 0, v0
	s_cbranch_execz .LBB6_3799
; %bb.3790:                             ;   in Loop: Header=BB6_130 Depth=2
	v_bfrev_b32_e32 v1, 1
	s_mov_b32 s42, exec_lo
	v_cmpx_ne_u16_e32 0x80, v0
	s_cbranch_execz .LBB6_3798
; %bb.3791:                             ;   in Loop: Header=BB6_130 Depth=2
	v_and_b32_e32 v5, 0xffff, v0
	s_delay_alu instid0(VALU_DEP_1) | instskip(SKIP_1) | instid1(VALU_DEP_2)
	v_and_b32_e32 v1, 0x7c, v5
	v_and_b32_e32 v4, 3, v5
	v_cmp_ne_u32_e32 vcc_lo, 0x7c, v1
                                        ; implicit-def: $vgpr1
	s_and_saveexec_b32 s11, vcc_lo
	s_delay_alu instid0(SALU_CYCLE_1)
	s_xor_b32 s11, exec_lo, s11
	s_cbranch_execz .LBB6_3795
; %bb.3792:                             ;   in Loop: Header=BB6_130 Depth=2
	v_bfe_u32 v1, v5, 2, 5
	s_mov_b32 s43, exec_lo
	s_delay_alu instid0(VALU_DEP_1)
	v_cmpx_eq_u32_e32 0, v1
; %bb.3793:                             ;   in Loop: Header=BB6_130 Depth=2
	v_clz_i32_u32_e32 v1, v4
	s_delay_alu instid0(VALU_DEP_1) | instskip(SKIP_1) | instid1(VALU_DEP_2)
	v_min_u32_e32 v14, 32, v1
	v_mov_b32_e32 v1, v25
	v_subrev_nc_u32_e32 v4, 29, v14
	s_delay_alu instid0(VALU_DEP_1) | instskip(NEXT) | instid1(VALU_DEP_1)
	v_lshlrev_b64_e32 v[4:5], v4, v[0:1]
	v_dual_sub_nc_u32 v1, 30, v14 :: v_dual_bitop2_b32 v4, 3, v4 bitop3:0x40
; %bb.3794:                             ;   in Loop: Header=BB6_130 Depth=2
	s_or_b32 exec_lo, exec_lo, s43
	v_lshlrev_b32_e32 v5, 16, v12
	s_delay_alu instid0(VALU_DEP_1) | instskip(NEXT) | instid1(VALU_DEP_1)
	v_and_b32_e32 v5, 0x80000000, v5
	v_lshl_add_u32 v1, v1, 23, v5
	s_delay_alu instid0(VALU_DEP_1) | instskip(NEXT) | instid1(VALU_DEP_1)
	v_lshl_or_b32 v1, v4, 21, v1
                                        ; implicit-def: $vgpr4
	v_add_nc_u32_e32 v1, 0x38000000, v1
.LBB6_3795:                             ;   in Loop: Header=BB6_130 Depth=2
	s_and_not1_saveexec_b32 s43, s11
; %bb.3796:                             ;   in Loop: Header=BB6_130 Depth=2
	v_cmp_lt_i16_e64 s11, -1, v12
	v_cmp_eq_u32_e32 vcc_lo, 0, v4
	s_delay_alu instid0(VALU_DEP_2) | instskip(NEXT) | instid1(VALU_DEP_1)
	v_cndmask_b32_e64 v1, 0xff800000, v62, s11
	v_cndmask_b32_e32 v1, 0x7f800001, v1, vcc_lo
; %bb.3797:                             ;   in Loop: Header=BB6_130 Depth=2
	s_or_b32 exec_lo, exec_lo, s43
.LBB6_3798:                             ;   in Loop: Header=BB6_130 Depth=2
	s_delay_alu instid0(SALU_CYCLE_1)
	s_or_b32 exec_lo, exec_lo, s42
.LBB6_3799:                             ;   in Loop: Header=BB6_130 Depth=2
	s_delay_alu instid0(SALU_CYCLE_1) | instskip(NEXT) | instid1(VALU_DEP_1)
	s_or_b32 exec_lo, exec_lo, s15
	v_dual_max_num_f32 v1, v1, v1 :: v_dual_max_num_f32 v3, v3, v3
	s_mov_b32 s11, 0
	s_delay_alu instid0(VALU_DEP_1)
	v_max_num_f32_e32 v1, v3, v1
.LBB6_3800:                             ;   in Loop: Header=BB6_130 Depth=2
	s_and_b32 vcc_lo, exec_lo, s11
	s_cbranch_vccz .LBB6_3822
; %bb.3801:                             ;   in Loop: Header=BB6_130 Depth=2
	v_dual_mov_b32 v1, 0 :: v_dual_mov_b32 v3, 0
	s_and_saveexec_b32 s11, s10
	s_cbranch_execz .LBB6_3811
; %bb.3802:                             ;   in Loop: Header=BB6_130 Depth=2
	v_bfrev_b32_e32 v3, 1
	s_mov_b32 s15, exec_lo
	v_cmpx_ne_u16_e32 0x80, v24
	s_cbranch_execz .LBB6_3810
; %bb.3803:                             ;   in Loop: Header=BB6_130 Depth=2
	v_and_b32_e32 v3, 0x7c, v2
	v_and_b32_e32 v4, 3, v2
	s_delay_alu instid0(VALU_DEP_2) | instskip(SKIP_1) | instid1(SALU_CYCLE_1)
	v_cmp_ne_u32_e32 vcc_lo, 0x7c, v3
                                        ; implicit-def: $vgpr3
	s_and_saveexec_b32 s10, vcc_lo
	s_xor_b32 s10, exec_lo, s10
	s_cbranch_execz .LBB6_3807
; %bb.3804:                             ;   in Loop: Header=BB6_130 Depth=2
	v_bfe_u32 v2, v2, 2, 5
	s_mov_b32 s42, exec_lo
	s_delay_alu instid0(VALU_DEP_1)
	v_cmpx_eq_u32_e32 0, v2
; %bb.3805:                             ;   in Loop: Header=BB6_130 Depth=2
	v_clz_i32_u32_e32 v2, v4
	s_delay_alu instid0(VALU_DEP_1) | instskip(NEXT) | instid1(VALU_DEP_1)
	v_min_u32_e32 v2, 32, v2
	v_subrev_nc_u32_e32 v3, 29, v2
	s_delay_alu instid0(VALU_DEP_1) | instskip(NEXT) | instid1(VALU_DEP_1)
	v_lshlrev_b64_e32 v[4:5], v3, v[24:25]
	v_dual_sub_nc_u32 v2, 30, v2 :: v_dual_bitop2_b32 v4, 3, v4 bitop3:0x40
; %bb.3806:                             ;   in Loop: Header=BB6_130 Depth=2
	s_or_b32 exec_lo, exec_lo, s42
	v_lshlrev_b32_e32 v3, 16, v16
	s_delay_alu instid0(VALU_DEP_1) | instskip(NEXT) | instid1(VALU_DEP_1)
	v_and_b32_e32 v3, 0x80000000, v3
	v_lshl_add_u32 v2, v2, 23, v3
	s_delay_alu instid0(VALU_DEP_1) | instskip(NEXT) | instid1(VALU_DEP_1)
	v_lshl_or_b32 v2, v4, 21, v2
                                        ; implicit-def: $vgpr4
	v_add_nc_u32_e32 v3, 0x38000000, v2
.LBB6_3807:                             ;   in Loop: Header=BB6_130 Depth=2
	s_and_not1_saveexec_b32 s42, s10
; %bb.3808:                             ;   in Loop: Header=BB6_130 Depth=2
	v_cmp_lt_i16_e64 s10, -1, v16
	v_cmp_eq_u32_e32 vcc_lo, 0, v4
	s_delay_alu instid0(VALU_DEP_2) | instskip(NEXT) | instid1(VALU_DEP_1)
	v_cndmask_b32_e64 v2, 0xff800000, v62, s10
	v_cndmask_b32_e32 v3, 0x7f800001, v2, vcc_lo
; %bb.3809:                             ;   in Loop: Header=BB6_130 Depth=2
	s_or_b32 exec_lo, exec_lo, s42
.LBB6_3810:                             ;   in Loop: Header=BB6_130 Depth=2
	s_delay_alu instid0(SALU_CYCLE_1)
	s_or_b32 exec_lo, exec_lo, s15
.LBB6_3811:                             ;   in Loop: Header=BB6_130 Depth=2
	s_delay_alu instid0(SALU_CYCLE_1) | instskip(NEXT) | instid1(SALU_CYCLE_1)
	s_or_b32 exec_lo, exec_lo, s11
	s_mov_b32 s11, exec_lo
	v_cmpx_ne_u16_e32 0, v0
	s_cbranch_execz .LBB6_3821
; %bb.3812:                             ;   in Loop: Header=BB6_130 Depth=2
	v_bfrev_b32_e32 v1, 1
	s_mov_b32 s15, exec_lo
	v_cmpx_ne_u16_e32 0x80, v0
	s_cbranch_execz .LBB6_3820
; %bb.3813:                             ;   in Loop: Header=BB6_130 Depth=2
	v_and_b32_e32 v4, 0xffff, v0
	s_delay_alu instid0(VALU_DEP_1) | instskip(SKIP_1) | instid1(VALU_DEP_2)
	v_and_b32_e32 v1, 0x7c, v4
	v_and_b32_e32 v2, 3, v4
	v_cmp_ne_u32_e32 vcc_lo, 0x7c, v1
                                        ; implicit-def: $vgpr1
	s_and_saveexec_b32 s10, vcc_lo
	s_delay_alu instid0(SALU_CYCLE_1)
	s_xor_b32 s10, exec_lo, s10
	s_cbranch_execz .LBB6_3817
; %bb.3814:                             ;   in Loop: Header=BB6_130 Depth=2
	v_bfe_u32 v1, v4, 2, 5
	s_mov_b32 s42, exec_lo
	s_delay_alu instid0(VALU_DEP_1)
	v_cmpx_eq_u32_e32 0, v1
; %bb.3815:                             ;   in Loop: Header=BB6_130 Depth=2
	v_clz_i32_u32_e32 v1, v2
	s_delay_alu instid0(VALU_DEP_1) | instskip(SKIP_1) | instid1(VALU_DEP_2)
	v_min_u32_e32 v2, 32, v1
	v_mov_b32_e32 v1, v25
	v_subrev_nc_u32_e32 v4, 29, v2
	s_delay_alu instid0(VALU_DEP_1) | instskip(NEXT) | instid1(VALU_DEP_1)
	v_lshlrev_b64_e32 v[0:1], v4, v[0:1]
	v_dual_sub_nc_u32 v1, 30, v2 :: v_dual_bitop2_b32 v2, 3, v0 bitop3:0x40
; %bb.3816:                             ;   in Loop: Header=BB6_130 Depth=2
	s_or_b32 exec_lo, exec_lo, s42
	v_lshlrev_b32_e32 v0, 16, v12
	s_delay_alu instid0(VALU_DEP_1) | instskip(NEXT) | instid1(VALU_DEP_1)
	v_and_b32_e32 v0, 0x80000000, v0
	v_lshl_add_u32 v0, v1, 23, v0
	s_delay_alu instid0(VALU_DEP_1) | instskip(NEXT) | instid1(VALU_DEP_1)
	v_lshl_or_b32 v0, v2, 21, v0
                                        ; implicit-def: $vgpr2
	v_add_nc_u32_e32 v1, 0x38000000, v0
.LBB6_3817:                             ;   in Loop: Header=BB6_130 Depth=2
	s_and_not1_saveexec_b32 s42, s10
; %bb.3818:                             ;   in Loop: Header=BB6_130 Depth=2
	v_cmp_lt_i16_e64 s10, -1, v12
	v_cmp_eq_u32_e32 vcc_lo, 0, v2
	s_delay_alu instid0(VALU_DEP_2) | instskip(NEXT) | instid1(VALU_DEP_1)
	v_cndmask_b32_e64 v0, 0xff800000, v62, s10
	v_cndmask_b32_e32 v1, 0x7f800001, v0, vcc_lo
; %bb.3819:                             ;   in Loop: Header=BB6_130 Depth=2
	s_or_b32 exec_lo, exec_lo, s42
.LBB6_3820:                             ;   in Loop: Header=BB6_130 Depth=2
	s_delay_alu instid0(SALU_CYCLE_1)
	s_or_b32 exec_lo, exec_lo, s15
.LBB6_3821:                             ;   in Loop: Header=BB6_130 Depth=2
	s_delay_alu instid0(SALU_CYCLE_1) | instskip(NEXT) | instid1(VALU_DEP_1)
	s_or_b32 exec_lo, exec_lo, s11
	v_dual_max_num_f32 v0, v1, v1 :: v_dual_max_num_f32 v1, v3, v3
	s_delay_alu instid0(VALU_DEP_1)
	v_min_num_f32_e32 v1, v1, v0
.LBB6_3822:                             ;   in Loop: Header=BB6_130 Depth=2
	s_delay_alu instid0(VALU_DEP_1) | instskip(SKIP_3) | instid1(VALU_DEP_2)
	v_and_b32_e32 v2, 0x7f800000, v1
	v_dual_mov_b32 v3, v25 :: v_dual_lshrrev_b32 v0, 24, v1
	v_and_b32_e32 v24, 0x7fffff, v1
                                        ; implicit-def: $vgpr14
	s_mov_b32 s10, exec_lo
	v_cmpx_ne_u64_e32 0x7f800000, v[2:3]
	s_xor_b32 s11, exec_lo, s10
	s_cbranch_execz .LBB6_3836
; %bb.3823:                             ;   in Loop: Header=BB6_130 Depth=2
	v_and_b32_e32 v2, 0x7fffffff, v1
	v_mov_b32_e32 v3, v25
	v_and_b32_e32 v4, 0x80, v0
                                        ; implicit-def: $vgpr14
	s_mov_b32 s10, exec_lo
	s_delay_alu instid0(VALU_DEP_2)
	v_cmpx_gt_u64_e32 0x47600001, v[2:3]
	s_xor_b32 s15, exec_lo, s10
	s_cbranch_execz .LBB6_3833
; %bb.3824:                             ;   in Loop: Header=BB6_130 Depth=2
	v_mov_b32_e32 v14, 0
	s_mov_b32 s42, exec_lo
	v_cmpx_ne_u32_e32 0, v1
	s_cbranch_execz .LBB6_3832
; %bb.3825:                             ;   in Loop: Header=BB6_130 Depth=2
	v_bfe_u32 v5, v1, 23, 8
	v_or_b32_e32 v1, 0x800000, v24
	s_delay_alu instid0(VALU_DEP_2) | instskip(SKIP_2) | instid1(VALU_DEP_2)
	v_cmp_gt_u32_e64 s10, 0x72, v5
	v_sub_nc_u32_e32 v0, 0x71, v5
	v_cmp_eq_u32_e32 vcc_lo, 0, v5
	v_cndmask_b32_e64 v0, 0, v0, s10
	s_delay_alu instid0(VALU_DEP_1) | instskip(NEXT) | instid1(VALU_DEP_1)
	v_cndmask_b32_e64 v14, v0, 0x70, vcc_lo
	v_dual_cndmask_b32 v24, v1, v24, vcc_lo :: v_dual_add_nc_u32 v0, 21, v14
	v_add_nc_u32_e32 v2, 20, v14
	s_delay_alu instid0(VALU_DEP_2) | instskip(NEXT) | instid1(VALU_DEP_2)
	v_lshlrev_b64_e64 v[0:1], v0, -1
	v_lshlrev_b64_e64 v[2:3], v2, 1
	s_delay_alu instid0(VALU_DEP_2) | instskip(NEXT) | instid1(VALU_DEP_3)
	v_bfi_b32 v1, v1, 0, 0
	v_bfi_b32 v0, v0, 0, v24
	s_delay_alu instid0(VALU_DEP_1) | instskip(SKIP_1) | instid1(VALU_DEP_1)
	v_cmp_eq_u64_e64 s10, v[0:1], v[2:3]
	v_lshrrev_b64 v[0:1], v14, v[24:25]
	v_mov_b64_e32 v[2:3], v[0:1]
	s_and_saveexec_b32 s43, s10
; %bb.3826:                             ;   in Loop: Header=BB6_130 Depth=2
	v_bfe_u32 v24, v0, 21, 1
	s_delay_alu instid0(VALU_DEP_1) | instskip(NEXT) | instid1(VALU_DEP_1)
	v_add_nc_u64_e32 v[2:3], v[0:1], v[24:25]
	v_add_nc_u64_e32 v[2:3], -1, v[2:3]
; %bb.3827:                             ;   in Loop: Header=BB6_130 Depth=2
	s_or_b32 exec_lo, exec_lo, s43
	v_add_nc_u32_e32 v1, 0xffffff81, v5
	v_lshrrev_b32_e32 v3, 23, v0
	s_mov_b32 s10, exec_lo
	s_delay_alu instid0(VALU_DEP_2) | instskip(NEXT) | instid1(VALU_DEP_1)
	v_cndmask_b32_e64 v1, v1, 0xffffff82, vcc_lo
	v_add3_u32 v5, v14, v1, v3
	v_and_b32_e32 v1, 0x1fffff, v2
                                        ; implicit-def: $vgpr2
	s_delay_alu instid0(VALU_DEP_1) | instskip(NEXT) | instid1(VALU_DEP_1)
	v_dual_add_nc_u32 v3, 14, v5 :: v_dual_add_nc_u32 v24, v1, v0
                                        ; implicit-def: $vgpr0_vgpr1
	v_cmpx_ne_u32_e32 0, v3
	s_xor_b32 s10, exec_lo, s10
; %bb.3828:                             ;   in Loop: Header=BB6_130 Depth=2
	s_delay_alu instid0(VALU_DEP_2) | instskip(SKIP_1) | instid1(VALU_DEP_1)
	v_cmp_lt_u64_e32 vcc_lo, 0xffffff, v[24:25]
	v_add_nc_u32_e32 v0, 15, v5
	v_cndmask_b32_e32 v2, v3, v0, vcc_lo
	v_cndmask_b32_e64 v0, 0, 1, vcc_lo
	s_delay_alu instid0(VALU_DEP_1)
	v_lshrrev_b64 v[0:1], v0, v[24:25]
; %bb.3829:                             ;   in Loop: Header=BB6_130 Depth=2
	s_and_not1_saveexec_b32 s10, s10
; %bb.3830:                             ;   in Loop: Header=BB6_130 Depth=2
	v_mov_b64_e32 v[0:1], v[24:25]
	v_bfe_u32 v2, v24, 23, 1
; %bb.3831:                             ;   in Loop: Header=BB6_130 Depth=2
	s_or_b32 exec_lo, exec_lo, s10
	s_delay_alu instid0(VALU_DEP_2) | instskip(NEXT) | instid1(VALU_DEP_2)
	v_lshrrev_b64 v[0:1], 21, v[0:1]
	v_cmp_gt_i32_e32 vcc_lo, 32, v2
	v_min_i32_e32 v3, 31, v2
	v_cmp_eq_u32_e64 s10, 0, v2
	s_delay_alu instid0(VALU_DEP_2) | instskip(SKIP_1) | instid1(VALU_DEP_2)
	v_dual_cndmask_b32 v1, 0, v1, vcc_lo :: v_dual_lshlrev_b32 v3, 2, v3
	v_cndmask_b32_e32 v0, 3, v0, vcc_lo
	v_and_b32_e32 v3, 0xfc, v3
	s_delay_alu instid0(VALU_DEP_2) | instskip(NEXT) | instid1(VALU_DEP_2)
	v_cmp_eq_u64_e32 vcc_lo, 0, v[0:1]
	v_and_or_b32 v0, v0, 3, v3
	s_and_b32 s10, s10, vcc_lo
	s_delay_alu instid0(VALU_DEP_1) | instid1(SALU_CYCLE_1)
	v_cndmask_b32_e64 v0, v0, 0, s10
	s_delay_alu instid0(VALU_DEP_1)
	v_or_b32_e32 v14, v0, v4
.LBB6_3832:                             ;   in Loop: Header=BB6_130 Depth=2
	s_or_b32 exec_lo, exec_lo, s42
                                        ; implicit-def: $vgpr4
.LBB6_3833:                             ;   in Loop: Header=BB6_130 Depth=2
	s_and_not1_saveexec_b32 s10, s15
; %bb.3834:                             ;   in Loop: Header=BB6_130 Depth=2
	v_or_b32_e32 v14, 0x7b, v4
; %bb.3835:                             ;   in Loop: Header=BB6_130 Depth=2
	s_or_b32 exec_lo, exec_lo, s10
                                        ; implicit-def: $vgpr1
                                        ; implicit-def: $vgpr0
.LBB6_3836:                             ;   in Loop: Header=BB6_130 Depth=2
	s_and_not1_saveexec_b32 s10, s11
	s_cbranch_execz .LBB6_3842
; %bb.3837:                             ;   in Loop: Header=BB6_130 Depth=2
	s_mov_b32 s11, exec_lo
                                        ; implicit-def: $vgpr14
	v_cmpx_ne_u64_e32 0, v[24:25]
	s_xor_b32 s11, exec_lo, s11
; %bb.3838:                             ;   in Loop: Header=BB6_130 Depth=2
	v_or_b32_e32 v14, 0x7f, v0
                                        ; implicit-def: $vgpr1
; %bb.3839:                             ;   in Loop: Header=BB6_130 Depth=2
	s_and_not1_saveexec_b32 s11, s11
; %bb.3840:                             ;   in Loop: Header=BB6_130 Depth=2
	v_cmp_lt_i32_e32 vcc_lo, -1, v1
	v_cndmask_b32_e32 v14, 0xfc, v93, vcc_lo
; %bb.3841:                             ;   in Loop: Header=BB6_130 Depth=2
	s_or_b32 exec_lo, exec_lo, s11
.LBB6_3842:                             ;   in Loop: Header=BB6_130 Depth=2
	s_delay_alu instid0(SALU_CYCLE_1) | instskip(SKIP_4) | instid1(VALU_DEP_2)
	s_or_b32 exec_lo, exec_lo, s10
	v_lshrrev_b32_e32 v2, 16, v16
	v_lshrrev_b32_e32 v0, 16, v12
	s_mov_b32 s11, -1
	s_and_not1_b32 vcc_lo, exec_lo, s14
                                        ; implicit-def: $vgpr3
	v_and_b32_e32 v1, 0xff, v2
	s_delay_alu instid0(VALU_DEP_1)
	v_cmp_ne_u16_e64 s10, 0, v1
	s_cbranch_vccnz .LBB6_3864
; %bb.3843:                             ;   in Loop: Header=BB6_130 Depth=2
	v_dual_mov_b32 v4, 0 :: v_dual_mov_b32 v3, 0
	s_and_saveexec_b32 s15, s10
	s_cbranch_execz .LBB6_3853
; %bb.3844:                             ;   in Loop: Header=BB6_130 Depth=2
	v_bfrev_b32_e32 v3, 1
	s_mov_b32 s42, exec_lo
	v_cmpx_ne_u16_e32 0x80, v1
	s_cbranch_execz .LBB6_3852
; %bb.3845:                             ;   in Loop: Header=BB6_130 Depth=2
	v_and_b32_e32 v3, 0x7c0000, v16
	v_bfe_u32 v5, v16, 16, 2
	s_delay_alu instid0(VALU_DEP_2) | instskip(SKIP_1) | instid1(SALU_CYCLE_1)
	v_cmp_ne_u32_e32 vcc_lo, 0x7c0000, v3
                                        ; implicit-def: $vgpr3
	s_and_saveexec_b32 s11, vcc_lo
	s_xor_b32 s11, exec_lo, s11
	s_cbranch_execz .LBB6_3849
; %bb.3846:                             ;   in Loop: Header=BB6_130 Depth=2
	v_bfe_u32 v3, v16, 18, 5
	s_mov_b32 s43, exec_lo
	s_delay_alu instid0(VALU_DEP_1)
	v_cmpx_eq_u32_e32 0, v3
; %bb.3847:                             ;   in Loop: Header=BB6_130 Depth=2
	v_clz_i32_u32_e32 v3, v5
	s_delay_alu instid0(VALU_DEP_1) | instskip(NEXT) | instid1(VALU_DEP_1)
	v_min_u32_e32 v3, 32, v3
	v_subrev_nc_u32_e32 v5, 29, v3
	s_delay_alu instid0(VALU_DEP_1) | instskip(NEXT) | instid1(VALU_DEP_1)
	v_lshlrev_b64_e32 v[112:113], v5, v[2:3]
	v_dual_sub_nc_u32 v3, 30, v3 :: v_dual_bitop2_b32 v5, 3, v112 bitop3:0x40
; %bb.3848:                             ;   in Loop: Header=BB6_130 Depth=2
	s_or_b32 exec_lo, exec_lo, s43
	v_lshlrev_b32_e32 v15, 24, v2
	s_delay_alu instid0(VALU_DEP_1) | instskip(NEXT) | instid1(VALU_DEP_1)
	v_and_b32_e32 v15, 0x80000000, v15
	v_lshl_add_u32 v3, v3, 23, v15
	s_delay_alu instid0(VALU_DEP_1) | instskip(NEXT) | instid1(VALU_DEP_1)
	v_lshl_or_b32 v3, v5, 21, v3
                                        ; implicit-def: $vgpr5
	v_add_nc_u32_e32 v3, 0x38000000, v3
.LBB6_3849:                             ;   in Loop: Header=BB6_130 Depth=2
	s_and_not1_saveexec_b32 s43, s11
; %bb.3850:                             ;   in Loop: Header=BB6_130 Depth=2
	v_bfe_i32 v3, v2, 0, 8
	v_cmp_eq_u32_e32 vcc_lo, 0, v5
	s_delay_alu instid0(VALU_DEP_2) | instskip(NEXT) | instid1(VALU_DEP_1)
	v_cmp_lt_i16_e64 s11, -1, v3
	v_cndmask_b32_e64 v3, 0xff800000, v62, s11
	s_delay_alu instid0(VALU_DEP_1)
	v_cndmask_b32_e32 v3, 0x7f800001, v3, vcc_lo
; %bb.3851:                             ;   in Loop: Header=BB6_130 Depth=2
	s_or_b32 exec_lo, exec_lo, s43
.LBB6_3852:                             ;   in Loop: Header=BB6_130 Depth=2
	s_delay_alu instid0(SALU_CYCLE_1)
	s_or_b32 exec_lo, exec_lo, s42
.LBB6_3853:                             ;   in Loop: Header=BB6_130 Depth=2
	s_delay_alu instid0(SALU_CYCLE_1) | instskip(SKIP_2) | instid1(VALU_DEP_1)
	s_or_b32 exec_lo, exec_lo, s15
	v_and_b32_e32 v5, 0xff, v0
	s_mov_b32 s15, exec_lo
	v_cmpx_ne_u16_e32 0, v5
	s_cbranch_execz .LBB6_3863
; %bb.3854:                             ;   in Loop: Header=BB6_130 Depth=2
	v_bfrev_b32_e32 v4, 1
	s_mov_b32 s42, exec_lo
	v_cmpx_ne_u16_e32 0x80, v5
	s_cbranch_execz .LBB6_3862
; %bb.3855:                             ;   in Loop: Header=BB6_130 Depth=2
	v_and_b32_e32 v4, 0x7c0000, v12
	v_bfe_u32 v5, v12, 16, 2
	s_delay_alu instid0(VALU_DEP_2) | instskip(SKIP_1) | instid1(SALU_CYCLE_1)
	v_cmp_ne_u32_e32 vcc_lo, 0x7c0000, v4
                                        ; implicit-def: $vgpr4
	s_and_saveexec_b32 s11, vcc_lo
	s_xor_b32 s11, exec_lo, s11
	s_cbranch_execz .LBB6_3859
; %bb.3856:                             ;   in Loop: Header=BB6_130 Depth=2
	v_bfe_u32 v4, v12, 18, 5
	s_mov_b32 s43, exec_lo
	s_delay_alu instid0(VALU_DEP_1)
	v_cmpx_eq_u32_e32 0, v4
; %bb.3857:                             ;   in Loop: Header=BB6_130 Depth=2
	v_clz_i32_u32_e32 v4, v5
	s_delay_alu instid0(VALU_DEP_1) | instskip(NEXT) | instid1(VALU_DEP_1)
	v_min_u32_e32 v4, 32, v4
	v_subrev_nc_u32_e32 v5, 29, v4
	v_sub_nc_u32_e32 v4, 30, v4
	s_delay_alu instid0(VALU_DEP_2) | instskip(NEXT) | instid1(VALU_DEP_1)
	v_lshlrev_b64_e32 v[112:113], v5, v[0:1]
	v_and_b32_e32 v5, 3, v112
; %bb.3858:                             ;   in Loop: Header=BB6_130 Depth=2
	s_or_b32 exec_lo, exec_lo, s43
	v_lshlrev_b32_e32 v15, 24, v0
	s_delay_alu instid0(VALU_DEP_1) | instskip(NEXT) | instid1(VALU_DEP_1)
	v_and_b32_e32 v15, 0x80000000, v15
	v_lshl_add_u32 v4, v4, 23, v15
	s_delay_alu instid0(VALU_DEP_1) | instskip(NEXT) | instid1(VALU_DEP_1)
	v_lshl_or_b32 v4, v5, 21, v4
                                        ; implicit-def: $vgpr5
	v_add_nc_u32_e32 v4, 0x38000000, v4
.LBB6_3859:                             ;   in Loop: Header=BB6_130 Depth=2
	s_and_not1_saveexec_b32 s43, s11
; %bb.3860:                             ;   in Loop: Header=BB6_130 Depth=2
	v_bfe_i32 v4, v0, 0, 8
	v_cmp_eq_u32_e32 vcc_lo, 0, v5
	s_delay_alu instid0(VALU_DEP_2) | instskip(NEXT) | instid1(VALU_DEP_1)
	v_cmp_lt_i16_e64 s11, -1, v4
	v_cndmask_b32_e64 v4, 0xff800000, v62, s11
	s_delay_alu instid0(VALU_DEP_1)
	v_cndmask_b32_e32 v4, 0x7f800001, v4, vcc_lo
; %bb.3861:                             ;   in Loop: Header=BB6_130 Depth=2
	s_or_b32 exec_lo, exec_lo, s43
.LBB6_3862:                             ;   in Loop: Header=BB6_130 Depth=2
	s_delay_alu instid0(SALU_CYCLE_1)
	s_or_b32 exec_lo, exec_lo, s42
.LBB6_3863:                             ;   in Loop: Header=BB6_130 Depth=2
	s_delay_alu instid0(SALU_CYCLE_1) | instskip(NEXT) | instid1(VALU_DEP_1)
	s_or_b32 exec_lo, exec_lo, s15
	v_dual_max_num_f32 v4, v4, v4 :: v_dual_max_num_f32 v3, v3, v3
	s_mov_b32 s11, 0
	s_delay_alu instid0(VALU_DEP_1)
	v_max_num_f32_e32 v3, v3, v4
.LBB6_3864:                             ;   in Loop: Header=BB6_130 Depth=2
	s_and_b32 vcc_lo, exec_lo, s11
	s_cbranch_vccz .LBB6_3886
; %bb.3865:                             ;   in Loop: Header=BB6_130 Depth=2
	v_dual_mov_b32 v4, 0 :: v_dual_mov_b32 v3, 0
	s_and_saveexec_b32 s11, s10
	s_cbranch_execz .LBB6_3875
; %bb.3866:                             ;   in Loop: Header=BB6_130 Depth=2
	v_bfrev_b32_e32 v3, 1
	s_mov_b32 s15, exec_lo
	v_cmpx_ne_u16_e32 0x80, v1
	s_cbranch_execz .LBB6_3874
; %bb.3867:                             ;   in Loop: Header=BB6_130 Depth=2
	v_and_b32_e32 v3, 0x7c0000, v16
	v_bfe_u32 v1, v16, 16, 2
	s_delay_alu instid0(VALU_DEP_2) | instskip(SKIP_1) | instid1(SALU_CYCLE_1)
	v_cmp_ne_u32_e32 vcc_lo, 0x7c0000, v3
                                        ; implicit-def: $vgpr3
	s_and_saveexec_b32 s10, vcc_lo
	s_xor_b32 s10, exec_lo, s10
	s_cbranch_execz .LBB6_3871
; %bb.3868:                             ;   in Loop: Header=BB6_130 Depth=2
	v_bfe_u32 v3, v16, 18, 5
	s_mov_b32 s42, exec_lo
	s_delay_alu instid0(VALU_DEP_1)
	v_cmpx_eq_u32_e32 0, v3
; %bb.3869:                             ;   in Loop: Header=BB6_130 Depth=2
	v_clz_i32_u32_e32 v1, v1
	s_delay_alu instid0(VALU_DEP_1) | instskip(NEXT) | instid1(VALU_DEP_1)
	v_min_u32_e32 v1, 32, v1
	v_subrev_nc_u32_e32 v3, 29, v1
	s_delay_alu instid0(VALU_DEP_1) | instskip(NEXT) | instid1(VALU_DEP_1)
	v_lshlrev_b64_e32 v[112:113], v3, v[2:3]
	v_dual_sub_nc_u32 v3, 30, v1 :: v_dual_bitop2_b32 v1, 3, v112 bitop3:0x40
; %bb.3870:                             ;   in Loop: Header=BB6_130 Depth=2
	s_or_b32 exec_lo, exec_lo, s42
	v_lshlrev_b32_e32 v2, 24, v2
	s_delay_alu instid0(VALU_DEP_1) | instskip(NEXT) | instid1(VALU_DEP_1)
	v_and_b32_e32 v2, 0x80000000, v2
	v_lshl_add_u32 v2, v3, 23, v2
	s_delay_alu instid0(VALU_DEP_1) | instskip(NEXT) | instid1(VALU_DEP_1)
	v_lshl_or_b32 v1, v1, 21, v2
                                        ; implicit-def: $vgpr2
	v_add_nc_u32_e32 v3, 0x38000000, v1
                                        ; implicit-def: $vgpr1
.LBB6_3871:                             ;   in Loop: Header=BB6_130 Depth=2
	s_and_not1_saveexec_b32 s42, s10
; %bb.3872:                             ;   in Loop: Header=BB6_130 Depth=2
	v_bfe_i32 v2, v2, 0, 8
	v_cmp_eq_u32_e32 vcc_lo, 0, v1
	s_delay_alu instid0(VALU_DEP_2) | instskip(NEXT) | instid1(VALU_DEP_1)
	v_cmp_lt_i16_e64 s10, -1, v2
	v_cndmask_b32_e64 v1, 0xff800000, v62, s10
	s_delay_alu instid0(VALU_DEP_1)
	v_cndmask_b32_e32 v3, 0x7f800001, v1, vcc_lo
; %bb.3873:                             ;   in Loop: Header=BB6_130 Depth=2
	s_or_b32 exec_lo, exec_lo, s42
.LBB6_3874:                             ;   in Loop: Header=BB6_130 Depth=2
	s_delay_alu instid0(SALU_CYCLE_1)
	s_or_b32 exec_lo, exec_lo, s15
.LBB6_3875:                             ;   in Loop: Header=BB6_130 Depth=2
	s_delay_alu instid0(SALU_CYCLE_1) | instskip(SKIP_2) | instid1(VALU_DEP_1)
	s_or_b32 exec_lo, exec_lo, s11
	v_and_b32_e32 v1, 0xff, v0
	s_mov_b32 s11, exec_lo
	v_cmpx_ne_u16_e32 0, v1
	s_cbranch_execz .LBB6_3885
; %bb.3876:                             ;   in Loop: Header=BB6_130 Depth=2
	v_bfrev_b32_e32 v4, 1
	s_mov_b32 s15, exec_lo
	v_cmpx_ne_u16_e32 0x80, v1
	s_cbranch_execz .LBB6_3884
; %bb.3877:                             ;   in Loop: Header=BB6_130 Depth=2
	v_and_b32_e32 v2, 0x7c0000, v12
	v_bfe_u32 v1, v12, 16, 2
	s_mov_b32 s10, exec_lo
                                        ; implicit-def: $vgpr4
	s_delay_alu instid0(VALU_DEP_2)
	v_cmpx_ne_u32_e32 0x7c0000, v2
	s_xor_b32 s10, exec_lo, s10
	s_cbranch_execz .LBB6_3881
; %bb.3878:                             ;   in Loop: Header=BB6_130 Depth=2
	v_bfe_u32 v2, v12, 18, 5
	s_mov_b32 s42, exec_lo
	s_delay_alu instid0(VALU_DEP_1)
	v_cmpx_eq_u32_e32 0, v2
; %bb.3879:                             ;   in Loop: Header=BB6_130 Depth=2
	v_clz_i32_u32_e32 v1, v1
	s_delay_alu instid0(VALU_DEP_1) | instskip(NEXT) | instid1(VALU_DEP_1)
	v_min_u32_e32 v1, 32, v1
	v_subrev_nc_u32_e32 v2, 29, v1
	s_delay_alu instid0(VALU_DEP_1) | instskip(NEXT) | instid1(VALU_DEP_1)
	v_lshlrev_b64_e32 v[4:5], v2, v[0:1]
	v_dual_sub_nc_u32 v2, 30, v1 :: v_dual_bitop2_b32 v1, 3, v4 bitop3:0x40
; %bb.3880:                             ;   in Loop: Header=BB6_130 Depth=2
	s_or_b32 exec_lo, exec_lo, s42
	v_lshlrev_b32_e32 v0, 24, v0
	s_delay_alu instid0(VALU_DEP_1) | instskip(NEXT) | instid1(VALU_DEP_1)
	v_and_b32_e32 v0, 0x80000000, v0
	v_lshl_add_u32 v0, v2, 23, v0
	s_delay_alu instid0(VALU_DEP_1) | instskip(NEXT) | instid1(VALU_DEP_1)
	v_lshl_or_b32 v0, v1, 21, v0
                                        ; implicit-def: $vgpr1
	v_add_nc_u32_e32 v4, 0x38000000, v0
                                        ; implicit-def: $vgpr0
.LBB6_3881:                             ;   in Loop: Header=BB6_130 Depth=2
	s_and_not1_saveexec_b32 s42, s10
; %bb.3882:                             ;   in Loop: Header=BB6_130 Depth=2
	v_bfe_i32 v0, v0, 0, 8
	v_cmp_eq_u32_e32 vcc_lo, 0, v1
	s_delay_alu instid0(VALU_DEP_2) | instskip(NEXT) | instid1(VALU_DEP_1)
	v_cmp_lt_i16_e64 s10, -1, v0
	v_cndmask_b32_e64 v0, 0xff800000, v62, s10
	s_delay_alu instid0(VALU_DEP_1)
	v_cndmask_b32_e32 v4, 0x7f800001, v0, vcc_lo
; %bb.3883:                             ;   in Loop: Header=BB6_130 Depth=2
	s_or_b32 exec_lo, exec_lo, s42
.LBB6_3884:                             ;   in Loop: Header=BB6_130 Depth=2
	s_delay_alu instid0(SALU_CYCLE_1)
	s_or_b32 exec_lo, exec_lo, s15
.LBB6_3885:                             ;   in Loop: Header=BB6_130 Depth=2
	s_delay_alu instid0(SALU_CYCLE_1) | instskip(NEXT) | instid1(VALU_DEP_1)
	s_or_b32 exec_lo, exec_lo, s11
	v_dual_max_num_f32 v0, v4, v4 :: v_dual_max_num_f32 v1, v3, v3
	s_delay_alu instid0(VALU_DEP_1)
	v_min_num_f32_e32 v3, v1, v0
.LBB6_3886:                             ;   in Loop: Header=BB6_130 Depth=2
	s_delay_alu instid0(VALU_DEP_1) | instskip(SKIP_2) | instid1(VALU_DEP_2)
	v_and_b32_e32 v0, 0x7f800000, v3
	v_mov_b32_e32 v1, v25
	v_and_b32_e32 v24, 0x7fffff, v3
                                        ; implicit-def: $vgpr15
	v_cmp_ne_u64_e32 vcc_lo, 0x7f800000, v[0:1]
	v_lshrrev_b32_e32 v0, 24, v3
	s_and_saveexec_b32 s10, vcc_lo
	s_delay_alu instid0(SALU_CYCLE_1)
	s_xor_b32 s11, exec_lo, s10
	s_cbranch_execz .LBB6_3900
; %bb.3887:                             ;   in Loop: Header=BB6_130 Depth=2
	v_and_b32_e32 v4, 0x7fffffff, v3
	v_mov_b32_e32 v5, v25
                                        ; implicit-def: $vgpr15
	s_delay_alu instid0(VALU_DEP_1) | instskip(SKIP_2) | instid1(SALU_CYCLE_1)
	v_cmp_gt_u64_e32 vcc_lo, 0x47600001, v[4:5]
	v_and_b32_e32 v4, 0x80, v0
	s_and_saveexec_b32 s10, vcc_lo
	s_xor_b32 s15, exec_lo, s10
	s_cbranch_execz .LBB6_3897
; %bb.3888:                             ;   in Loop: Header=BB6_130 Depth=2
	v_mov_b32_e32 v15, 0
	s_mov_b32 s42, exec_lo
	v_cmpx_ne_u32_e32 0, v3
	s_cbranch_execz .LBB6_3896
; %bb.3889:                             ;   in Loop: Header=BB6_130 Depth=2
	v_bfe_u32 v5, v3, 23, 8
	v_or_b32_e32 v1, 0x800000, v24
	s_delay_alu instid0(VALU_DEP_2) | instskip(SKIP_2) | instid1(VALU_DEP_2)
	v_cmp_gt_u32_e64 s10, 0x72, v5
	v_sub_nc_u32_e32 v0, 0x71, v5
	v_cmp_eq_u32_e32 vcc_lo, 0, v5
	v_cndmask_b32_e64 v0, 0, v0, s10
	s_delay_alu instid0(VALU_DEP_1) | instskip(NEXT) | instid1(VALU_DEP_1)
	v_cndmask_b32_e64 v15, v0, 0x70, vcc_lo
	v_dual_cndmask_b32 v24, v1, v24, vcc_lo :: v_dual_add_nc_u32 v0, 21, v15
	v_add_nc_u32_e32 v2, 20, v15
	s_delay_alu instid0(VALU_DEP_2) | instskip(NEXT) | instid1(VALU_DEP_2)
	v_lshlrev_b64_e64 v[0:1], v0, -1
	v_lshlrev_b64_e64 v[2:3], v2, 1
	s_delay_alu instid0(VALU_DEP_2) | instskip(NEXT) | instid1(VALU_DEP_3)
	v_bfi_b32 v1, v1, 0, 0
	v_bfi_b32 v0, v0, 0, v24
	s_delay_alu instid0(VALU_DEP_1) | instskip(SKIP_1) | instid1(VALU_DEP_1)
	v_cmp_eq_u64_e64 s10, v[0:1], v[2:3]
	v_lshrrev_b64 v[0:1], v15, v[24:25]
	v_mov_b64_e32 v[2:3], v[0:1]
	s_and_saveexec_b32 s43, s10
; %bb.3890:                             ;   in Loop: Header=BB6_130 Depth=2
	v_bfe_u32 v24, v0, 21, 1
	s_delay_alu instid0(VALU_DEP_1) | instskip(NEXT) | instid1(VALU_DEP_1)
	v_add_nc_u64_e32 v[2:3], v[0:1], v[24:25]
	v_add_nc_u64_e32 v[2:3], -1, v[2:3]
; %bb.3891:                             ;   in Loop: Header=BB6_130 Depth=2
	s_or_b32 exec_lo, exec_lo, s43
	v_add_nc_u32_e32 v1, 0xffffff81, v5
	v_lshrrev_b32_e32 v3, 23, v0
	s_mov_b32 s10, exec_lo
	s_delay_alu instid0(VALU_DEP_2) | instskip(NEXT) | instid1(VALU_DEP_1)
	v_cndmask_b32_e64 v1, v1, 0xffffff82, vcc_lo
	v_add3_u32 v5, v15, v1, v3
	v_and_b32_e32 v1, 0x1fffff, v2
                                        ; implicit-def: $vgpr2
	s_delay_alu instid0(VALU_DEP_1) | instskip(NEXT) | instid1(VALU_DEP_1)
	v_dual_add_nc_u32 v3, 14, v5 :: v_dual_add_nc_u32 v24, v1, v0
                                        ; implicit-def: $vgpr0_vgpr1
	v_cmpx_ne_u32_e32 0, v3
	s_xor_b32 s10, exec_lo, s10
; %bb.3892:                             ;   in Loop: Header=BB6_130 Depth=2
	s_delay_alu instid0(VALU_DEP_2) | instskip(SKIP_1) | instid1(VALU_DEP_1)
	v_cmp_lt_u64_e32 vcc_lo, 0xffffff, v[24:25]
	v_add_nc_u32_e32 v0, 15, v5
	v_cndmask_b32_e32 v2, v3, v0, vcc_lo
	v_cndmask_b32_e64 v0, 0, 1, vcc_lo
	s_delay_alu instid0(VALU_DEP_1)
	v_lshrrev_b64 v[0:1], v0, v[24:25]
; %bb.3893:                             ;   in Loop: Header=BB6_130 Depth=2
	s_and_not1_saveexec_b32 s10, s10
; %bb.3894:                             ;   in Loop: Header=BB6_130 Depth=2
	v_mov_b64_e32 v[0:1], v[24:25]
	v_bfe_u32 v2, v24, 23, 1
; %bb.3895:                             ;   in Loop: Header=BB6_130 Depth=2
	s_or_b32 exec_lo, exec_lo, s10
	s_delay_alu instid0(VALU_DEP_2) | instskip(NEXT) | instid1(VALU_DEP_2)
	v_lshrrev_b64 v[0:1], 21, v[0:1]
	v_cmp_gt_i32_e32 vcc_lo, 32, v2
	v_min_i32_e32 v3, 31, v2
	v_cmp_eq_u32_e64 s10, 0, v2
	s_delay_alu instid0(VALU_DEP_2) | instskip(SKIP_1) | instid1(VALU_DEP_2)
	v_dual_cndmask_b32 v1, 0, v1, vcc_lo :: v_dual_lshlrev_b32 v3, 2, v3
	v_cndmask_b32_e32 v0, 3, v0, vcc_lo
	v_and_b32_e32 v3, 0xfc, v3
	s_delay_alu instid0(VALU_DEP_2) | instskip(NEXT) | instid1(VALU_DEP_2)
	v_cmp_eq_u64_e32 vcc_lo, 0, v[0:1]
	v_and_or_b32 v0, v0, 3, v3
	s_and_b32 s10, s10, vcc_lo
	s_delay_alu instid0(VALU_DEP_1) | instid1(SALU_CYCLE_1)
	v_cndmask_b32_e64 v0, v0, 0, s10
	s_delay_alu instid0(VALU_DEP_1)
	v_or_b32_e32 v15, v0, v4
.LBB6_3896:                             ;   in Loop: Header=BB6_130 Depth=2
	s_or_b32 exec_lo, exec_lo, s42
                                        ; implicit-def: $vgpr4
.LBB6_3897:                             ;   in Loop: Header=BB6_130 Depth=2
	s_and_not1_saveexec_b32 s10, s15
; %bb.3898:                             ;   in Loop: Header=BB6_130 Depth=2
	v_or_b32_e32 v15, 0x7b, v4
; %bb.3899:                             ;   in Loop: Header=BB6_130 Depth=2
	s_or_b32 exec_lo, exec_lo, s10
                                        ; implicit-def: $vgpr3
                                        ; implicit-def: $vgpr0
.LBB6_3900:                             ;   in Loop: Header=BB6_130 Depth=2
	s_and_not1_saveexec_b32 s10, s11
	s_cbranch_execz .LBB6_3906
; %bb.3901:                             ;   in Loop: Header=BB6_130 Depth=2
	s_mov_b32 s11, exec_lo
                                        ; implicit-def: $vgpr15
	v_cmpx_ne_u64_e32 0, v[24:25]
	s_xor_b32 s11, exec_lo, s11
; %bb.3902:                             ;   in Loop: Header=BB6_130 Depth=2
	v_or_b32_e32 v15, 0x7f, v0
                                        ; implicit-def: $vgpr3
; %bb.3903:                             ;   in Loop: Header=BB6_130 Depth=2
	s_and_not1_saveexec_b32 s11, s11
; %bb.3904:                             ;   in Loop: Header=BB6_130 Depth=2
	v_cmp_lt_i32_e32 vcc_lo, -1, v3
	v_cndmask_b32_e32 v15, 0xfc, v93, vcc_lo
; %bb.3905:                             ;   in Loop: Header=BB6_130 Depth=2
	s_or_b32 exec_lo, exec_lo, s11
.LBB6_3906:                             ;   in Loop: Header=BB6_130 Depth=2
	s_delay_alu instid0(SALU_CYCLE_1)
	s_or_b32 exec_lo, exec_lo, s10
	v_lshrrev_b32_e32 v2, 24, v16
	v_lshrrev_b32_e32 v0, 24, v12
	v_cmp_lt_u32_e64 s10, 0xffffff, v16
	s_mov_b32 s11, -1
	s_and_not1_b32 vcc_lo, exec_lo, s14
                                        ; implicit-def: $vgpr1
	s_cbranch_vccnz .LBB6_3928
; %bb.3907:                             ;   in Loop: Header=BB6_130 Depth=2
	v_dual_mov_b32 v3, 0 :: v_dual_mov_b32 v1, 0
	s_and_saveexec_b32 s15, s10
	s_cbranch_execz .LBB6_3917
; %bb.3908:                             ;   in Loop: Header=BB6_130 Depth=2
	v_bfrev_b32_e32 v1, 1
	s_mov_b32 s42, exec_lo
	v_cmpx_ne_u32_e32 0x80, v2
	s_cbranch_execz .LBB6_3916
; %bb.3909:                             ;   in Loop: Header=BB6_130 Depth=2
	v_and_b32_e32 v1, 0x7c000000, v16
	v_bfe_u32 v4, v16, 24, 2
	s_delay_alu instid0(VALU_DEP_2) | instskip(SKIP_1) | instid1(SALU_CYCLE_1)
	v_cmp_ne_u32_e32 vcc_lo, 0x7c000000, v1
                                        ; implicit-def: $vgpr1
	s_and_saveexec_b32 s11, vcc_lo
	s_xor_b32 s11, exec_lo, s11
	s_cbranch_execz .LBB6_3913
; %bb.3910:                             ;   in Loop: Header=BB6_130 Depth=2
	v_bfe_u32 v1, v16, 26, 5
	s_mov_b32 s43, exec_lo
	s_delay_alu instid0(VALU_DEP_1)
	v_cmpx_eq_u32_e32 0, v1
; %bb.3911:                             ;   in Loop: Header=BB6_130 Depth=2
	v_clz_i32_u32_e32 v1, v4
	s_delay_alu instid0(VALU_DEP_1) | instskip(NEXT) | instid1(VALU_DEP_1)
	v_min_u32_e32 v1, 32, v1
	v_subrev_nc_u32_e32 v4, 29, v1
	s_delay_alu instid0(VALU_DEP_1) | instskip(NEXT) | instid1(VALU_DEP_1)
	v_lshlrev_b64_e32 v[4:5], v4, v[2:3]
	v_dual_sub_nc_u32 v1, 30, v1 :: v_dual_bitop2_b32 v4, 3, v4 bitop3:0x40
; %bb.3912:                             ;   in Loop: Header=BB6_130 Depth=2
	s_or_b32 exec_lo, exec_lo, s43
	v_and_b32_e32 v5, 0x80000000, v16
	s_delay_alu instid0(VALU_DEP_1) | instskip(NEXT) | instid1(VALU_DEP_1)
	v_lshl_add_u32 v1, v1, 23, v5
	v_lshl_or_b32 v1, v4, 21, v1
                                        ; implicit-def: $vgpr4
	s_delay_alu instid0(VALU_DEP_1)
	v_add_nc_u32_e32 v1, 0x38000000, v1
.LBB6_3913:                             ;   in Loop: Header=BB6_130 Depth=2
	s_and_not1_saveexec_b32 s43, s11
; %bb.3914:                             ;   in Loop: Header=BB6_130 Depth=2
	v_cmp_lt_i32_e64 s11, -1, v16
	v_cmp_eq_u32_e32 vcc_lo, 0, v4
	s_delay_alu instid0(VALU_DEP_2) | instskip(NEXT) | instid1(VALU_DEP_1)
	v_cndmask_b32_e64 v1, 0xff800000, v62, s11
	v_cndmask_b32_e32 v1, 0x7f800001, v1, vcc_lo
; %bb.3915:                             ;   in Loop: Header=BB6_130 Depth=2
	s_or_b32 exec_lo, exec_lo, s43
.LBB6_3916:                             ;   in Loop: Header=BB6_130 Depth=2
	s_delay_alu instid0(SALU_CYCLE_1)
	s_or_b32 exec_lo, exec_lo, s42
.LBB6_3917:                             ;   in Loop: Header=BB6_130 Depth=2
	s_delay_alu instid0(SALU_CYCLE_1) | instskip(NEXT) | instid1(SALU_CYCLE_1)
	s_or_b32 exec_lo, exec_lo, s15
	s_mov_b32 s15, exec_lo
	v_cmpx_lt_u32_e32 0xffffff, v12
	s_cbranch_execz .LBB6_3927
; %bb.3918:                             ;   in Loop: Header=BB6_130 Depth=2
	v_bfrev_b32_e32 v3, 1
	s_mov_b32 s42, exec_lo
	v_cmpx_ne_u32_e32 0x80, v0
	s_cbranch_execz .LBB6_3926
; %bb.3919:                             ;   in Loop: Header=BB6_130 Depth=2
	v_and_b32_e32 v3, 0x7c000000, v12
	v_bfe_u32 v4, v12, 24, 2
	s_delay_alu instid0(VALU_DEP_2) | instskip(SKIP_1) | instid1(SALU_CYCLE_1)
	v_cmp_ne_u32_e32 vcc_lo, 0x7c000000, v3
                                        ; implicit-def: $vgpr3
	s_and_saveexec_b32 s11, vcc_lo
	s_xor_b32 s11, exec_lo, s11
	s_cbranch_execz .LBB6_3923
; %bb.3920:                             ;   in Loop: Header=BB6_130 Depth=2
	v_bfe_u32 v3, v12, 26, 5
	s_mov_b32 s43, exec_lo
	s_delay_alu instid0(VALU_DEP_1)
	v_cmpx_eq_u32_e32 0, v3
; %bb.3921:                             ;   in Loop: Header=BB6_130 Depth=2
	v_clz_i32_u32_e32 v3, v4
	s_delay_alu instid0(VALU_DEP_1) | instskip(NEXT) | instid1(VALU_DEP_1)
	v_min_u32_e32 v3, 32, v3
	v_subrev_nc_u32_e32 v4, 29, v3
	s_delay_alu instid0(VALU_DEP_1) | instskip(NEXT) | instid1(VALU_DEP_1)
	v_lshlrev_b64_e32 v[4:5], v4, v[0:1]
	v_dual_sub_nc_u32 v3, 30, v3 :: v_dual_bitop2_b32 v4, 3, v4 bitop3:0x40
; %bb.3922:                             ;   in Loop: Header=BB6_130 Depth=2
	s_or_b32 exec_lo, exec_lo, s43
	v_and_b32_e32 v5, 0x80000000, v12
	s_delay_alu instid0(VALU_DEP_1) | instskip(NEXT) | instid1(VALU_DEP_1)
	v_lshl_add_u32 v3, v3, 23, v5
	v_lshl_or_b32 v3, v4, 21, v3
                                        ; implicit-def: $vgpr4
	s_delay_alu instid0(VALU_DEP_1)
	v_add_nc_u32_e32 v3, 0x38000000, v3
.LBB6_3923:                             ;   in Loop: Header=BB6_130 Depth=2
	s_and_not1_saveexec_b32 s43, s11
; %bb.3924:                             ;   in Loop: Header=BB6_130 Depth=2
	v_cmp_lt_i32_e64 s11, -1, v12
	v_cmp_eq_u32_e32 vcc_lo, 0, v4
	s_delay_alu instid0(VALU_DEP_2) | instskip(NEXT) | instid1(VALU_DEP_1)
	v_cndmask_b32_e64 v3, 0xff800000, v62, s11
	v_cndmask_b32_e32 v3, 0x7f800001, v3, vcc_lo
; %bb.3925:                             ;   in Loop: Header=BB6_130 Depth=2
	s_or_b32 exec_lo, exec_lo, s43
.LBB6_3926:                             ;   in Loop: Header=BB6_130 Depth=2
	s_delay_alu instid0(SALU_CYCLE_1)
	s_or_b32 exec_lo, exec_lo, s42
.LBB6_3927:                             ;   in Loop: Header=BB6_130 Depth=2
	s_delay_alu instid0(SALU_CYCLE_1) | instskip(NEXT) | instid1(VALU_DEP_1)
	s_or_b32 exec_lo, exec_lo, s15
	v_dual_max_num_f32 v3, v3, v3 :: v_dual_max_num_f32 v1, v1, v1
	s_mov_b32 s11, 0
	s_delay_alu instid0(VALU_DEP_1)
	v_max_num_f32_e32 v1, v1, v3
.LBB6_3928:                             ;   in Loop: Header=BB6_130 Depth=2
	s_and_b32 vcc_lo, exec_lo, s11
	s_cbranch_vccz .LBB6_3950
; %bb.3929:                             ;   in Loop: Header=BB6_130 Depth=2
	v_dual_mov_b32 v3, 0 :: v_dual_mov_b32 v1, 0
	s_and_saveexec_b32 s11, s10
	s_cbranch_execz .LBB6_3939
; %bb.3930:                             ;   in Loop: Header=BB6_130 Depth=2
	v_bfrev_b32_e32 v1, 1
	s_mov_b32 s15, exec_lo
	v_cmpx_ne_u32_e32 0x80, v2
	s_cbranch_execz .LBB6_3938
; %bb.3931:                             ;   in Loop: Header=BB6_130 Depth=2
	v_and_b32_e32 v1, 0x7c000000, v16
	v_bfe_u32 v4, v16, 24, 2
	s_delay_alu instid0(VALU_DEP_2) | instskip(SKIP_1) | instid1(SALU_CYCLE_1)
	v_cmp_ne_u32_e32 vcc_lo, 0x7c000000, v1
                                        ; implicit-def: $vgpr1
	s_and_saveexec_b32 s10, vcc_lo
	s_xor_b32 s10, exec_lo, s10
	s_cbranch_execz .LBB6_3935
; %bb.3932:                             ;   in Loop: Header=BB6_130 Depth=2
	v_bfe_u32 v1, v16, 26, 5
	s_mov_b32 s42, exec_lo
	s_delay_alu instid0(VALU_DEP_1)
	v_cmpx_eq_u32_e32 0, v1
; %bb.3933:                             ;   in Loop: Header=BB6_130 Depth=2
	v_clz_i32_u32_e32 v1, v4
	s_delay_alu instid0(VALU_DEP_1) | instskip(NEXT) | instid1(VALU_DEP_1)
	v_min_u32_e32 v1, 32, v1
	v_subrev_nc_u32_e32 v4, 29, v1
	s_delay_alu instid0(VALU_DEP_1) | instskip(NEXT) | instid1(VALU_DEP_1)
	v_lshlrev_b64_e32 v[4:5], v4, v[2:3]
	v_dual_sub_nc_u32 v1, 30, v1 :: v_dual_bitop2_b32 v4, 3, v4 bitop3:0x40
; %bb.3934:                             ;   in Loop: Header=BB6_130 Depth=2
	s_or_b32 exec_lo, exec_lo, s42
	v_and_b32_e32 v2, 0x80000000, v16
	s_delay_alu instid0(VALU_DEP_1) | instskip(NEXT) | instid1(VALU_DEP_1)
	v_lshl_add_u32 v1, v1, 23, v2
	v_lshl_or_b32 v1, v4, 21, v1
                                        ; implicit-def: $vgpr4
	s_delay_alu instid0(VALU_DEP_1)
	v_add_nc_u32_e32 v1, 0x38000000, v1
.LBB6_3935:                             ;   in Loop: Header=BB6_130 Depth=2
	s_and_not1_saveexec_b32 s42, s10
; %bb.3936:                             ;   in Loop: Header=BB6_130 Depth=2
	v_cmp_lt_i32_e64 s10, -1, v16
	v_cmp_eq_u32_e32 vcc_lo, 0, v4
	s_delay_alu instid0(VALU_DEP_2) | instskip(NEXT) | instid1(VALU_DEP_1)
	v_cndmask_b32_e64 v1, 0xff800000, v62, s10
	v_cndmask_b32_e32 v1, 0x7f800001, v1, vcc_lo
; %bb.3937:                             ;   in Loop: Header=BB6_130 Depth=2
	s_or_b32 exec_lo, exec_lo, s42
.LBB6_3938:                             ;   in Loop: Header=BB6_130 Depth=2
	s_delay_alu instid0(SALU_CYCLE_1)
	s_or_b32 exec_lo, exec_lo, s15
.LBB6_3939:                             ;   in Loop: Header=BB6_130 Depth=2
	s_delay_alu instid0(SALU_CYCLE_1) | instskip(NEXT) | instid1(SALU_CYCLE_1)
	s_or_b32 exec_lo, exec_lo, s11
	s_mov_b32 s11, exec_lo
	v_cmpx_lt_u32_e32 0xffffff, v12
	s_cbranch_execz .LBB6_3949
; %bb.3940:                             ;   in Loop: Header=BB6_130 Depth=2
	v_bfrev_b32_e32 v3, 1
	s_mov_b32 s15, exec_lo
	v_cmpx_ne_u32_e32 0x80, v0
	s_cbranch_execz .LBB6_3948
; %bb.3941:                             ;   in Loop: Header=BB6_130 Depth=2
	v_and_b32_e32 v3, 0x7c000000, v12
	v_bfe_u32 v2, v12, 24, 2
	s_delay_alu instid0(VALU_DEP_2) | instskip(SKIP_1) | instid1(SALU_CYCLE_1)
	v_cmp_ne_u32_e32 vcc_lo, 0x7c000000, v3
                                        ; implicit-def: $vgpr3
	s_and_saveexec_b32 s10, vcc_lo
	s_xor_b32 s10, exec_lo, s10
	s_cbranch_execz .LBB6_3945
; %bb.3942:                             ;   in Loop: Header=BB6_130 Depth=2
	v_bfe_u32 v3, v12, 26, 5
	s_mov_b32 s42, exec_lo
	s_delay_alu instid0(VALU_DEP_1)
	v_cmpx_eq_u32_e32 0, v3
; %bb.3943:                             ;   in Loop: Header=BB6_130 Depth=2
	v_clz_i32_u32_e32 v2, v2
	s_delay_alu instid0(VALU_DEP_1) | instskip(NEXT) | instid1(VALU_DEP_1)
	v_min_u32_e32 v4, 32, v2
	v_subrev_nc_u32_e32 v2, 29, v4
	s_delay_alu instid0(VALU_DEP_1) | instskip(NEXT) | instid1(VALU_DEP_1)
	v_lshlrev_b64_e32 v[2:3], v2, v[0:1]
	v_dual_sub_nc_u32 v3, 30, v4 :: v_dual_bitop2_b32 v2, 3, v2 bitop3:0x40
; %bb.3944:                             ;   in Loop: Header=BB6_130 Depth=2
	s_or_b32 exec_lo, exec_lo, s42
	v_and_b32_e32 v0, 0x80000000, v12
	s_delay_alu instid0(VALU_DEP_1) | instskip(NEXT) | instid1(VALU_DEP_1)
	v_lshl_add_u32 v0, v3, 23, v0
	v_lshl_or_b32 v0, v2, 21, v0
                                        ; implicit-def: $vgpr2
	s_delay_alu instid0(VALU_DEP_1)
	v_add_nc_u32_e32 v3, 0x38000000, v0
.LBB6_3945:                             ;   in Loop: Header=BB6_130 Depth=2
	s_and_not1_saveexec_b32 s42, s10
; %bb.3946:                             ;   in Loop: Header=BB6_130 Depth=2
	v_cmp_lt_i32_e64 s10, -1, v12
	v_cmp_eq_u32_e32 vcc_lo, 0, v2
	s_delay_alu instid0(VALU_DEP_2) | instskip(NEXT) | instid1(VALU_DEP_1)
	v_cndmask_b32_e64 v0, 0xff800000, v62, s10
	v_cndmask_b32_e32 v3, 0x7f800001, v0, vcc_lo
; %bb.3947:                             ;   in Loop: Header=BB6_130 Depth=2
	s_or_b32 exec_lo, exec_lo, s42
.LBB6_3948:                             ;   in Loop: Header=BB6_130 Depth=2
	s_delay_alu instid0(SALU_CYCLE_1)
	s_or_b32 exec_lo, exec_lo, s15
.LBB6_3949:                             ;   in Loop: Header=BB6_130 Depth=2
	s_delay_alu instid0(SALU_CYCLE_1) | instskip(NEXT) | instid1(VALU_DEP_1)
	s_or_b32 exec_lo, exec_lo, s11
	v_dual_max_num_f32 v0, v3, v3 :: v_dual_max_num_f32 v1, v1, v1
	s_delay_alu instid0(VALU_DEP_1)
	v_min_num_f32_e32 v1, v1, v0
.LBB6_3950:                             ;   in Loop: Header=BB6_130 Depth=2
	s_delay_alu instid0(VALU_DEP_1) | instskip(SKIP_3) | instid1(VALU_DEP_2)
	v_and_b32_e32 v2, 0x7f800000, v1
	v_dual_mov_b32 v3, v25 :: v_dual_lshrrev_b32 v0, 24, v1
	v_and_b32_e32 v24, 0x7fffff, v1
                                        ; implicit-def: $vgpr112
	s_mov_b32 s10, exec_lo
	v_cmpx_ne_u64_e32 0x7f800000, v[2:3]
	s_xor_b32 s11, exec_lo, s10
	s_cbranch_execz .LBB6_3964
; %bb.3951:                             ;   in Loop: Header=BB6_130 Depth=2
	v_and_b32_e32 v2, 0x7fffffff, v1
	v_mov_b32_e32 v3, v25
	v_and_b32_e32 v4, 0x80, v0
                                        ; implicit-def: $vgpr112
	s_mov_b32 s10, exec_lo
	s_delay_alu instid0(VALU_DEP_2)
	v_cmpx_gt_u64_e32 0x47600001, v[2:3]
	s_xor_b32 s15, exec_lo, s10
	s_cbranch_execz .LBB6_3961
; %bb.3952:                             ;   in Loop: Header=BB6_130 Depth=2
	v_mov_b32_e32 v112, 0
	s_mov_b32 s42, exec_lo
	v_cmpx_ne_u32_e32 0, v1
	s_cbranch_execz .LBB6_3960
; %bb.3953:                             ;   in Loop: Header=BB6_130 Depth=2
	v_bfe_u32 v5, v1, 23, 8
	v_or_b32_e32 v1, 0x800000, v24
	s_delay_alu instid0(VALU_DEP_2) | instskip(SKIP_2) | instid1(VALU_DEP_2)
	v_cmp_gt_u32_e64 s10, 0x72, v5
	v_sub_nc_u32_e32 v0, 0x71, v5
	v_cmp_eq_u32_e32 vcc_lo, 0, v5
	v_cndmask_b32_e64 v0, 0, v0, s10
	v_cndmask_b32_e32 v24, v1, v24, vcc_lo
	s_delay_alu instid0(VALU_DEP_2) | instskip(NEXT) | instid1(VALU_DEP_1)
	v_cndmask_b32_e64 v112, v0, 0x70, vcc_lo
	v_dual_add_nc_u32 v0, 21, v112 :: v_dual_add_nc_u32 v2, 20, v112
	s_delay_alu instid0(VALU_DEP_1) | instskip(NEXT) | instid1(VALU_DEP_2)
	v_lshlrev_b64_e64 v[0:1], v0, -1
	v_lshlrev_b64_e64 v[2:3], v2, 1
	s_delay_alu instid0(VALU_DEP_2) | instskip(NEXT) | instid1(VALU_DEP_3)
	v_bfi_b32 v1, v1, 0, 0
	v_bfi_b32 v0, v0, 0, v24
	s_delay_alu instid0(VALU_DEP_1) | instskip(SKIP_1) | instid1(VALU_DEP_1)
	v_cmp_eq_u64_e64 s10, v[0:1], v[2:3]
	v_lshrrev_b64 v[0:1], v112, v[24:25]
	v_mov_b64_e32 v[2:3], v[0:1]
	s_and_saveexec_b32 s43, s10
; %bb.3954:                             ;   in Loop: Header=BB6_130 Depth=2
	v_bfe_u32 v24, v0, 21, 1
	s_delay_alu instid0(VALU_DEP_1) | instskip(NEXT) | instid1(VALU_DEP_1)
	v_add_nc_u64_e32 v[2:3], v[0:1], v[24:25]
	v_add_nc_u64_e32 v[2:3], -1, v[2:3]
; %bb.3955:                             ;   in Loop: Header=BB6_130 Depth=2
	s_or_b32 exec_lo, exec_lo, s43
	v_add_nc_u32_e32 v1, 0xffffff81, v5
	v_lshrrev_b32_e32 v3, 23, v0
	s_mov_b32 s10, exec_lo
	s_delay_alu instid0(VALU_DEP_2) | instskip(NEXT) | instid1(VALU_DEP_1)
	v_cndmask_b32_e64 v1, v1, 0xffffff82, vcc_lo
	v_add3_u32 v5, v112, v1, v3
	v_and_b32_e32 v1, 0x1fffff, v2
                                        ; implicit-def: $vgpr2
	s_delay_alu instid0(VALU_DEP_1) | instskip(NEXT) | instid1(VALU_DEP_1)
	v_dual_add_nc_u32 v3, 14, v5 :: v_dual_add_nc_u32 v24, v1, v0
                                        ; implicit-def: $vgpr0_vgpr1
	v_cmpx_ne_u32_e32 0, v3
	s_xor_b32 s10, exec_lo, s10
; %bb.3956:                             ;   in Loop: Header=BB6_130 Depth=2
	s_delay_alu instid0(VALU_DEP_2) | instskip(SKIP_1) | instid1(VALU_DEP_1)
	v_cmp_lt_u64_e32 vcc_lo, 0xffffff, v[24:25]
	v_add_nc_u32_e32 v0, 15, v5
	v_cndmask_b32_e32 v2, v3, v0, vcc_lo
	v_cndmask_b32_e64 v0, 0, 1, vcc_lo
	s_delay_alu instid0(VALU_DEP_1)
	v_lshrrev_b64 v[0:1], v0, v[24:25]
; %bb.3957:                             ;   in Loop: Header=BB6_130 Depth=2
	s_and_not1_saveexec_b32 s10, s10
; %bb.3958:                             ;   in Loop: Header=BB6_130 Depth=2
	v_mov_b64_e32 v[0:1], v[24:25]
	v_bfe_u32 v2, v24, 23, 1
; %bb.3959:                             ;   in Loop: Header=BB6_130 Depth=2
	s_or_b32 exec_lo, exec_lo, s10
	s_delay_alu instid0(VALU_DEP_2) | instskip(NEXT) | instid1(VALU_DEP_2)
	v_lshrrev_b64 v[0:1], 21, v[0:1]
	v_cmp_gt_i32_e32 vcc_lo, 32, v2
	v_min_i32_e32 v3, 31, v2
	v_cmp_eq_u32_e64 s10, 0, v2
	s_delay_alu instid0(VALU_DEP_2) | instskip(SKIP_1) | instid1(VALU_DEP_2)
	v_dual_cndmask_b32 v1, 0, v1, vcc_lo :: v_dual_lshlrev_b32 v3, 2, v3
	v_cndmask_b32_e32 v0, 3, v0, vcc_lo
	v_and_b32_e32 v3, 0xfc, v3
	s_delay_alu instid0(VALU_DEP_2) | instskip(NEXT) | instid1(VALU_DEP_2)
	v_cmp_eq_u64_e32 vcc_lo, 0, v[0:1]
	v_and_or_b32 v0, v0, 3, v3
	s_and_b32 s10, s10, vcc_lo
	s_delay_alu instid0(VALU_DEP_1) | instid1(SALU_CYCLE_1)
	v_cndmask_b32_e64 v0, v0, 0, s10
	s_delay_alu instid0(VALU_DEP_1)
	v_or_b32_e32 v112, v0, v4
.LBB6_3960:                             ;   in Loop: Header=BB6_130 Depth=2
	s_or_b32 exec_lo, exec_lo, s42
                                        ; implicit-def: $vgpr4
.LBB6_3961:                             ;   in Loop: Header=BB6_130 Depth=2
	s_and_not1_saveexec_b32 s10, s15
; %bb.3962:                             ;   in Loop: Header=BB6_130 Depth=2
	v_or_b32_e32 v112, 0x7b, v4
; %bb.3963:                             ;   in Loop: Header=BB6_130 Depth=2
	s_or_b32 exec_lo, exec_lo, s10
                                        ; implicit-def: $vgpr1
                                        ; implicit-def: $vgpr0
.LBB6_3964:                             ;   in Loop: Header=BB6_130 Depth=2
	s_and_not1_saveexec_b32 s10, s11
	s_cbranch_execz .LBB6_3970
; %bb.3965:                             ;   in Loop: Header=BB6_130 Depth=2
	s_mov_b32 s11, exec_lo
                                        ; implicit-def: $vgpr112
	v_cmpx_ne_u64_e32 0, v[24:25]
	s_xor_b32 s11, exec_lo, s11
; %bb.3966:                             ;   in Loop: Header=BB6_130 Depth=2
	v_or_b32_e32 v112, 0x7f, v0
                                        ; implicit-def: $vgpr1
; %bb.3967:                             ;   in Loop: Header=BB6_130 Depth=2
	s_and_not1_saveexec_b32 s11, s11
; %bb.3968:                             ;   in Loop: Header=BB6_130 Depth=2
	v_cmp_lt_i32_e32 vcc_lo, -1, v1
	v_cndmask_b32_e32 v112, 0xfc, v93, vcc_lo
; %bb.3969:                             ;   in Loop: Header=BB6_130 Depth=2
	s_or_b32 exec_lo, exec_lo, s11
.LBB6_3970:                             ;   in Loop: Header=BB6_130 Depth=2
	s_delay_alu instid0(SALU_CYCLE_1) | instskip(SKIP_4) | instid1(VALU_DEP_3)
	s_or_b32 exec_lo, exec_lo, s10
	v_and_b32_e32 v2, 0xff, v17
	v_dual_mov_b32 v24, v17 :: v_dual_mov_b32 v0, v13
	v_mov_b32_e32 v1, v25
	s_mov_b32 s11, -1
	v_cmp_ne_u16_e64 s10, 0, v2
	s_and_not1_b32 vcc_lo, exec_lo, s14
                                        ; implicit-def: $vgpr4
	s_cbranch_vccnz .LBB6_3992
; %bb.3971:                             ;   in Loop: Header=BB6_130 Depth=2
	v_dual_mov_b32 v4, 0 :: v_dual_mov_b32 v3, 0
	s_and_saveexec_b32 s15, s10
	s_cbranch_execz .LBB6_3981
; %bb.3972:                             ;   in Loop: Header=BB6_130 Depth=2
	v_bfrev_b32_e32 v3, 1
	s_mov_b32 s42, exec_lo
	v_cmpx_ne_u16_e32 0x80, v2
	s_cbranch_execz .LBB6_3980
; %bb.3973:                             ;   in Loop: Header=BB6_130 Depth=2
	v_and_b32_e32 v3, 0x7c, v17
	v_and_b32_e32 v5, 3, v17
	s_delay_alu instid0(VALU_DEP_2) | instskip(SKIP_1) | instid1(SALU_CYCLE_1)
	v_cmp_ne_u32_e32 vcc_lo, 0x7c, v3
                                        ; implicit-def: $vgpr3
	s_and_saveexec_b32 s11, vcc_lo
	s_xor_b32 s11, exec_lo, s11
	s_cbranch_execz .LBB6_3977
; %bb.3974:                             ;   in Loop: Header=BB6_130 Depth=2
	v_bfe_u32 v3, v17, 2, 5
	s_mov_b32 s43, exec_lo
	s_delay_alu instid0(VALU_DEP_1)
	v_cmpx_eq_u32_e32 0, v3
; %bb.3975:                             ;   in Loop: Header=BB6_130 Depth=2
	v_clz_i32_u32_e32 v3, v5
	s_delay_alu instid0(VALU_DEP_1) | instskip(NEXT) | instid1(VALU_DEP_1)
	v_min_u32_e32 v3, 32, v3
	v_subrev_nc_u32_e32 v5, 29, v3
	s_delay_alu instid0(VALU_DEP_1) | instskip(NEXT) | instid1(VALU_DEP_1)
	v_lshlrev_b64_e32 v[114:115], v5, v[24:25]
	v_dual_sub_nc_u32 v3, 30, v3 :: v_dual_bitop2_b32 v5, 3, v114 bitop3:0x40
; %bb.3976:                             ;   in Loop: Header=BB6_130 Depth=2
	s_or_b32 exec_lo, exec_lo, s43
	v_lshlrev_b32_e32 v113, 24, v17
	s_delay_alu instid0(VALU_DEP_1) | instskip(NEXT) | instid1(VALU_DEP_1)
	v_and_b32_e32 v113, 0x80000000, v113
	v_lshl_add_u32 v3, v3, 23, v113
	s_delay_alu instid0(VALU_DEP_1) | instskip(NEXT) | instid1(VALU_DEP_1)
	v_lshl_or_b32 v3, v5, 21, v3
                                        ; implicit-def: $vgpr5
	v_add_nc_u32_e32 v3, 0x38000000, v3
.LBB6_3977:                             ;   in Loop: Header=BB6_130 Depth=2
	s_and_not1_saveexec_b32 s43, s11
; %bb.3978:                             ;   in Loop: Header=BB6_130 Depth=2
	v_bfe_i32 v3, v17, 0, 8
	v_cmp_eq_u32_e32 vcc_lo, 0, v5
	s_delay_alu instid0(VALU_DEP_2) | instskip(NEXT) | instid1(VALU_DEP_1)
	v_cmp_lt_i16_e64 s11, -1, v3
	v_cndmask_b32_e64 v3, 0xff800000, v62, s11
	s_delay_alu instid0(VALU_DEP_1)
	v_cndmask_b32_e32 v3, 0x7f800001, v3, vcc_lo
; %bb.3979:                             ;   in Loop: Header=BB6_130 Depth=2
	s_or_b32 exec_lo, exec_lo, s43
.LBB6_3980:                             ;   in Loop: Header=BB6_130 Depth=2
	s_delay_alu instid0(SALU_CYCLE_1)
	s_or_b32 exec_lo, exec_lo, s42
.LBB6_3981:                             ;   in Loop: Header=BB6_130 Depth=2
	s_delay_alu instid0(SALU_CYCLE_1) | instskip(SKIP_2) | instid1(VALU_DEP_1)
	s_or_b32 exec_lo, exec_lo, s15
	v_and_b32_e32 v5, 0xff, v13
	s_mov_b32 s15, exec_lo
	v_cmpx_ne_u16_e32 0, v5
	s_cbranch_execz .LBB6_3991
; %bb.3982:                             ;   in Loop: Header=BB6_130 Depth=2
	v_bfrev_b32_e32 v4, 1
	s_mov_b32 s42, exec_lo
	v_cmpx_ne_u16_e32 0x80, v5
	s_cbranch_execz .LBB6_3990
; %bb.3983:                             ;   in Loop: Header=BB6_130 Depth=2
	v_and_b32_e32 v4, 0x7c, v13
	v_and_b32_e32 v5, 3, v13
	s_delay_alu instid0(VALU_DEP_2) | instskip(SKIP_1) | instid1(SALU_CYCLE_1)
	v_cmp_ne_u32_e32 vcc_lo, 0x7c, v4
                                        ; implicit-def: $vgpr4
	s_and_saveexec_b32 s11, vcc_lo
	s_xor_b32 s11, exec_lo, s11
	s_cbranch_execz .LBB6_3987
; %bb.3984:                             ;   in Loop: Header=BB6_130 Depth=2
	v_bfe_u32 v4, v13, 2, 5
	s_mov_b32 s43, exec_lo
	s_delay_alu instid0(VALU_DEP_1)
	v_cmpx_eq_u32_e32 0, v4
; %bb.3985:                             ;   in Loop: Header=BB6_130 Depth=2
	v_clz_i32_u32_e32 v4, v5
	s_delay_alu instid0(VALU_DEP_1) | instskip(NEXT) | instid1(VALU_DEP_1)
	v_min_u32_e32 v4, 32, v4
	v_subrev_nc_u32_e32 v5, 29, v4
	s_delay_alu instid0(VALU_DEP_1) | instskip(NEXT) | instid1(VALU_DEP_1)
	v_lshlrev_b64_e32 v[114:115], v5, v[0:1]
	v_dual_sub_nc_u32 v4, 30, v4 :: v_dual_bitop2_b32 v5, 3, v114 bitop3:0x40
; %bb.3986:                             ;   in Loop: Header=BB6_130 Depth=2
	s_or_b32 exec_lo, exec_lo, s43
	v_lshlrev_b32_e32 v113, 24, v13
	s_delay_alu instid0(VALU_DEP_1) | instskip(NEXT) | instid1(VALU_DEP_1)
	v_and_b32_e32 v113, 0x80000000, v113
	v_lshl_add_u32 v4, v4, 23, v113
	s_delay_alu instid0(VALU_DEP_1) | instskip(NEXT) | instid1(VALU_DEP_1)
	v_lshl_or_b32 v4, v5, 21, v4
                                        ; implicit-def: $vgpr5
	v_add_nc_u32_e32 v4, 0x38000000, v4
.LBB6_3987:                             ;   in Loop: Header=BB6_130 Depth=2
	s_and_not1_saveexec_b32 s43, s11
; %bb.3988:                             ;   in Loop: Header=BB6_130 Depth=2
	v_bfe_i32 v4, v13, 0, 8
	v_cmp_eq_u32_e32 vcc_lo, 0, v5
	s_delay_alu instid0(VALU_DEP_2) | instskip(NEXT) | instid1(VALU_DEP_1)
	v_cmp_lt_i16_e64 s11, -1, v4
	v_cndmask_b32_e64 v4, 0xff800000, v62, s11
	s_delay_alu instid0(VALU_DEP_1)
	v_cndmask_b32_e32 v4, 0x7f800001, v4, vcc_lo
; %bb.3989:                             ;   in Loop: Header=BB6_130 Depth=2
	s_or_b32 exec_lo, exec_lo, s43
.LBB6_3990:                             ;   in Loop: Header=BB6_130 Depth=2
	s_delay_alu instid0(SALU_CYCLE_1)
	s_or_b32 exec_lo, exec_lo, s42
.LBB6_3991:                             ;   in Loop: Header=BB6_130 Depth=2
	s_delay_alu instid0(SALU_CYCLE_1) | instskip(NEXT) | instid1(VALU_DEP_1)
	s_or_b32 exec_lo, exec_lo, s15
	v_dual_max_num_f32 v4, v4, v4 :: v_dual_max_num_f32 v3, v3, v3
	s_mov_b32 s11, 0
	s_delay_alu instid0(VALU_DEP_1)
	v_max_num_f32_e32 v4, v3, v4
.LBB6_3992:                             ;   in Loop: Header=BB6_130 Depth=2
	s_and_b32 vcc_lo, exec_lo, s11
	s_cbranch_vccz .LBB6_4014
; %bb.3993:                             ;   in Loop: Header=BB6_130 Depth=2
	v_dual_mov_b32 v4, 0 :: v_dual_mov_b32 v3, 0
	s_and_saveexec_b32 s11, s10
	s_cbranch_execz .LBB6_4003
; %bb.3994:                             ;   in Loop: Header=BB6_130 Depth=2
	v_bfrev_b32_e32 v3, 1
	s_mov_b32 s15, exec_lo
	v_cmpx_ne_u16_e32 0x80, v2
	s_cbranch_execz .LBB6_4002
; %bb.3995:                             ;   in Loop: Header=BB6_130 Depth=2
	v_and_b32_e32 v3, 0x7c, v17
	v_and_b32_e32 v2, 3, v17
	s_delay_alu instid0(VALU_DEP_2) | instskip(SKIP_1) | instid1(SALU_CYCLE_1)
	v_cmp_ne_u32_e32 vcc_lo, 0x7c, v3
                                        ; implicit-def: $vgpr3
	s_and_saveexec_b32 s10, vcc_lo
	s_xor_b32 s10, exec_lo, s10
	s_cbranch_execz .LBB6_3999
; %bb.3996:                             ;   in Loop: Header=BB6_130 Depth=2
	v_bfe_u32 v3, v17, 2, 5
	s_mov_b32 s42, exec_lo
	s_delay_alu instid0(VALU_DEP_1)
	v_cmpx_eq_u32_e32 0, v3
; %bb.3997:                             ;   in Loop: Header=BB6_130 Depth=2
	v_clz_i32_u32_e32 v2, v2
	s_delay_alu instid0(VALU_DEP_1) | instskip(NEXT) | instid1(VALU_DEP_1)
	v_min_u32_e32 v5, 32, v2
	v_subrev_nc_u32_e32 v2, 29, v5
	s_delay_alu instid0(VALU_DEP_1) | instskip(NEXT) | instid1(VALU_DEP_1)
	v_lshlrev_b64_e32 v[2:3], v2, v[24:25]
	v_dual_sub_nc_u32 v3, 30, v5 :: v_dual_bitop2_b32 v2, 3, v2 bitop3:0x40
; %bb.3998:                             ;   in Loop: Header=BB6_130 Depth=2
	s_or_b32 exec_lo, exec_lo, s42
	v_lshlrev_b32_e32 v5, 24, v17
	s_delay_alu instid0(VALU_DEP_1) | instskip(NEXT) | instid1(VALU_DEP_1)
	v_and_b32_e32 v5, 0x80000000, v5
	v_lshl_add_u32 v3, v3, 23, v5
	s_delay_alu instid0(VALU_DEP_1) | instskip(NEXT) | instid1(VALU_DEP_1)
	v_lshl_or_b32 v2, v2, 21, v3
	v_add_nc_u32_e32 v3, 0x38000000, v2
                                        ; implicit-def: $vgpr2
.LBB6_3999:                             ;   in Loop: Header=BB6_130 Depth=2
	s_and_not1_saveexec_b32 s42, s10
; %bb.4000:                             ;   in Loop: Header=BB6_130 Depth=2
	v_bfe_i32 v3, v17, 0, 8
	v_cmp_eq_u32_e32 vcc_lo, 0, v2
	s_delay_alu instid0(VALU_DEP_2) | instskip(NEXT) | instid1(VALU_DEP_1)
	v_cmp_lt_i16_e64 s10, -1, v3
	v_cndmask_b32_e64 v2, 0xff800000, v62, s10
	s_delay_alu instid0(VALU_DEP_1)
	v_cndmask_b32_e32 v3, 0x7f800001, v2, vcc_lo
; %bb.4001:                             ;   in Loop: Header=BB6_130 Depth=2
	s_or_b32 exec_lo, exec_lo, s42
.LBB6_4002:                             ;   in Loop: Header=BB6_130 Depth=2
	s_delay_alu instid0(SALU_CYCLE_1)
	s_or_b32 exec_lo, exec_lo, s15
.LBB6_4003:                             ;   in Loop: Header=BB6_130 Depth=2
	s_delay_alu instid0(SALU_CYCLE_1) | instskip(SKIP_2) | instid1(VALU_DEP_1)
	s_or_b32 exec_lo, exec_lo, s11
	v_and_b32_e32 v2, 0xff, v13
	s_mov_b32 s11, exec_lo
	v_cmpx_ne_u16_e32 0, v2
	s_cbranch_execz .LBB6_4013
; %bb.4004:                             ;   in Loop: Header=BB6_130 Depth=2
	v_bfrev_b32_e32 v4, 1
	s_mov_b32 s15, exec_lo
	v_cmpx_ne_u16_e32 0x80, v2
	s_cbranch_execz .LBB6_4012
; %bb.4005:                             ;   in Loop: Header=BB6_130 Depth=2
	v_and_b32_e32 v4, 0x7c, v13
	v_and_b32_e32 v2, 3, v13
	s_delay_alu instid0(VALU_DEP_2) | instskip(SKIP_1) | instid1(SALU_CYCLE_1)
	v_cmp_ne_u32_e32 vcc_lo, 0x7c, v4
                                        ; implicit-def: $vgpr4
	s_and_saveexec_b32 s10, vcc_lo
	s_xor_b32 s10, exec_lo, s10
	s_cbranch_execz .LBB6_4009
; %bb.4006:                             ;   in Loop: Header=BB6_130 Depth=2
	v_bfe_u32 v4, v13, 2, 5
	s_mov_b32 s42, exec_lo
	s_delay_alu instid0(VALU_DEP_1)
	v_cmpx_eq_u32_e32 0, v4
; %bb.4007:                             ;   in Loop: Header=BB6_130 Depth=2
	v_clz_i32_u32_e32 v2, v2
	s_delay_alu instid0(VALU_DEP_1) | instskip(NEXT) | instid1(VALU_DEP_1)
	v_min_u32_e32 v2, 32, v2
	v_subrev_nc_u32_e32 v4, 29, v2
	s_delay_alu instid0(VALU_DEP_1) | instskip(SKIP_1) | instid1(VALU_DEP_2)
	v_lshlrev_b64_e32 v[114:115], v4, v[0:1]
	v_sub_nc_u32_e32 v4, 30, v2
	v_and_b32_e32 v2, 3, v114
; %bb.4008:                             ;   in Loop: Header=BB6_130 Depth=2
	s_or_b32 exec_lo, exec_lo, s42
	v_lshlrev_b32_e32 v1, 24, v13
	s_delay_alu instid0(VALU_DEP_1) | instskip(NEXT) | instid1(VALU_DEP_1)
	v_and_b32_e32 v1, 0x80000000, v1
	v_lshl_add_u32 v1, v4, 23, v1
	s_delay_alu instid0(VALU_DEP_1) | instskip(NEXT) | instid1(VALU_DEP_1)
	v_lshl_or_b32 v1, v2, 21, v1
                                        ; implicit-def: $vgpr2
	v_add_nc_u32_e32 v4, 0x38000000, v1
.LBB6_4009:                             ;   in Loop: Header=BB6_130 Depth=2
	s_and_not1_saveexec_b32 s42, s10
; %bb.4010:                             ;   in Loop: Header=BB6_130 Depth=2
	v_bfe_i32 v1, v13, 0, 8
	v_cmp_eq_u32_e32 vcc_lo, 0, v2
	s_delay_alu instid0(VALU_DEP_2) | instskip(NEXT) | instid1(VALU_DEP_1)
	v_cmp_lt_i16_e64 s10, -1, v1
	v_cndmask_b32_e64 v1, 0xff800000, v62, s10
	s_delay_alu instid0(VALU_DEP_1)
	v_cndmask_b32_e32 v4, 0x7f800001, v1, vcc_lo
; %bb.4011:                             ;   in Loop: Header=BB6_130 Depth=2
	s_or_b32 exec_lo, exec_lo, s42
.LBB6_4012:                             ;   in Loop: Header=BB6_130 Depth=2
	s_delay_alu instid0(SALU_CYCLE_1)
	s_or_b32 exec_lo, exec_lo, s15
.LBB6_4013:                             ;   in Loop: Header=BB6_130 Depth=2
	s_delay_alu instid0(SALU_CYCLE_1) | instskip(NEXT) | instid1(VALU_DEP_1)
	s_or_b32 exec_lo, exec_lo, s11
	v_dual_max_num_f32 v1, v4, v4 :: v_dual_max_num_f32 v2, v3, v3
	s_delay_alu instid0(VALU_DEP_1)
	v_min_num_f32_e32 v4, v2, v1
.LBB6_4014:                             ;   in Loop: Header=BB6_130 Depth=2
	s_delay_alu instid0(VALU_DEP_1) | instskip(SKIP_4) | instid1(VALU_DEP_3)
	v_and_b32_e32 v114, 0x7f800000, v4
	v_dual_mov_b32 v115, v25 :: v_dual_mov_b32 v3, v25
	v_and_b32_e32 v2, 0x7fffff, v4
	v_lshrrev_b32_e32 v1, 24, v4
                                        ; implicit-def: $vgpr113
	s_mov_b32 s10, exec_lo
	v_cmpx_ne_u64_e32 0x7f800000, v[114:115]
	s_xor_b32 s11, exec_lo, s10
	s_cbranch_execz .LBB6_4028
; %bb.4015:                             ;   in Loop: Header=BB6_130 Depth=2
	v_and_b32_e32 v114, 0x7fffffff, v4
	v_mov_b32_e32 v115, v25
	v_and_b32_e32 v1, 0x80, v1
                                        ; implicit-def: $vgpr113
	s_mov_b32 s10, exec_lo
	s_delay_alu instid0(VALU_DEP_2)
	v_cmpx_gt_u64_e32 0x47600001, v[114:115]
	s_xor_b32 s15, exec_lo, s10
	s_cbranch_execz .LBB6_4025
; %bb.4016:                             ;   in Loop: Header=BB6_130 Depth=2
	v_mov_b32_e32 v113, 0
	s_mov_b32 s42, exec_lo
	v_cmpx_ne_u32_e32 0, v4
	s_cbranch_execz .LBB6_4024
; %bb.4017:                             ;   in Loop: Header=BB6_130 Depth=2
	v_bfe_u32 v113, v4, 23, 8
	v_or_b32_e32 v5, 0x800000, v2
	s_delay_alu instid0(VALU_DEP_2) | instskip(SKIP_2) | instid1(VALU_DEP_2)
	v_cmp_gt_u32_e64 s10, 0x72, v113
	v_sub_nc_u32_e32 v4, 0x71, v113
	v_cmp_eq_u32_e32 vcc_lo, 0, v113
	v_dual_cndmask_b32 v4, 0, v4, s10 :: v_dual_cndmask_b32 v2, v5, v2, vcc_lo
	s_delay_alu instid0(VALU_DEP_1) | instskip(NEXT) | instid1(VALU_DEP_1)
	v_cndmask_b32_e64 v114, v4, 0x70, vcc_lo
	v_dual_add_nc_u32 v4, 21, v114 :: v_dual_add_nc_u32 v115, 20, v114
	s_delay_alu instid0(VALU_DEP_1) | instskip(NEXT) | instid1(VALU_DEP_2)
	v_lshlrev_b64_e64 v[4:5], v4, -1
	v_lshlrev_b64_e64 v[116:117], v115, 1
	s_delay_alu instid0(VALU_DEP_2) | instskip(SKIP_1) | instid1(VALU_DEP_4)
	v_bfi_b32 v4, v4, 0, v2
	v_lshrrev_b64 v[2:3], v114, v[2:3]
	v_bfi_b32 v5, v5, 0, 0
	s_delay_alu instid0(VALU_DEP_1) | instskip(NEXT) | instid1(VALU_DEP_3)
	v_cmp_eq_u64_e64 s10, v[4:5], v[116:117]
	v_mov_b64_e32 v[4:5], v[2:3]
	s_and_saveexec_b32 s43, s10
; %bb.4018:                             ;   in Loop: Header=BB6_130 Depth=2
	v_bfe_u32 v4, v2, 21, 1
	v_mov_b32_e32 v5, v25
	s_delay_alu instid0(VALU_DEP_1) | instskip(NEXT) | instid1(VALU_DEP_1)
	v_add_nc_u64_e32 v[4:5], v[2:3], v[4:5]
	v_add_nc_u64_e32 v[4:5], -1, v[4:5]
; %bb.4019:                             ;   in Loop: Header=BB6_130 Depth=2
	s_or_b32 exec_lo, exec_lo, s43
	v_add_nc_u32_e32 v3, 0xffffff81, v113
	v_lshrrev_b32_e32 v5, 23, v2
	s_mov_b32 s10, exec_lo
	s_delay_alu instid0(VALU_DEP_2) | instskip(NEXT) | instid1(VALU_DEP_1)
	v_cndmask_b32_e64 v3, v3, 0xffffff82, vcc_lo
	v_add3_u32 v113, v114, v3, v5
	v_and_b32_e32 v3, 0x1fffff, v4
                                        ; implicit-def: $vgpr4
	s_delay_alu instid0(VALU_DEP_1) | instskip(SKIP_1) | instid1(VALU_DEP_2)
	v_dual_add_nc_u32 v5, 14, v113 :: v_dual_add_nc_u32 v2, v3, v2
	v_mov_b32_e32 v3, v25
	v_cmpx_ne_u32_e32 0, v5
	s_xor_b32 s10, exec_lo, s10
; %bb.4020:                             ;   in Loop: Header=BB6_130 Depth=2
	s_delay_alu instid0(VALU_DEP_2) | instskip(SKIP_1) | instid1(VALU_DEP_1)
	v_cmp_lt_u64_e32 vcc_lo, 0xffffff, v[2:3]
	v_add_nc_u32_e32 v4, 15, v113
	v_cndmask_b32_e32 v4, v5, v4, vcc_lo
	v_cndmask_b32_e64 v5, 0, 1, vcc_lo
	s_delay_alu instid0(VALU_DEP_1)
	v_lshrrev_b64 v[2:3], v5, v[2:3]
; %bb.4021:                             ;   in Loop: Header=BB6_130 Depth=2
	s_and_not1_saveexec_b32 s10, s10
; %bb.4022:                             ;   in Loop: Header=BB6_130 Depth=2
	s_delay_alu instid0(VALU_DEP_1)
	v_bfe_u32 v4, v2, 23, 1
; %bb.4023:                             ;   in Loop: Header=BB6_130 Depth=2
	s_or_b32 exec_lo, exec_lo, s10
	s_delay_alu instid0(VALU_DEP_2) | instskip(NEXT) | instid1(VALU_DEP_2)
	v_lshrrev_b64 v[2:3], 21, v[2:3]
	v_cmp_gt_i32_e32 vcc_lo, 32, v4
	v_min_i32_e32 v5, 31, v4
	v_cmp_eq_u32_e64 s10, 0, v4
	s_delay_alu instid0(VALU_DEP_2) | instskip(SKIP_1) | instid1(VALU_DEP_2)
	v_dual_cndmask_b32 v3, 0, v3, vcc_lo :: v_dual_lshlrev_b32 v5, 2, v5
	v_cndmask_b32_e32 v2, 3, v2, vcc_lo
	v_and_b32_e32 v5, 0xfc, v5
	s_delay_alu instid0(VALU_DEP_2) | instskip(NEXT) | instid1(VALU_DEP_2)
	v_cmp_eq_u64_e32 vcc_lo, 0, v[2:3]
	v_and_or_b32 v2, v2, 3, v5
	s_and_b32 s10, s10, vcc_lo
	s_delay_alu instid0(VALU_DEP_1) | instid1(SALU_CYCLE_1)
	v_cndmask_b32_e64 v2, v2, 0, s10
	s_delay_alu instid0(VALU_DEP_1)
	v_or_b32_e32 v113, v2, v1
.LBB6_4024:                             ;   in Loop: Header=BB6_130 Depth=2
	s_or_b32 exec_lo, exec_lo, s42
                                        ; implicit-def: $vgpr1
.LBB6_4025:                             ;   in Loop: Header=BB6_130 Depth=2
	s_and_not1_saveexec_b32 s10, s15
; %bb.4026:                             ;   in Loop: Header=BB6_130 Depth=2
	v_or_b32_e32 v113, 0x7b, v1
; %bb.4027:                             ;   in Loop: Header=BB6_130 Depth=2
	s_or_b32 exec_lo, exec_lo, s10
                                        ; implicit-def: $vgpr4
                                        ; implicit-def: $vgpr2_vgpr3
                                        ; implicit-def: $vgpr1
.LBB6_4028:                             ;   in Loop: Header=BB6_130 Depth=2
	s_and_not1_saveexec_b32 s10, s11
	s_cbranch_execz .LBB6_4034
; %bb.4029:                             ;   in Loop: Header=BB6_130 Depth=2
	s_mov_b32 s11, exec_lo
                                        ; implicit-def: $vgpr113
	v_cmpx_ne_u64_e32 0, v[2:3]
	s_xor_b32 s11, exec_lo, s11
; %bb.4030:                             ;   in Loop: Header=BB6_130 Depth=2
	v_or_b32_e32 v113, 0x7f, v1
                                        ; implicit-def: $vgpr4
; %bb.4031:                             ;   in Loop: Header=BB6_130 Depth=2
	s_and_not1_saveexec_b32 s11, s11
; %bb.4032:                             ;   in Loop: Header=BB6_130 Depth=2
	v_cmp_lt_i32_e32 vcc_lo, -1, v4
	v_cndmask_b32_e32 v113, 0xfc, v93, vcc_lo
; %bb.4033:                             ;   in Loop: Header=BB6_130 Depth=2
	s_or_b32 exec_lo, exec_lo, s11
.LBB6_4034:                             ;   in Loop: Header=BB6_130 Depth=2
	s_delay_alu instid0(SALU_CYCLE_1) | instskip(SKIP_4) | instid1(VALU_DEP_2)
	s_or_b32 exec_lo, exec_lo, s10
	v_lshrrev_b16 v4, 8, v24
	v_lshrrev_b16 v2, 8, v0
	s_mov_b32 s11, -1
	s_and_not1_b32 vcc_lo, exec_lo, s14
                                        ; implicit-def: $vgpr3
	v_and_b32_e32 v1, 0xffff, v4
	v_cmp_ne_u16_e64 s10, 0, v4
	s_cbranch_vccnz .LBB6_4056
; %bb.4035:                             ;   in Loop: Header=BB6_130 Depth=2
	v_dual_mov_b32 v3, 0 :: v_dual_mov_b32 v5, 0
	s_and_saveexec_b32 s15, s10
	s_cbranch_execz .LBB6_4045
; %bb.4036:                             ;   in Loop: Header=BB6_130 Depth=2
	v_bfrev_b32_e32 v5, 1
	s_mov_b32 s42, exec_lo
	v_cmpx_ne_u16_e32 0x80, v4
	s_cbranch_execz .LBB6_4044
; %bb.4037:                             ;   in Loop: Header=BB6_130 Depth=2
	v_and_b32_e32 v5, 0x7c, v1
	v_and_b32_e32 v114, 3, v1
	s_delay_alu instid0(VALU_DEP_2) | instskip(SKIP_1) | instid1(SALU_CYCLE_1)
	v_cmp_ne_u32_e32 vcc_lo, 0x7c, v5
                                        ; implicit-def: $vgpr5
	s_and_saveexec_b32 s11, vcc_lo
	s_xor_b32 s11, exec_lo, s11
	s_cbranch_execz .LBB6_4041
; %bb.4038:                             ;   in Loop: Header=BB6_130 Depth=2
	v_bfe_u32 v5, v1, 2, 5
	s_mov_b32 s43, exec_lo
	s_delay_alu instid0(VALU_DEP_1)
	v_cmpx_eq_u32_e32 0, v5
; %bb.4039:                             ;   in Loop: Header=BB6_130 Depth=2
	v_clz_i32_u32_e32 v5, v114
	s_delay_alu instid0(VALU_DEP_1) | instskip(SKIP_1) | instid1(VALU_DEP_2)
	v_min_u32_e32 v116, 32, v5
	v_mov_b32_e32 v5, v25
	v_subrev_nc_u32_e32 v114, 29, v116
	s_delay_alu instid0(VALU_DEP_1) | instskip(NEXT) | instid1(VALU_DEP_1)
	v_lshlrev_b64_e32 v[114:115], v114, v[4:5]
	v_dual_sub_nc_u32 v5, 30, v116 :: v_dual_bitop2_b32 v114, 3, v114 bitop3:0x40
; %bb.4040:                             ;   in Loop: Header=BB6_130 Depth=2
	s_or_b32 exec_lo, exec_lo, s43
	v_lshlrev_b32_e32 v115, 16, v24
	s_delay_alu instid0(VALU_DEP_1) | instskip(NEXT) | instid1(VALU_DEP_1)
	v_and_b32_e32 v115, 0x80000000, v115
	v_lshl_add_u32 v5, v5, 23, v115
	s_delay_alu instid0(VALU_DEP_1) | instskip(NEXT) | instid1(VALU_DEP_1)
	v_lshl_or_b32 v5, v114, 21, v5
                                        ; implicit-def: $vgpr114
	v_add_nc_u32_e32 v5, 0x38000000, v5
.LBB6_4041:                             ;   in Loop: Header=BB6_130 Depth=2
	s_and_not1_saveexec_b32 s43, s11
; %bb.4042:                             ;   in Loop: Header=BB6_130 Depth=2
	v_cmp_lt_i16_e64 s11, -1, v24
	v_cmp_eq_u32_e32 vcc_lo, 0, v114
	s_delay_alu instid0(VALU_DEP_2) | instskip(NEXT) | instid1(VALU_DEP_1)
	v_cndmask_b32_e64 v5, 0xff800000, v62, s11
	v_cndmask_b32_e32 v5, 0x7f800001, v5, vcc_lo
; %bb.4043:                             ;   in Loop: Header=BB6_130 Depth=2
	s_or_b32 exec_lo, exec_lo, s43
.LBB6_4044:                             ;   in Loop: Header=BB6_130 Depth=2
	s_delay_alu instid0(SALU_CYCLE_1)
	s_or_b32 exec_lo, exec_lo, s42
.LBB6_4045:                             ;   in Loop: Header=BB6_130 Depth=2
	s_delay_alu instid0(SALU_CYCLE_1) | instskip(NEXT) | instid1(SALU_CYCLE_1)
	s_or_b32 exec_lo, exec_lo, s15
	s_mov_b32 s15, exec_lo
	v_cmpx_ne_u16_e32 0, v2
	s_cbranch_execz .LBB6_4055
; %bb.4046:                             ;   in Loop: Header=BB6_130 Depth=2
	v_bfrev_b32_e32 v3, 1
	s_mov_b32 s42, exec_lo
	v_cmpx_ne_u16_e32 0x80, v2
	s_cbranch_execz .LBB6_4054
; %bb.4047:                             ;   in Loop: Header=BB6_130 Depth=2
	v_and_b32_e32 v115, 0xffff, v2
	s_delay_alu instid0(VALU_DEP_1) | instskip(SKIP_1) | instid1(VALU_DEP_2)
	v_and_b32_e32 v3, 0x7c, v115
	v_and_b32_e32 v114, 3, v115
	v_cmp_ne_u32_e32 vcc_lo, 0x7c, v3
                                        ; implicit-def: $vgpr3
	s_and_saveexec_b32 s11, vcc_lo
	s_delay_alu instid0(SALU_CYCLE_1)
	s_xor_b32 s11, exec_lo, s11
	s_cbranch_execz .LBB6_4051
; %bb.4048:                             ;   in Loop: Header=BB6_130 Depth=2
	v_bfe_u32 v3, v115, 2, 5
	s_mov_b32 s43, exec_lo
	s_delay_alu instid0(VALU_DEP_1)
	v_cmpx_eq_u32_e32 0, v3
; %bb.4049:                             ;   in Loop: Header=BB6_130 Depth=2
	v_clz_i32_u32_e32 v3, v114
	s_delay_alu instid0(VALU_DEP_1) | instskip(SKIP_1) | instid1(VALU_DEP_2)
	v_min_u32_e32 v116, 32, v3
	v_mov_b32_e32 v3, v25
	v_subrev_nc_u32_e32 v114, 29, v116
	s_delay_alu instid0(VALU_DEP_1) | instskip(NEXT) | instid1(VALU_DEP_1)
	v_lshlrev_b64_e32 v[114:115], v114, v[2:3]
	v_dual_sub_nc_u32 v3, 30, v116 :: v_dual_bitop2_b32 v114, 3, v114 bitop3:0x40
; %bb.4050:                             ;   in Loop: Header=BB6_130 Depth=2
	s_or_b32 exec_lo, exec_lo, s43
	v_lshlrev_b32_e32 v115, 16, v0
	s_delay_alu instid0(VALU_DEP_1) | instskip(NEXT) | instid1(VALU_DEP_1)
	v_and_b32_e32 v115, 0x80000000, v115
	v_lshl_add_u32 v3, v3, 23, v115
	s_delay_alu instid0(VALU_DEP_1) | instskip(NEXT) | instid1(VALU_DEP_1)
	v_lshl_or_b32 v3, v114, 21, v3
                                        ; implicit-def: $vgpr114
	v_add_nc_u32_e32 v3, 0x38000000, v3
.LBB6_4051:                             ;   in Loop: Header=BB6_130 Depth=2
	s_and_not1_saveexec_b32 s43, s11
; %bb.4052:                             ;   in Loop: Header=BB6_130 Depth=2
	v_cmp_lt_i16_e64 s11, -1, v0
	v_cmp_eq_u32_e32 vcc_lo, 0, v114
	s_delay_alu instid0(VALU_DEP_2) | instskip(NEXT) | instid1(VALU_DEP_1)
	v_cndmask_b32_e64 v3, 0xff800000, v62, s11
	v_cndmask_b32_e32 v3, 0x7f800001, v3, vcc_lo
; %bb.4053:                             ;   in Loop: Header=BB6_130 Depth=2
	s_or_b32 exec_lo, exec_lo, s43
.LBB6_4054:                             ;   in Loop: Header=BB6_130 Depth=2
	s_delay_alu instid0(SALU_CYCLE_1)
	s_or_b32 exec_lo, exec_lo, s42
.LBB6_4055:                             ;   in Loop: Header=BB6_130 Depth=2
	s_delay_alu instid0(SALU_CYCLE_1) | instskip(NEXT) | instid1(VALU_DEP_1)
	s_or_b32 exec_lo, exec_lo, s15
	v_dual_max_num_f32 v3, v3, v3 :: v_dual_max_num_f32 v5, v5, v5
	s_mov_b32 s11, 0
	s_delay_alu instid0(VALU_DEP_1)
	v_max_num_f32_e32 v3, v5, v3
.LBB6_4056:                             ;   in Loop: Header=BB6_130 Depth=2
	s_and_b32 vcc_lo, exec_lo, s11
	s_cbranch_vccz .LBB6_4078
; %bb.4057:                             ;   in Loop: Header=BB6_130 Depth=2
	v_dual_mov_b32 v3, 0 :: v_dual_mov_b32 v5, 0
	s_and_saveexec_b32 s11, s10
	s_cbranch_execz .LBB6_4067
; %bb.4058:                             ;   in Loop: Header=BB6_130 Depth=2
	v_bfrev_b32_e32 v5, 1
	s_mov_b32 s15, exec_lo
	v_cmpx_ne_u16_e32 0x80, v4
	s_cbranch_execz .LBB6_4066
; %bb.4059:                             ;   in Loop: Header=BB6_130 Depth=2
	v_and_b32_e32 v5, 0x7c, v1
	v_and_b32_e32 v114, 3, v1
	s_delay_alu instid0(VALU_DEP_2) | instskip(SKIP_1) | instid1(SALU_CYCLE_1)
	v_cmp_ne_u32_e32 vcc_lo, 0x7c, v5
                                        ; implicit-def: $vgpr5
	s_and_saveexec_b32 s10, vcc_lo
	s_xor_b32 s10, exec_lo, s10
	s_cbranch_execz .LBB6_4063
; %bb.4060:                             ;   in Loop: Header=BB6_130 Depth=2
	v_bfe_u32 v1, v1, 2, 5
	s_mov_b32 s42, exec_lo
	s_delay_alu instid0(VALU_DEP_1)
	v_cmpx_eq_u32_e32 0, v1
	s_cbranch_execz .LBB6_4062
; %bb.4061:                             ;   in Loop: Header=BB6_130 Depth=2
	v_clz_i32_u32_e32 v1, v114
	s_delay_alu instid0(VALU_DEP_1) | instskip(SKIP_1) | instid1(VALU_DEP_2)
	v_min_u32_e32 v1, 32, v1
	v_mov_b32_e32 v5, v25
	v_subrev_nc_u32_e32 v114, 29, v1
	v_sub_nc_u32_e32 v1, 30, v1
	s_delay_alu instid0(VALU_DEP_2) | instskip(NEXT) | instid1(VALU_DEP_1)
	v_lshlrev_b64_e32 v[4:5], v114, v[4:5]
	v_and_b32_e32 v114, 3, v4
.LBB6_4062:                             ;   in Loop: Header=BB6_130 Depth=2
	s_or_b32 exec_lo, exec_lo, s42
	v_lshlrev_b32_e32 v4, 16, v24
	s_delay_alu instid0(VALU_DEP_1) | instskip(NEXT) | instid1(VALU_DEP_1)
	v_and_b32_e32 v4, 0x80000000, v4
	v_lshl_add_u32 v1, v1, 23, v4
	s_delay_alu instid0(VALU_DEP_1) | instskip(NEXT) | instid1(VALU_DEP_1)
	v_lshl_or_b32 v1, v114, 21, v1
                                        ; implicit-def: $vgpr114
	v_add_nc_u32_e32 v5, 0x38000000, v1
.LBB6_4063:                             ;   in Loop: Header=BB6_130 Depth=2
	s_and_not1_saveexec_b32 s42, s10
; %bb.4064:                             ;   in Loop: Header=BB6_130 Depth=2
	v_cmp_lt_i16_e64 s10, -1, v24
	v_cmp_eq_u32_e32 vcc_lo, 0, v114
	s_delay_alu instid0(VALU_DEP_2) | instskip(NEXT) | instid1(VALU_DEP_1)
	v_cndmask_b32_e64 v1, 0xff800000, v62, s10
	v_cndmask_b32_e32 v5, 0x7f800001, v1, vcc_lo
; %bb.4065:                             ;   in Loop: Header=BB6_130 Depth=2
	s_or_b32 exec_lo, exec_lo, s42
.LBB6_4066:                             ;   in Loop: Header=BB6_130 Depth=2
	s_delay_alu instid0(SALU_CYCLE_1)
	s_or_b32 exec_lo, exec_lo, s15
.LBB6_4067:                             ;   in Loop: Header=BB6_130 Depth=2
	s_delay_alu instid0(SALU_CYCLE_1) | instskip(NEXT) | instid1(SALU_CYCLE_1)
	s_or_b32 exec_lo, exec_lo, s11
	s_mov_b32 s11, exec_lo
	v_cmpx_ne_u16_e32 0, v2
	s_cbranch_execz .LBB6_4077
; %bb.4068:                             ;   in Loop: Header=BB6_130 Depth=2
	v_bfrev_b32_e32 v3, 1
	s_mov_b32 s15, exec_lo
	v_cmpx_ne_u16_e32 0x80, v2
	s_cbranch_execz .LBB6_4076
; %bb.4069:                             ;   in Loop: Header=BB6_130 Depth=2
	v_and_b32_e32 v1, 0xffff, v2
	s_delay_alu instid0(VALU_DEP_1) | instskip(SKIP_1) | instid1(VALU_DEP_2)
	v_and_b32_e32 v3, 0x7c, v1
	v_and_b32_e32 v4, 3, v1
	v_cmp_ne_u32_e32 vcc_lo, 0x7c, v3
                                        ; implicit-def: $vgpr3
	s_and_saveexec_b32 s10, vcc_lo
	s_delay_alu instid0(SALU_CYCLE_1)
	s_xor_b32 s10, exec_lo, s10
	s_cbranch_execz .LBB6_4073
; %bb.4070:                             ;   in Loop: Header=BB6_130 Depth=2
	v_bfe_u32 v1, v1, 2, 5
	s_mov_b32 s42, exec_lo
	s_delay_alu instid0(VALU_DEP_1)
	v_cmpx_eq_u32_e32 0, v1
	s_cbranch_execz .LBB6_4072
; %bb.4071:                             ;   in Loop: Header=BB6_130 Depth=2
	v_clz_i32_u32_e32 v1, v4
	s_delay_alu instid0(VALU_DEP_1) | instskip(SKIP_1) | instid1(VALU_DEP_2)
	v_min_u32_e32 v1, 32, v1
	v_mov_b32_e32 v3, v25
	v_subrev_nc_u32_e32 v4, 29, v1
	v_sub_nc_u32_e32 v1, 30, v1
	s_delay_alu instid0(VALU_DEP_2) | instskip(NEXT) | instid1(VALU_DEP_1)
	v_lshlrev_b64_e32 v[2:3], v4, v[2:3]
	v_and_b32_e32 v4, 3, v2
.LBB6_4072:                             ;   in Loop: Header=BB6_130 Depth=2
	s_or_b32 exec_lo, exec_lo, s42
	v_lshlrev_b32_e32 v0, 16, v0
	s_delay_alu instid0(VALU_DEP_1) | instskip(NEXT) | instid1(VALU_DEP_1)
	v_and_b32_e32 v0, 0x80000000, v0
	v_lshl_add_u32 v0, v1, 23, v0
	s_delay_alu instid0(VALU_DEP_1) | instskip(NEXT) | instid1(VALU_DEP_1)
	v_lshl_or_b32 v0, v4, 21, v0
                                        ; implicit-def: $vgpr4
	v_add_nc_u32_e32 v3, 0x38000000, v0
                                        ; implicit-def: $vgpr0_vgpr1
.LBB6_4073:                             ;   in Loop: Header=BB6_130 Depth=2
	s_and_not1_saveexec_b32 s42, s10
; %bb.4074:                             ;   in Loop: Header=BB6_130 Depth=2
	v_cmp_lt_i16_e64 s10, -1, v0
	v_cmp_eq_u32_e32 vcc_lo, 0, v4
	s_delay_alu instid0(VALU_DEP_2) | instskip(NEXT) | instid1(VALU_DEP_1)
	v_cndmask_b32_e64 v0, 0xff800000, v62, s10
	v_cndmask_b32_e32 v3, 0x7f800001, v0, vcc_lo
; %bb.4075:                             ;   in Loop: Header=BB6_130 Depth=2
	s_or_b32 exec_lo, exec_lo, s42
.LBB6_4076:                             ;   in Loop: Header=BB6_130 Depth=2
	s_delay_alu instid0(SALU_CYCLE_1)
	s_or_b32 exec_lo, exec_lo, s15
.LBB6_4077:                             ;   in Loop: Header=BB6_130 Depth=2
	s_delay_alu instid0(SALU_CYCLE_1) | instskip(NEXT) | instid1(VALU_DEP_1)
	s_or_b32 exec_lo, exec_lo, s11
	v_dual_max_num_f32 v0, v3, v3 :: v_dual_max_num_f32 v1, v5, v5
	s_delay_alu instid0(VALU_DEP_1)
	v_min_num_f32_e32 v3, v1, v0
.LBB6_4078:                             ;   in Loop: Header=BB6_130 Depth=2
	s_delay_alu instid0(VALU_DEP_1) | instskip(SKIP_2) | instid1(VALU_DEP_2)
	v_and_b32_e32 v0, 0x7f800000, v3
	v_mov_b32_e32 v1, v25
	v_and_b32_e32 v24, 0x7fffff, v3
                                        ; implicit-def: $vgpr4
	v_cmp_ne_u64_e32 vcc_lo, 0x7f800000, v[0:1]
	v_lshrrev_b32_e32 v0, 24, v3
	s_and_saveexec_b32 s10, vcc_lo
	s_delay_alu instid0(SALU_CYCLE_1)
	s_xor_b32 s11, exec_lo, s10
	s_cbranch_execz .LBB6_4092
; %bb.4079:                             ;   in Loop: Header=BB6_130 Depth=2
	v_and_b32_e32 v4, 0x7fffffff, v3
	v_mov_b32_e32 v5, v25
	s_delay_alu instid0(VALU_DEP_1) | instskip(SKIP_2) | instid1(SALU_CYCLE_1)
	v_cmp_gt_u64_e32 vcc_lo, 0x47600001, v[4:5]
	v_and_b32_e32 v5, 0x80, v0
                                        ; implicit-def: $vgpr4
	s_and_saveexec_b32 s10, vcc_lo
	s_xor_b32 s15, exec_lo, s10
	s_cbranch_execz .LBB6_4089
; %bb.4080:                             ;   in Loop: Header=BB6_130 Depth=2
	v_mov_b32_e32 v4, 0
	s_mov_b32 s42, exec_lo
	v_cmpx_ne_u32_e32 0, v3
	s_cbranch_execz .LBB6_4088
; %bb.4081:                             ;   in Loop: Header=BB6_130 Depth=2
	v_bfe_u32 v4, v3, 23, 8
	v_or_b32_e32 v1, 0x800000, v24
	s_delay_alu instid0(VALU_DEP_2) | instskip(SKIP_2) | instid1(VALU_DEP_2)
	v_cmp_gt_u32_e64 s10, 0x72, v4
	v_sub_nc_u32_e32 v0, 0x71, v4
	v_cmp_eq_u32_e32 vcc_lo, 0, v4
	v_cndmask_b32_e64 v0, 0, v0, s10
	s_delay_alu instid0(VALU_DEP_1) | instskip(NEXT) | instid1(VALU_DEP_1)
	v_cndmask_b32_e64 v114, v0, 0x70, vcc_lo
	v_dual_cndmask_b32 v24, v1, v24, vcc_lo :: v_dual_add_nc_u32 v0, 21, v114
	v_add_nc_u32_e32 v2, 20, v114
	s_delay_alu instid0(VALU_DEP_2) | instskip(NEXT) | instid1(VALU_DEP_2)
	v_lshlrev_b64_e64 v[0:1], v0, -1
	v_lshlrev_b64_e64 v[2:3], v2, 1
	s_delay_alu instid0(VALU_DEP_2) | instskip(NEXT) | instid1(VALU_DEP_3)
	v_bfi_b32 v1, v1, 0, 0
	v_bfi_b32 v0, v0, 0, v24
	s_delay_alu instid0(VALU_DEP_1) | instskip(SKIP_1) | instid1(VALU_DEP_1)
	v_cmp_eq_u64_e64 s10, v[0:1], v[2:3]
	v_lshrrev_b64 v[0:1], v114, v[24:25]
	v_mov_b64_e32 v[2:3], v[0:1]
	s_and_saveexec_b32 s43, s10
; %bb.4082:                             ;   in Loop: Header=BB6_130 Depth=2
	v_bfe_u32 v24, v0, 21, 1
	s_delay_alu instid0(VALU_DEP_1) | instskip(NEXT) | instid1(VALU_DEP_1)
	v_add_nc_u64_e32 v[2:3], v[0:1], v[24:25]
	v_add_nc_u64_e32 v[2:3], -1, v[2:3]
; %bb.4083:                             ;   in Loop: Header=BB6_130 Depth=2
	s_or_b32 exec_lo, exec_lo, s43
	v_add_nc_u32_e32 v1, 0xffffff81, v4
	v_lshrrev_b32_e32 v3, 23, v0
	s_mov_b32 s10, exec_lo
	s_delay_alu instid0(VALU_DEP_2) | instskip(NEXT) | instid1(VALU_DEP_1)
	v_cndmask_b32_e64 v1, v1, 0xffffff82, vcc_lo
	v_add3_u32 v4, v114, v1, v3
	v_and_b32_e32 v1, 0x1fffff, v2
                                        ; implicit-def: $vgpr2
	s_delay_alu instid0(VALU_DEP_2) | instskip(NEXT) | instid1(VALU_DEP_2)
	v_add_nc_u32_e32 v3, 14, v4
	v_add_nc_u32_e32 v24, v1, v0
                                        ; implicit-def: $vgpr0_vgpr1
	s_delay_alu instid0(VALU_DEP_2)
	v_cmpx_ne_u32_e32 0, v3
	s_xor_b32 s10, exec_lo, s10
; %bb.4084:                             ;   in Loop: Header=BB6_130 Depth=2
	s_delay_alu instid0(VALU_DEP_2) | instskip(SKIP_1) | instid1(VALU_DEP_1)
	v_cmp_lt_u64_e32 vcc_lo, 0xffffff, v[24:25]
	v_add_nc_u32_e32 v0, 15, v4
	v_cndmask_b32_e32 v2, v3, v0, vcc_lo
	v_cndmask_b32_e64 v0, 0, 1, vcc_lo
	s_delay_alu instid0(VALU_DEP_1)
	v_lshrrev_b64 v[0:1], v0, v[24:25]
; %bb.4085:                             ;   in Loop: Header=BB6_130 Depth=2
	s_and_not1_saveexec_b32 s10, s10
; %bb.4086:                             ;   in Loop: Header=BB6_130 Depth=2
	v_mov_b64_e32 v[0:1], v[24:25]
	v_bfe_u32 v2, v24, 23, 1
; %bb.4087:                             ;   in Loop: Header=BB6_130 Depth=2
	s_or_b32 exec_lo, exec_lo, s10
	s_delay_alu instid0(VALU_DEP_2) | instskip(NEXT) | instid1(VALU_DEP_2)
	v_lshrrev_b64 v[0:1], 21, v[0:1]
	v_cmp_gt_i32_e32 vcc_lo, 32, v2
	v_min_i32_e32 v3, 31, v2
	v_cmp_eq_u32_e64 s10, 0, v2
	s_delay_alu instid0(VALU_DEP_2) | instskip(SKIP_1) | instid1(VALU_DEP_2)
	v_dual_cndmask_b32 v1, 0, v1, vcc_lo :: v_dual_lshlrev_b32 v3, 2, v3
	v_cndmask_b32_e32 v0, 3, v0, vcc_lo
	v_and_b32_e32 v3, 0xfc, v3
	s_delay_alu instid0(VALU_DEP_2) | instskip(NEXT) | instid1(VALU_DEP_2)
	v_cmp_eq_u64_e32 vcc_lo, 0, v[0:1]
	v_and_or_b32 v0, v0, 3, v3
	s_and_b32 s10, s10, vcc_lo
	s_delay_alu instid0(VALU_DEP_1) | instid1(SALU_CYCLE_1)
	v_cndmask_b32_e64 v0, v0, 0, s10
	s_delay_alu instid0(VALU_DEP_1)
	v_or_b32_e32 v4, v0, v5
.LBB6_4088:                             ;   in Loop: Header=BB6_130 Depth=2
	s_or_b32 exec_lo, exec_lo, s42
                                        ; implicit-def: $vgpr5
.LBB6_4089:                             ;   in Loop: Header=BB6_130 Depth=2
	s_and_not1_saveexec_b32 s10, s15
; %bb.4090:                             ;   in Loop: Header=BB6_130 Depth=2
	v_or_b32_e32 v4, 0x7b, v5
; %bb.4091:                             ;   in Loop: Header=BB6_130 Depth=2
	s_or_b32 exec_lo, exec_lo, s10
                                        ; implicit-def: $vgpr3
                                        ; implicit-def: $vgpr0
.LBB6_4092:                             ;   in Loop: Header=BB6_130 Depth=2
	s_and_not1_saveexec_b32 s10, s11
	s_cbranch_execz .LBB6_4098
; %bb.4093:                             ;   in Loop: Header=BB6_130 Depth=2
	s_mov_b32 s11, exec_lo
                                        ; implicit-def: $vgpr4
	v_cmpx_ne_u64_e32 0, v[24:25]
	s_xor_b32 s11, exec_lo, s11
; %bb.4094:                             ;   in Loop: Header=BB6_130 Depth=2
	v_or_b32_e32 v4, 0x7f, v0
                                        ; implicit-def: $vgpr3
; %bb.4095:                             ;   in Loop: Header=BB6_130 Depth=2
	s_and_not1_saveexec_b32 s11, s11
; %bb.4096:                             ;   in Loop: Header=BB6_130 Depth=2
	v_cmp_lt_i32_e32 vcc_lo, -1, v3
	v_cndmask_b32_e32 v4, 0xfc, v93, vcc_lo
; %bb.4097:                             ;   in Loop: Header=BB6_130 Depth=2
	s_or_b32 exec_lo, exec_lo, s11
.LBB6_4098:                             ;   in Loop: Header=BB6_130 Depth=2
	s_delay_alu instid0(SALU_CYCLE_1) | instskip(SKIP_4) | instid1(VALU_DEP_2)
	s_or_b32 exec_lo, exec_lo, s10
	v_lshrrev_b32_e32 v2, 16, v17
	v_lshrrev_b32_e32 v0, 16, v13
	s_mov_b32 s11, -1
	s_and_not1_b32 vcc_lo, exec_lo, s14
                                        ; implicit-def: $vgpr3
	v_and_b32_e32 v1, 0xff, v2
	s_delay_alu instid0(VALU_DEP_1)
	v_cmp_ne_u16_e64 s10, 0, v1
	s_cbranch_vccnz .LBB6_4120
; %bb.4099:                             ;   in Loop: Header=BB6_130 Depth=2
	v_dual_mov_b32 v5, 0 :: v_dual_mov_b32 v3, 0
	s_and_saveexec_b32 s15, s10
	s_cbranch_execz .LBB6_4109
; %bb.4100:                             ;   in Loop: Header=BB6_130 Depth=2
	v_bfrev_b32_e32 v3, 1
	s_mov_b32 s42, exec_lo
	v_cmpx_ne_u16_e32 0x80, v1
	s_cbranch_execz .LBB6_4108
; %bb.4101:                             ;   in Loop: Header=BB6_130 Depth=2
	v_and_b32_e32 v3, 0x7c0000, v17
	v_bfe_u32 v24, v17, 16, 2
	s_delay_alu instid0(VALU_DEP_2) | instskip(SKIP_1) | instid1(SALU_CYCLE_1)
	v_cmp_ne_u32_e32 vcc_lo, 0x7c0000, v3
                                        ; implicit-def: $vgpr3
	s_and_saveexec_b32 s11, vcc_lo
	s_xor_b32 s11, exec_lo, s11
	s_cbranch_execz .LBB6_4105
; %bb.4102:                             ;   in Loop: Header=BB6_130 Depth=2
	v_bfe_u32 v3, v17, 18, 5
	s_mov_b32 s43, exec_lo
	s_delay_alu instid0(VALU_DEP_1)
	v_cmpx_eq_u32_e32 0, v3
; %bb.4103:                             ;   in Loop: Header=BB6_130 Depth=2
	v_clz_i32_u32_e32 v3, v24
	s_delay_alu instid0(VALU_DEP_1) | instskip(NEXT) | instid1(VALU_DEP_1)
	v_min_u32_e32 v3, 32, v3
	v_subrev_nc_u32_e32 v24, 29, v3
	s_delay_alu instid0(VALU_DEP_1) | instskip(NEXT) | instid1(VALU_DEP_1)
	v_lshlrev_b64_e32 v[114:115], v24, v[2:3]
	v_dual_sub_nc_u32 v3, 30, v3 :: v_dual_bitop2_b32 v24, 3, v114 bitop3:0x40
; %bb.4104:                             ;   in Loop: Header=BB6_130 Depth=2
	s_or_b32 exec_lo, exec_lo, s43
	v_lshlrev_b32_e32 v114, 24, v2
	s_delay_alu instid0(VALU_DEP_1) | instskip(NEXT) | instid1(VALU_DEP_1)
	v_and_b32_e32 v114, 0x80000000, v114
	v_lshl_add_u32 v3, v3, 23, v114
	s_delay_alu instid0(VALU_DEP_1) | instskip(NEXT) | instid1(VALU_DEP_1)
	v_lshl_or_b32 v3, v24, 21, v3
                                        ; implicit-def: $vgpr24
	v_add_nc_u32_e32 v3, 0x38000000, v3
.LBB6_4105:                             ;   in Loop: Header=BB6_130 Depth=2
	s_and_not1_saveexec_b32 s43, s11
; %bb.4106:                             ;   in Loop: Header=BB6_130 Depth=2
	v_bfe_i32 v3, v2, 0, 8
	v_cmp_eq_u32_e32 vcc_lo, 0, v24
	s_delay_alu instid0(VALU_DEP_2) | instskip(NEXT) | instid1(VALU_DEP_1)
	v_cmp_lt_i16_e64 s11, -1, v3
	v_cndmask_b32_e64 v3, 0xff800000, v62, s11
	s_delay_alu instid0(VALU_DEP_1)
	v_cndmask_b32_e32 v3, 0x7f800001, v3, vcc_lo
; %bb.4107:                             ;   in Loop: Header=BB6_130 Depth=2
	s_or_b32 exec_lo, exec_lo, s43
.LBB6_4108:                             ;   in Loop: Header=BB6_130 Depth=2
	s_delay_alu instid0(SALU_CYCLE_1)
	s_or_b32 exec_lo, exec_lo, s42
.LBB6_4109:                             ;   in Loop: Header=BB6_130 Depth=2
	s_delay_alu instid0(SALU_CYCLE_1) | instskip(SKIP_2) | instid1(VALU_DEP_1)
	s_or_b32 exec_lo, exec_lo, s15
	v_and_b32_e32 v24, 0xff, v0
	s_mov_b32 s15, exec_lo
	v_cmpx_ne_u16_e32 0, v24
	s_cbranch_execz .LBB6_4119
; %bb.4110:                             ;   in Loop: Header=BB6_130 Depth=2
	v_bfrev_b32_e32 v5, 1
	s_mov_b32 s42, exec_lo
	v_cmpx_ne_u16_e32 0x80, v24
	s_cbranch_execz .LBB6_4118
; %bb.4111:                             ;   in Loop: Header=BB6_130 Depth=2
	v_and_b32_e32 v5, 0x7c0000, v13
	v_bfe_u32 v24, v13, 16, 2
	s_delay_alu instid0(VALU_DEP_2) | instskip(SKIP_1) | instid1(SALU_CYCLE_1)
	v_cmp_ne_u32_e32 vcc_lo, 0x7c0000, v5
                                        ; implicit-def: $vgpr5
	s_and_saveexec_b32 s11, vcc_lo
	s_xor_b32 s11, exec_lo, s11
	s_cbranch_execz .LBB6_4115
; %bb.4112:                             ;   in Loop: Header=BB6_130 Depth=2
	v_bfe_u32 v5, v13, 18, 5
	s_mov_b32 s43, exec_lo
	s_delay_alu instid0(VALU_DEP_1)
	v_cmpx_eq_u32_e32 0, v5
; %bb.4113:                             ;   in Loop: Header=BB6_130 Depth=2
	v_clz_i32_u32_e32 v5, v24
	s_delay_alu instid0(VALU_DEP_1) | instskip(NEXT) | instid1(VALU_DEP_1)
	v_min_u32_e32 v5, 32, v5
	v_subrev_nc_u32_e32 v24, 29, v5
	s_delay_alu instid0(VALU_DEP_1) | instskip(NEXT) | instid1(VALU_DEP_1)
	v_lshlrev_b64_e32 v[114:115], v24, v[0:1]
	v_dual_sub_nc_u32 v5, 30, v5 :: v_dual_bitop2_b32 v24, 3, v114 bitop3:0x40
; %bb.4114:                             ;   in Loop: Header=BB6_130 Depth=2
	s_or_b32 exec_lo, exec_lo, s43
	v_lshlrev_b32_e32 v114, 24, v0
	s_delay_alu instid0(VALU_DEP_1) | instskip(NEXT) | instid1(VALU_DEP_1)
	v_and_b32_e32 v114, 0x80000000, v114
	v_lshl_add_u32 v5, v5, 23, v114
	s_delay_alu instid0(VALU_DEP_1) | instskip(NEXT) | instid1(VALU_DEP_1)
	v_lshl_or_b32 v5, v24, 21, v5
                                        ; implicit-def: $vgpr24
	v_add_nc_u32_e32 v5, 0x38000000, v5
.LBB6_4115:                             ;   in Loop: Header=BB6_130 Depth=2
	s_and_not1_saveexec_b32 s43, s11
; %bb.4116:                             ;   in Loop: Header=BB6_130 Depth=2
	v_bfe_i32 v5, v0, 0, 8
	v_cmp_eq_u32_e32 vcc_lo, 0, v24
	s_delay_alu instid0(VALU_DEP_2) | instskip(NEXT) | instid1(VALU_DEP_1)
	v_cmp_lt_i16_e64 s11, -1, v5
	v_cndmask_b32_e64 v5, 0xff800000, v62, s11
	s_delay_alu instid0(VALU_DEP_1)
	v_cndmask_b32_e32 v5, 0x7f800001, v5, vcc_lo
; %bb.4117:                             ;   in Loop: Header=BB6_130 Depth=2
	s_or_b32 exec_lo, exec_lo, s43
.LBB6_4118:                             ;   in Loop: Header=BB6_130 Depth=2
	s_delay_alu instid0(SALU_CYCLE_1)
	s_or_b32 exec_lo, exec_lo, s42
.LBB6_4119:                             ;   in Loop: Header=BB6_130 Depth=2
	s_delay_alu instid0(SALU_CYCLE_1) | instskip(NEXT) | instid1(VALU_DEP_1)
	s_or_b32 exec_lo, exec_lo, s15
	v_dual_max_num_f32 v5, v5, v5 :: v_dual_max_num_f32 v3, v3, v3
	s_mov_b32 s11, 0
	s_delay_alu instid0(VALU_DEP_1)
	v_max_num_f32_e32 v3, v3, v5
.LBB6_4120:                             ;   in Loop: Header=BB6_130 Depth=2
	s_and_b32 vcc_lo, exec_lo, s11
	s_cbranch_vccz .LBB6_4142
; %bb.4121:                             ;   in Loop: Header=BB6_130 Depth=2
	v_dual_mov_b32 v5, 0 :: v_dual_mov_b32 v3, 0
	s_and_saveexec_b32 s11, s10
	s_cbranch_execz .LBB6_4131
; %bb.4122:                             ;   in Loop: Header=BB6_130 Depth=2
	v_bfrev_b32_e32 v3, 1
	s_mov_b32 s15, exec_lo
	v_cmpx_ne_u16_e32 0x80, v1
	s_cbranch_execz .LBB6_4130
; %bb.4123:                             ;   in Loop: Header=BB6_130 Depth=2
	v_and_b32_e32 v3, 0x7c0000, v17
	v_bfe_u32 v1, v17, 16, 2
	s_delay_alu instid0(VALU_DEP_2) | instskip(SKIP_1) | instid1(SALU_CYCLE_1)
	v_cmp_ne_u32_e32 vcc_lo, 0x7c0000, v3
                                        ; implicit-def: $vgpr3
	s_and_saveexec_b32 s10, vcc_lo
	s_xor_b32 s10, exec_lo, s10
	s_cbranch_execz .LBB6_4127
; %bb.4124:                             ;   in Loop: Header=BB6_130 Depth=2
	v_bfe_u32 v3, v17, 18, 5
	s_mov_b32 s42, exec_lo
	s_delay_alu instid0(VALU_DEP_1)
	v_cmpx_eq_u32_e32 0, v3
; %bb.4125:                             ;   in Loop: Header=BB6_130 Depth=2
	v_clz_i32_u32_e32 v1, v1
	s_delay_alu instid0(VALU_DEP_1) | instskip(NEXT) | instid1(VALU_DEP_1)
	v_min_u32_e32 v1, 32, v1
	v_subrev_nc_u32_e32 v3, 29, v1
	s_delay_alu instid0(VALU_DEP_1) | instskip(NEXT) | instid1(VALU_DEP_1)
	v_lshlrev_b64_e32 v[114:115], v3, v[2:3]
	v_dual_sub_nc_u32 v3, 30, v1 :: v_dual_bitop2_b32 v1, 3, v114 bitop3:0x40
; %bb.4126:                             ;   in Loop: Header=BB6_130 Depth=2
	s_or_b32 exec_lo, exec_lo, s42
	v_lshlrev_b32_e32 v2, 24, v2
	s_delay_alu instid0(VALU_DEP_1) | instskip(NEXT) | instid1(VALU_DEP_1)
	v_and_b32_e32 v2, 0x80000000, v2
	v_lshl_add_u32 v2, v3, 23, v2
	s_delay_alu instid0(VALU_DEP_1) | instskip(NEXT) | instid1(VALU_DEP_1)
	v_lshl_or_b32 v1, v1, 21, v2
                                        ; implicit-def: $vgpr2
	v_add_nc_u32_e32 v3, 0x38000000, v1
                                        ; implicit-def: $vgpr1
.LBB6_4127:                             ;   in Loop: Header=BB6_130 Depth=2
	s_and_not1_saveexec_b32 s42, s10
; %bb.4128:                             ;   in Loop: Header=BB6_130 Depth=2
	v_bfe_i32 v2, v2, 0, 8
	v_cmp_eq_u32_e32 vcc_lo, 0, v1
	s_delay_alu instid0(VALU_DEP_2) | instskip(NEXT) | instid1(VALU_DEP_1)
	v_cmp_lt_i16_e64 s10, -1, v2
	v_cndmask_b32_e64 v1, 0xff800000, v62, s10
	s_delay_alu instid0(VALU_DEP_1)
	v_cndmask_b32_e32 v3, 0x7f800001, v1, vcc_lo
; %bb.4129:                             ;   in Loop: Header=BB6_130 Depth=2
	s_or_b32 exec_lo, exec_lo, s42
.LBB6_4130:                             ;   in Loop: Header=BB6_130 Depth=2
	s_delay_alu instid0(SALU_CYCLE_1)
	s_or_b32 exec_lo, exec_lo, s15
.LBB6_4131:                             ;   in Loop: Header=BB6_130 Depth=2
	s_delay_alu instid0(SALU_CYCLE_1) | instskip(SKIP_2) | instid1(VALU_DEP_1)
	s_or_b32 exec_lo, exec_lo, s11
	v_and_b32_e32 v1, 0xff, v0
	s_mov_b32 s11, exec_lo
	v_cmpx_ne_u16_e32 0, v1
	s_cbranch_execz .LBB6_4141
; %bb.4132:                             ;   in Loop: Header=BB6_130 Depth=2
	v_bfrev_b32_e32 v5, 1
	s_mov_b32 s15, exec_lo
	v_cmpx_ne_u16_e32 0x80, v1
	s_cbranch_execz .LBB6_4140
; %bb.4133:                             ;   in Loop: Header=BB6_130 Depth=2
	v_and_b32_e32 v2, 0x7c0000, v13
	v_bfe_u32 v1, v13, 16, 2
	s_mov_b32 s10, exec_lo
                                        ; implicit-def: $vgpr5
	s_delay_alu instid0(VALU_DEP_2)
	v_cmpx_ne_u32_e32 0x7c0000, v2
	s_xor_b32 s10, exec_lo, s10
	s_cbranch_execz .LBB6_4137
; %bb.4134:                             ;   in Loop: Header=BB6_130 Depth=2
	v_bfe_u32 v2, v13, 18, 5
	s_mov_b32 s42, exec_lo
	s_delay_alu instid0(VALU_DEP_1)
	v_cmpx_eq_u32_e32 0, v2
; %bb.4135:                             ;   in Loop: Header=BB6_130 Depth=2
	v_clz_i32_u32_e32 v1, v1
	s_delay_alu instid0(VALU_DEP_1) | instskip(NEXT) | instid1(VALU_DEP_1)
	v_min_u32_e32 v1, 32, v1
	v_subrev_nc_u32_e32 v2, 29, v1
	s_delay_alu instid0(VALU_DEP_1) | instskip(NEXT) | instid1(VALU_DEP_1)
	v_lshlrev_b64_e32 v[114:115], v2, v[0:1]
	v_dual_sub_nc_u32 v2, 30, v1 :: v_dual_bitop2_b32 v1, 3, v114 bitop3:0x40
; %bb.4136:                             ;   in Loop: Header=BB6_130 Depth=2
	s_or_b32 exec_lo, exec_lo, s42
	v_lshlrev_b32_e32 v0, 24, v0
	s_delay_alu instid0(VALU_DEP_1) | instskip(NEXT) | instid1(VALU_DEP_1)
	v_and_b32_e32 v0, 0x80000000, v0
	v_lshl_add_u32 v0, v2, 23, v0
	s_delay_alu instid0(VALU_DEP_1) | instskip(NEXT) | instid1(VALU_DEP_1)
	v_lshl_or_b32 v0, v1, 21, v0
                                        ; implicit-def: $vgpr1
	v_add_nc_u32_e32 v5, 0x38000000, v0
                                        ; implicit-def: $vgpr0
.LBB6_4137:                             ;   in Loop: Header=BB6_130 Depth=2
	s_and_not1_saveexec_b32 s42, s10
; %bb.4138:                             ;   in Loop: Header=BB6_130 Depth=2
	v_bfe_i32 v0, v0, 0, 8
	v_cmp_eq_u32_e32 vcc_lo, 0, v1
	s_delay_alu instid0(VALU_DEP_2) | instskip(NEXT) | instid1(VALU_DEP_1)
	v_cmp_lt_i16_e64 s10, -1, v0
	v_cndmask_b32_e64 v0, 0xff800000, v62, s10
	s_delay_alu instid0(VALU_DEP_1)
	v_cndmask_b32_e32 v5, 0x7f800001, v0, vcc_lo
; %bb.4139:                             ;   in Loop: Header=BB6_130 Depth=2
	s_or_b32 exec_lo, exec_lo, s42
.LBB6_4140:                             ;   in Loop: Header=BB6_130 Depth=2
	s_delay_alu instid0(SALU_CYCLE_1)
	s_or_b32 exec_lo, exec_lo, s15
.LBB6_4141:                             ;   in Loop: Header=BB6_130 Depth=2
	s_delay_alu instid0(SALU_CYCLE_1) | instskip(NEXT) | instid1(VALU_DEP_1)
	s_or_b32 exec_lo, exec_lo, s11
	v_dual_max_num_f32 v0, v5, v5 :: v_dual_max_num_f32 v1, v3, v3
	s_delay_alu instid0(VALU_DEP_1)
	v_min_num_f32_e32 v3, v1, v0
.LBB6_4142:                             ;   in Loop: Header=BB6_130 Depth=2
	s_delay_alu instid0(VALU_DEP_1) | instskip(SKIP_2) | instid1(VALU_DEP_2)
	v_and_b32_e32 v0, 0x7f800000, v3
	v_mov_b32_e32 v1, v25
	v_and_b32_e32 v24, 0x7fffff, v3
                                        ; implicit-def: $vgpr5
	v_cmp_ne_u64_e32 vcc_lo, 0x7f800000, v[0:1]
	v_lshrrev_b32_e32 v0, 24, v3
	s_and_saveexec_b32 s10, vcc_lo
	s_delay_alu instid0(SALU_CYCLE_1)
	s_xor_b32 s11, exec_lo, s10
	s_cbranch_execz .LBB6_4156
; %bb.4143:                             ;   in Loop: Header=BB6_130 Depth=2
	v_and_b32_e32 v114, 0x7fffffff, v3
	v_mov_b32_e32 v115, v25
                                        ; implicit-def: $vgpr5
	s_delay_alu instid0(VALU_DEP_1) | instskip(SKIP_2) | instid1(SALU_CYCLE_1)
	v_cmp_gt_u64_e32 vcc_lo, 0x47600001, v[114:115]
	v_and_b32_e32 v114, 0x80, v0
	s_and_saveexec_b32 s10, vcc_lo
	s_xor_b32 s15, exec_lo, s10
	s_cbranch_execz .LBB6_4153
; %bb.4144:                             ;   in Loop: Header=BB6_130 Depth=2
	v_mov_b32_e32 v5, 0
	s_mov_b32 s42, exec_lo
	v_cmpx_ne_u32_e32 0, v3
	s_cbranch_execz .LBB6_4152
; %bb.4145:                             ;   in Loop: Header=BB6_130 Depth=2
	v_bfe_u32 v5, v3, 23, 8
	v_or_b32_e32 v1, 0x800000, v24
	s_delay_alu instid0(VALU_DEP_2) | instskip(SKIP_2) | instid1(VALU_DEP_2)
	v_cmp_gt_u32_e64 s10, 0x72, v5
	v_sub_nc_u32_e32 v0, 0x71, v5
	v_cmp_eq_u32_e32 vcc_lo, 0, v5
	v_cndmask_b32_e64 v0, 0, v0, s10
	s_delay_alu instid0(VALU_DEP_1) | instskip(NEXT) | instid1(VALU_DEP_1)
	v_cndmask_b32_e64 v115, v0, 0x70, vcc_lo
	v_dual_cndmask_b32 v24, v1, v24, vcc_lo :: v_dual_add_nc_u32 v0, 21, v115
	v_add_nc_u32_e32 v2, 20, v115
	s_delay_alu instid0(VALU_DEP_2) | instskip(NEXT) | instid1(VALU_DEP_2)
	v_lshlrev_b64_e64 v[0:1], v0, -1
	v_lshlrev_b64_e64 v[2:3], v2, 1
	s_delay_alu instid0(VALU_DEP_2) | instskip(NEXT) | instid1(VALU_DEP_3)
	v_bfi_b32 v1, v1, 0, 0
	v_bfi_b32 v0, v0, 0, v24
	s_delay_alu instid0(VALU_DEP_1) | instskip(SKIP_1) | instid1(VALU_DEP_1)
	v_cmp_eq_u64_e64 s10, v[0:1], v[2:3]
	v_lshrrev_b64 v[0:1], v115, v[24:25]
	v_mov_b64_e32 v[2:3], v[0:1]
	s_and_saveexec_b32 s43, s10
; %bb.4146:                             ;   in Loop: Header=BB6_130 Depth=2
	v_bfe_u32 v24, v0, 21, 1
	s_delay_alu instid0(VALU_DEP_1) | instskip(NEXT) | instid1(VALU_DEP_1)
	v_add_nc_u64_e32 v[2:3], v[0:1], v[24:25]
	v_add_nc_u64_e32 v[2:3], -1, v[2:3]
; %bb.4147:                             ;   in Loop: Header=BB6_130 Depth=2
	s_or_b32 exec_lo, exec_lo, s43
	v_add_nc_u32_e32 v1, 0xffffff81, v5
	v_lshrrev_b32_e32 v3, 23, v0
	s_mov_b32 s10, exec_lo
	s_delay_alu instid0(VALU_DEP_2) | instskip(NEXT) | instid1(VALU_DEP_1)
	v_cndmask_b32_e64 v1, v1, 0xffffff82, vcc_lo
	v_add3_u32 v5, v115, v1, v3
	v_and_b32_e32 v1, 0x1fffff, v2
                                        ; implicit-def: $vgpr2
	s_delay_alu instid0(VALU_DEP_1) | instskip(NEXT) | instid1(VALU_DEP_1)
	v_dual_add_nc_u32 v3, 14, v5 :: v_dual_add_nc_u32 v24, v1, v0
                                        ; implicit-def: $vgpr0_vgpr1
	v_cmpx_ne_u32_e32 0, v3
	s_xor_b32 s10, exec_lo, s10
; %bb.4148:                             ;   in Loop: Header=BB6_130 Depth=2
	s_delay_alu instid0(VALU_DEP_2) | instskip(SKIP_1) | instid1(VALU_DEP_1)
	v_cmp_lt_u64_e32 vcc_lo, 0xffffff, v[24:25]
	v_add_nc_u32_e32 v0, 15, v5
	v_cndmask_b32_e32 v2, v3, v0, vcc_lo
	v_cndmask_b32_e64 v0, 0, 1, vcc_lo
	s_delay_alu instid0(VALU_DEP_1)
	v_lshrrev_b64 v[0:1], v0, v[24:25]
; %bb.4149:                             ;   in Loop: Header=BB6_130 Depth=2
	s_and_not1_saveexec_b32 s10, s10
; %bb.4150:                             ;   in Loop: Header=BB6_130 Depth=2
	v_mov_b64_e32 v[0:1], v[24:25]
	v_bfe_u32 v2, v24, 23, 1
; %bb.4151:                             ;   in Loop: Header=BB6_130 Depth=2
	s_or_b32 exec_lo, exec_lo, s10
	s_delay_alu instid0(VALU_DEP_2) | instskip(NEXT) | instid1(VALU_DEP_2)
	v_lshrrev_b64 v[0:1], 21, v[0:1]
	v_cmp_gt_i32_e32 vcc_lo, 32, v2
	v_min_i32_e32 v3, 31, v2
	v_cmp_eq_u32_e64 s10, 0, v2
	s_delay_alu instid0(VALU_DEP_2) | instskip(SKIP_1) | instid1(VALU_DEP_2)
	v_dual_cndmask_b32 v1, 0, v1, vcc_lo :: v_dual_lshlrev_b32 v3, 2, v3
	v_cndmask_b32_e32 v0, 3, v0, vcc_lo
	v_and_b32_e32 v3, 0xfc, v3
	s_delay_alu instid0(VALU_DEP_2) | instskip(NEXT) | instid1(VALU_DEP_2)
	v_cmp_eq_u64_e32 vcc_lo, 0, v[0:1]
	v_and_or_b32 v0, v0, 3, v3
	s_and_b32 s10, s10, vcc_lo
	s_delay_alu instid0(VALU_DEP_1) | instid1(SALU_CYCLE_1)
	v_cndmask_b32_e64 v0, v0, 0, s10
	s_delay_alu instid0(VALU_DEP_1)
	v_or_b32_e32 v5, v0, v114
.LBB6_4152:                             ;   in Loop: Header=BB6_130 Depth=2
	s_or_b32 exec_lo, exec_lo, s42
                                        ; implicit-def: $vgpr114
.LBB6_4153:                             ;   in Loop: Header=BB6_130 Depth=2
	s_and_not1_saveexec_b32 s10, s15
; %bb.4154:                             ;   in Loop: Header=BB6_130 Depth=2
	v_or_b32_e32 v5, 0x7b, v114
; %bb.4155:                             ;   in Loop: Header=BB6_130 Depth=2
	s_or_b32 exec_lo, exec_lo, s10
                                        ; implicit-def: $vgpr3
                                        ; implicit-def: $vgpr0
.LBB6_4156:                             ;   in Loop: Header=BB6_130 Depth=2
	s_and_not1_saveexec_b32 s10, s11
	s_cbranch_execz .LBB6_4162
; %bb.4157:                             ;   in Loop: Header=BB6_130 Depth=2
	s_mov_b32 s11, exec_lo
                                        ; implicit-def: $vgpr5
	v_cmpx_ne_u64_e32 0, v[24:25]
	s_xor_b32 s11, exec_lo, s11
; %bb.4158:                             ;   in Loop: Header=BB6_130 Depth=2
	v_or_b32_e32 v5, 0x7f, v0
                                        ; implicit-def: $vgpr3
; %bb.4159:                             ;   in Loop: Header=BB6_130 Depth=2
	s_and_not1_saveexec_b32 s11, s11
; %bb.4160:                             ;   in Loop: Header=BB6_130 Depth=2
	v_cmp_lt_i32_e32 vcc_lo, -1, v3
	v_cndmask_b32_e32 v5, 0xfc, v93, vcc_lo
; %bb.4161:                             ;   in Loop: Header=BB6_130 Depth=2
	s_or_b32 exec_lo, exec_lo, s11
.LBB6_4162:                             ;   in Loop: Header=BB6_130 Depth=2
	s_delay_alu instid0(SALU_CYCLE_1)
	s_or_b32 exec_lo, exec_lo, s10
	v_cmp_lt_u64_e64 s10, s[16:17], v[16:17]
	v_lshrrev_b32_e32 v2, 24, v17
	v_lshrrev_b32_e32 v0, 24, v13
	s_mov_b32 s11, -1
	s_and_not1_b32 vcc_lo, exec_lo, s14
                                        ; implicit-def: $vgpr1
	s_cbranch_vccnz .LBB6_4184
; %bb.4163:                             ;   in Loop: Header=BB6_130 Depth=2
	v_dual_mov_b32 v3, 0 :: v_dual_mov_b32 v1, 0
	s_and_saveexec_b32 s15, s10
	s_cbranch_execz .LBB6_4173
; %bb.4164:                             ;   in Loop: Header=BB6_130 Depth=2
	v_bfrev_b32_e32 v1, 1
	s_mov_b32 s42, exec_lo
	v_cmpx_ne_u32_e32 0x80, v2
	s_cbranch_execz .LBB6_4172
; %bb.4165:                             ;   in Loop: Header=BB6_130 Depth=2
	v_and_b32_e32 v1, 0x7c000000, v17
	v_bfe_u32 v24, v17, 24, 2
	s_delay_alu instid0(VALU_DEP_2) | instskip(SKIP_1) | instid1(SALU_CYCLE_1)
	v_cmp_ne_u32_e32 vcc_lo, 0x7c000000, v1
                                        ; implicit-def: $vgpr1
	s_and_saveexec_b32 s11, vcc_lo
	s_xor_b32 s11, exec_lo, s11
	s_cbranch_execz .LBB6_4169
; %bb.4166:                             ;   in Loop: Header=BB6_130 Depth=2
	v_bfe_u32 v1, v17, 26, 5
	s_mov_b32 s43, exec_lo
	s_delay_alu instid0(VALU_DEP_1)
	v_cmpx_eq_u32_e32 0, v1
; %bb.4167:                             ;   in Loop: Header=BB6_130 Depth=2
	v_clz_i32_u32_e32 v1, v24
	s_delay_alu instid0(VALU_DEP_1) | instskip(NEXT) | instid1(VALU_DEP_1)
	v_min_u32_e32 v1, 32, v1
	v_subrev_nc_u32_e32 v24, 29, v1
	s_delay_alu instid0(VALU_DEP_1) | instskip(NEXT) | instid1(VALU_DEP_1)
	v_lshlrev_b64_e32 v[114:115], v24, v[2:3]
	v_dual_sub_nc_u32 v1, 30, v1 :: v_dual_bitop2_b32 v24, 3, v114 bitop3:0x40
; %bb.4168:                             ;   in Loop: Header=BB6_130 Depth=2
	s_or_b32 exec_lo, exec_lo, s43
	v_and_b32_e32 v114, 0x80000000, v17
	s_delay_alu instid0(VALU_DEP_1) | instskip(NEXT) | instid1(VALU_DEP_1)
	v_lshl_add_u32 v1, v1, 23, v114
	v_lshl_or_b32 v1, v24, 21, v1
                                        ; implicit-def: $vgpr24
	s_delay_alu instid0(VALU_DEP_1)
	v_add_nc_u32_e32 v1, 0x38000000, v1
.LBB6_4169:                             ;   in Loop: Header=BB6_130 Depth=2
	s_and_not1_saveexec_b32 s43, s11
; %bb.4170:                             ;   in Loop: Header=BB6_130 Depth=2
	v_cmp_lt_i64_e64 s11, -1, v[16:17]
	v_cmp_eq_u32_e32 vcc_lo, 0, v24
	s_delay_alu instid0(VALU_DEP_2) | instskip(NEXT) | instid1(VALU_DEP_1)
	v_cndmask_b32_e64 v1, 0xff800000, v62, s11
	v_cndmask_b32_e32 v1, 0x7f800001, v1, vcc_lo
; %bb.4171:                             ;   in Loop: Header=BB6_130 Depth=2
	s_or_b32 exec_lo, exec_lo, s43
.LBB6_4172:                             ;   in Loop: Header=BB6_130 Depth=2
	s_delay_alu instid0(SALU_CYCLE_1)
	s_or_b32 exec_lo, exec_lo, s42
.LBB6_4173:                             ;   in Loop: Header=BB6_130 Depth=2
	s_delay_alu instid0(SALU_CYCLE_1) | instskip(NEXT) | instid1(SALU_CYCLE_1)
	s_or_b32 exec_lo, exec_lo, s15
	s_mov_b32 s15, exec_lo
	v_cmpx_lt_u64_e64 s[16:17], v[12:13]
	s_cbranch_execz .LBB6_4183
; %bb.4174:                             ;   in Loop: Header=BB6_130 Depth=2
	v_bfrev_b32_e32 v3, 1
	s_mov_b32 s42, exec_lo
	v_cmpx_ne_u32_e32 0x80, v0
	s_cbranch_execz .LBB6_4182
; %bb.4175:                             ;   in Loop: Header=BB6_130 Depth=2
	v_and_b32_e32 v3, 0x7c000000, v13
	v_bfe_u32 v24, v13, 24, 2
	s_delay_alu instid0(VALU_DEP_2) | instskip(SKIP_1) | instid1(SALU_CYCLE_1)
	v_cmp_ne_u32_e32 vcc_lo, 0x7c000000, v3
                                        ; implicit-def: $vgpr3
	s_and_saveexec_b32 s11, vcc_lo
	s_xor_b32 s11, exec_lo, s11
	s_cbranch_execz .LBB6_4179
; %bb.4176:                             ;   in Loop: Header=BB6_130 Depth=2
	v_bfe_u32 v3, v13, 26, 5
	s_mov_b32 s43, exec_lo
	s_delay_alu instid0(VALU_DEP_1)
	v_cmpx_eq_u32_e32 0, v3
; %bb.4177:                             ;   in Loop: Header=BB6_130 Depth=2
	v_clz_i32_u32_e32 v3, v24
	s_delay_alu instid0(VALU_DEP_1) | instskip(NEXT) | instid1(VALU_DEP_1)
	v_min_u32_e32 v3, 32, v3
	v_subrev_nc_u32_e32 v24, 29, v3
	s_delay_alu instid0(VALU_DEP_1) | instskip(NEXT) | instid1(VALU_DEP_1)
	v_lshlrev_b64_e32 v[114:115], v24, v[0:1]
	v_dual_sub_nc_u32 v3, 30, v3 :: v_dual_bitop2_b32 v24, 3, v114 bitop3:0x40
; %bb.4178:                             ;   in Loop: Header=BB6_130 Depth=2
	s_or_b32 exec_lo, exec_lo, s43
	v_and_b32_e32 v114, 0x80000000, v13
	s_delay_alu instid0(VALU_DEP_1) | instskip(NEXT) | instid1(VALU_DEP_1)
	v_lshl_add_u32 v3, v3, 23, v114
	v_lshl_or_b32 v3, v24, 21, v3
                                        ; implicit-def: $vgpr24
	s_delay_alu instid0(VALU_DEP_1)
	v_add_nc_u32_e32 v3, 0x38000000, v3
.LBB6_4179:                             ;   in Loop: Header=BB6_130 Depth=2
	s_and_not1_saveexec_b32 s43, s11
; %bb.4180:                             ;   in Loop: Header=BB6_130 Depth=2
	v_cmp_lt_i64_e64 s11, -1, v[12:13]
	v_cmp_eq_u32_e32 vcc_lo, 0, v24
	s_delay_alu instid0(VALU_DEP_2) | instskip(NEXT) | instid1(VALU_DEP_1)
	v_cndmask_b32_e64 v3, 0xff800000, v62, s11
	v_cndmask_b32_e32 v3, 0x7f800001, v3, vcc_lo
; %bb.4181:                             ;   in Loop: Header=BB6_130 Depth=2
	s_or_b32 exec_lo, exec_lo, s43
.LBB6_4182:                             ;   in Loop: Header=BB6_130 Depth=2
	s_delay_alu instid0(SALU_CYCLE_1)
	s_or_b32 exec_lo, exec_lo, s42
.LBB6_4183:                             ;   in Loop: Header=BB6_130 Depth=2
	s_delay_alu instid0(SALU_CYCLE_1) | instskip(NEXT) | instid1(VALU_DEP_1)
	s_or_b32 exec_lo, exec_lo, s15
	v_dual_max_num_f32 v3, v3, v3 :: v_dual_max_num_f32 v1, v1, v1
	s_mov_b32 s11, 0
	s_delay_alu instid0(VALU_DEP_1)
	v_max_num_f32_e32 v1, v1, v3
.LBB6_4184:                             ;   in Loop: Header=BB6_130 Depth=2
	s_and_b32 vcc_lo, exec_lo, s11
	s_cbranch_vccz .LBB6_4206
; %bb.4185:                             ;   in Loop: Header=BB6_130 Depth=2
	v_dual_mov_b32 v3, 0 :: v_dual_mov_b32 v1, 0
	s_and_saveexec_b32 s11, s10
	s_cbranch_execz .LBB6_4195
; %bb.4186:                             ;   in Loop: Header=BB6_130 Depth=2
	v_bfrev_b32_e32 v1, 1
	s_mov_b32 s15, exec_lo
	v_cmpx_ne_u32_e32 0x80, v2
	s_cbranch_execz .LBB6_4194
; %bb.4187:                             ;   in Loop: Header=BB6_130 Depth=2
	v_and_b32_e32 v1, 0x7c000000, v17
	v_bfe_u32 v24, v17, 24, 2
	s_delay_alu instid0(VALU_DEP_2) | instskip(SKIP_1) | instid1(SALU_CYCLE_1)
	v_cmp_ne_u32_e32 vcc_lo, 0x7c000000, v1
                                        ; implicit-def: $vgpr1
	s_and_saveexec_b32 s10, vcc_lo
	s_xor_b32 s10, exec_lo, s10
	s_cbranch_execz .LBB6_4191
; %bb.4188:                             ;   in Loop: Header=BB6_130 Depth=2
	v_bfe_u32 v1, v17, 26, 5
	s_mov_b32 s42, exec_lo
	s_delay_alu instid0(VALU_DEP_1)
	v_cmpx_eq_u32_e32 0, v1
; %bb.4189:                             ;   in Loop: Header=BB6_130 Depth=2
	v_clz_i32_u32_e32 v1, v24
	s_delay_alu instid0(VALU_DEP_1) | instskip(NEXT) | instid1(VALU_DEP_1)
	v_min_u32_e32 v1, 32, v1
	v_subrev_nc_u32_e32 v16, 29, v1
	s_delay_alu instid0(VALU_DEP_1) | instskip(NEXT) | instid1(VALU_DEP_1)
	v_lshlrev_b64_e32 v[114:115], v16, v[2:3]
	v_dual_sub_nc_u32 v1, 30, v1 :: v_dual_bitop2_b32 v24, 3, v114 bitop3:0x40
; %bb.4190:                             ;   in Loop: Header=BB6_130 Depth=2
	s_or_b32 exec_lo, exec_lo, s42
	v_and_b32_e32 v2, 0x80000000, v17
                                        ; implicit-def: $vgpr16_vgpr17
	s_delay_alu instid0(VALU_DEP_1) | instskip(NEXT) | instid1(VALU_DEP_1)
	v_lshl_add_u32 v1, v1, 23, v2
	v_lshl_or_b32 v1, v24, 21, v1
                                        ; implicit-def: $vgpr24
	s_delay_alu instid0(VALU_DEP_1)
	v_add_nc_u32_e32 v1, 0x38000000, v1
.LBB6_4191:                             ;   in Loop: Header=BB6_130 Depth=2
	s_and_not1_saveexec_b32 s42, s10
; %bb.4192:                             ;   in Loop: Header=BB6_130 Depth=2
	v_cmp_lt_i64_e64 s10, -1, v[16:17]
	v_cmp_eq_u32_e32 vcc_lo, 0, v24
	s_delay_alu instid0(VALU_DEP_2) | instskip(NEXT) | instid1(VALU_DEP_1)
	v_cndmask_b32_e64 v1, 0xff800000, v62, s10
	v_cndmask_b32_e32 v1, 0x7f800001, v1, vcc_lo
; %bb.4193:                             ;   in Loop: Header=BB6_130 Depth=2
	s_or_b32 exec_lo, exec_lo, s42
.LBB6_4194:                             ;   in Loop: Header=BB6_130 Depth=2
	s_delay_alu instid0(SALU_CYCLE_1)
	s_or_b32 exec_lo, exec_lo, s15
.LBB6_4195:                             ;   in Loop: Header=BB6_130 Depth=2
	s_delay_alu instid0(SALU_CYCLE_1) | instskip(NEXT) | instid1(SALU_CYCLE_1)
	s_or_b32 exec_lo, exec_lo, s11
	s_mov_b32 s11, exec_lo
	v_cmpx_lt_u64_e64 s[16:17], v[12:13]
	s_cbranch_execz .LBB6_4205
; %bb.4196:                             ;   in Loop: Header=BB6_130 Depth=2
	v_bfrev_b32_e32 v3, 1
	s_mov_b32 s15, exec_lo
	v_cmpx_ne_u32_e32 0x80, v0
	s_cbranch_execz .LBB6_4204
; %bb.4197:                             ;   in Loop: Header=BB6_130 Depth=2
	v_and_b32_e32 v3, 0x7c000000, v13
	v_bfe_u32 v2, v13, 24, 2
	s_delay_alu instid0(VALU_DEP_2) | instskip(SKIP_1) | instid1(SALU_CYCLE_1)
	v_cmp_ne_u32_e32 vcc_lo, 0x7c000000, v3
                                        ; implicit-def: $vgpr3
	s_and_saveexec_b32 s10, vcc_lo
	s_xor_b32 s10, exec_lo, s10
	s_cbranch_execz .LBB6_4201
; %bb.4198:                             ;   in Loop: Header=BB6_130 Depth=2
	v_bfe_u32 v3, v13, 26, 5
	s_mov_b32 s42, exec_lo
	s_delay_alu instid0(VALU_DEP_1)
	v_cmpx_eq_u32_e32 0, v3
; %bb.4199:                             ;   in Loop: Header=BB6_130 Depth=2
	v_clz_i32_u32_e32 v2, v2
	s_delay_alu instid0(VALU_DEP_1) | instskip(NEXT) | instid1(VALU_DEP_1)
	v_min_u32_e32 v12, 32, v2
	v_subrev_nc_u32_e32 v2, 29, v12
	s_delay_alu instid0(VALU_DEP_1) | instskip(NEXT) | instid1(VALU_DEP_1)
	v_lshlrev_b64_e32 v[2:3], v2, v[0:1]
	v_dual_sub_nc_u32 v3, 30, v12 :: v_dual_bitop2_b32 v2, 3, v2 bitop3:0x40
; %bb.4200:                             ;   in Loop: Header=BB6_130 Depth=2
	s_or_b32 exec_lo, exec_lo, s42
	v_and_b32_e32 v0, 0x80000000, v13
                                        ; implicit-def: $vgpr12_vgpr13
	s_delay_alu instid0(VALU_DEP_1) | instskip(NEXT) | instid1(VALU_DEP_1)
	v_lshl_add_u32 v0, v3, 23, v0
	v_lshl_or_b32 v0, v2, 21, v0
                                        ; implicit-def: $vgpr2
	s_delay_alu instid0(VALU_DEP_1)
	v_add_nc_u32_e32 v3, 0x38000000, v0
.LBB6_4201:                             ;   in Loop: Header=BB6_130 Depth=2
	s_and_not1_saveexec_b32 s42, s10
; %bb.4202:                             ;   in Loop: Header=BB6_130 Depth=2
	v_cmp_lt_i64_e64 s10, -1, v[12:13]
	v_cmp_eq_u32_e32 vcc_lo, 0, v2
	s_delay_alu instid0(VALU_DEP_2) | instskip(NEXT) | instid1(VALU_DEP_1)
	v_cndmask_b32_e64 v0, 0xff800000, v62, s10
	v_cndmask_b32_e32 v3, 0x7f800001, v0, vcc_lo
; %bb.4203:                             ;   in Loop: Header=BB6_130 Depth=2
	s_or_b32 exec_lo, exec_lo, s42
.LBB6_4204:                             ;   in Loop: Header=BB6_130 Depth=2
	s_delay_alu instid0(SALU_CYCLE_1)
	s_or_b32 exec_lo, exec_lo, s15
.LBB6_4205:                             ;   in Loop: Header=BB6_130 Depth=2
	s_delay_alu instid0(SALU_CYCLE_1) | instskip(NEXT) | instid1(VALU_DEP_1)
	s_or_b32 exec_lo, exec_lo, s11
	v_dual_max_num_f32 v0, v3, v3 :: v_dual_max_num_f32 v1, v1, v1
	s_delay_alu instid0(VALU_DEP_1)
	v_min_num_f32_e32 v1, v1, v0
.LBB6_4206:                             ;   in Loop: Header=BB6_130 Depth=2
	s_delay_alu instid0(VALU_DEP_1) | instskip(SKIP_2) | instid1(VALU_DEP_2)
	v_and_b32_e32 v2, 0x7f800000, v1
	v_mov_b32_e32 v3, v25
	v_and_b32_e32 v24, 0x7fffff, v1
                                        ; implicit-def: $vgpr0
	v_cmp_ne_u64_e32 vcc_lo, 0x7f800000, v[2:3]
	v_lshrrev_b32_e32 v2, 24, v1
	s_and_saveexec_b32 s10, vcc_lo
	s_delay_alu instid0(SALU_CYCLE_1)
	s_xor_b32 s11, exec_lo, s10
	s_cbranch_execz .LBB6_4220
; %bb.4207:                             ;   in Loop: Header=BB6_130 Depth=2
	v_and_b32_e32 v12, 0x7fffffff, v1
	v_mov_b32_e32 v13, v25
                                        ; implicit-def: $vgpr0
	s_delay_alu instid0(VALU_DEP_1) | instskip(SKIP_2) | instid1(SALU_CYCLE_1)
	v_cmp_gt_u64_e32 vcc_lo, 0x47600001, v[12:13]
	v_and_b32_e32 v12, 0x80, v2
	s_and_saveexec_b32 s10, vcc_lo
	s_xor_b32 s15, exec_lo, s10
	s_cbranch_execz .LBB6_4217
; %bb.4208:                             ;   in Loop: Header=BB6_130 Depth=2
	v_mov_b32_e32 v0, 0
	s_mov_b32 s42, exec_lo
	v_cmpx_ne_u32_e32 0, v1
	s_cbranch_execz .LBB6_4216
; %bb.4209:                             ;   in Loop: Header=BB6_130 Depth=2
	v_bfe_u32 v13, v1, 23, 8
	v_or_b32_e32 v1, 0x800000, v24
	s_delay_alu instid0(VALU_DEP_2) | instskip(SKIP_2) | instid1(VALU_DEP_2)
	v_cmp_gt_u32_e64 s10, 0x72, v13
	v_sub_nc_u32_e32 v0, 0x71, v13
	v_cmp_eq_u32_e32 vcc_lo, 0, v13
	v_cndmask_b32_e64 v0, 0, v0, s10
	v_cndmask_b32_e32 v24, v1, v24, vcc_lo
	s_delay_alu instid0(VALU_DEP_2) | instskip(NEXT) | instid1(VALU_DEP_1)
	v_cndmask_b32_e64 v16, v0, 0x70, vcc_lo
	v_dual_add_nc_u32 v0, 21, v16 :: v_dual_add_nc_u32 v2, 20, v16
	s_delay_alu instid0(VALU_DEP_1) | instskip(NEXT) | instid1(VALU_DEP_2)
	v_lshlrev_b64_e64 v[0:1], v0, -1
	v_lshlrev_b64_e64 v[2:3], v2, 1
	s_delay_alu instid0(VALU_DEP_2) | instskip(NEXT) | instid1(VALU_DEP_3)
	v_bfi_b32 v1, v1, 0, 0
	v_bfi_b32 v0, v0, 0, v24
	s_delay_alu instid0(VALU_DEP_1) | instskip(SKIP_1) | instid1(VALU_DEP_1)
	v_cmp_eq_u64_e64 s10, v[0:1], v[2:3]
	v_lshrrev_b64 v[0:1], v16, v[24:25]
	v_mov_b64_e32 v[2:3], v[0:1]
	s_and_saveexec_b32 s43, s10
; %bb.4210:                             ;   in Loop: Header=BB6_130 Depth=2
	v_bfe_u32 v24, v0, 21, 1
	s_delay_alu instid0(VALU_DEP_1) | instskip(NEXT) | instid1(VALU_DEP_1)
	v_add_nc_u64_e32 v[2:3], v[0:1], v[24:25]
	v_add_nc_u64_e32 v[2:3], -1, v[2:3]
; %bb.4211:                             ;   in Loop: Header=BB6_130 Depth=2
	s_or_b32 exec_lo, exec_lo, s43
	v_add_nc_u32_e32 v1, 0xffffff81, v13
	v_lshrrev_b32_e32 v3, 23, v0
	s_mov_b32 s10, exec_lo
	s_delay_alu instid0(VALU_DEP_2) | instskip(NEXT) | instid1(VALU_DEP_1)
	v_cndmask_b32_e64 v1, v1, 0xffffff82, vcc_lo
	v_add3_u32 v13, v16, v1, v3
	v_and_b32_e32 v1, 0x1fffff, v2
                                        ; implicit-def: $vgpr2
	s_delay_alu instid0(VALU_DEP_1) | instskip(NEXT) | instid1(VALU_DEP_1)
	v_dual_add_nc_u32 v3, 14, v13 :: v_dual_add_nc_u32 v24, v1, v0
                                        ; implicit-def: $vgpr0_vgpr1
	v_cmpx_ne_u32_e32 0, v3
	s_xor_b32 s10, exec_lo, s10
; %bb.4212:                             ;   in Loop: Header=BB6_130 Depth=2
	s_delay_alu instid0(VALU_DEP_2) | instskip(SKIP_1) | instid1(VALU_DEP_1)
	v_cmp_lt_u64_e32 vcc_lo, 0xffffff, v[24:25]
	v_add_nc_u32_e32 v0, 15, v13
	v_cndmask_b32_e32 v2, v3, v0, vcc_lo
	v_cndmask_b32_e64 v0, 0, 1, vcc_lo
	s_delay_alu instid0(VALU_DEP_1)
	v_lshrrev_b64 v[0:1], v0, v[24:25]
; %bb.4213:                             ;   in Loop: Header=BB6_130 Depth=2
	s_and_not1_saveexec_b32 s10, s10
; %bb.4214:                             ;   in Loop: Header=BB6_130 Depth=2
	v_mov_b64_e32 v[0:1], v[24:25]
	v_bfe_u32 v2, v24, 23, 1
; %bb.4215:                             ;   in Loop: Header=BB6_130 Depth=2
	s_or_b32 exec_lo, exec_lo, s10
	s_delay_alu instid0(VALU_DEP_2) | instskip(NEXT) | instid1(VALU_DEP_2)
	v_lshrrev_b64 v[0:1], 21, v[0:1]
	v_cmp_gt_i32_e32 vcc_lo, 32, v2
	v_min_i32_e32 v3, 31, v2
	v_cmp_eq_u32_e64 s10, 0, v2
	s_delay_alu instid0(VALU_DEP_2) | instskip(SKIP_1) | instid1(VALU_DEP_2)
	v_dual_cndmask_b32 v1, 0, v1, vcc_lo :: v_dual_lshlrev_b32 v3, 2, v3
	v_cndmask_b32_e32 v0, 3, v0, vcc_lo
	v_and_b32_e32 v3, 0xfc, v3
	s_delay_alu instid0(VALU_DEP_2) | instskip(NEXT) | instid1(VALU_DEP_2)
	v_cmp_eq_u64_e32 vcc_lo, 0, v[0:1]
	v_and_or_b32 v0, v0, 3, v3
	s_and_b32 s10, s10, vcc_lo
	s_delay_alu instid0(VALU_DEP_1) | instid1(SALU_CYCLE_1)
	v_cndmask_b32_e64 v0, v0, 0, s10
	s_delay_alu instid0(VALU_DEP_1)
	v_or_b32_e32 v0, v0, v12
.LBB6_4216:                             ;   in Loop: Header=BB6_130 Depth=2
	s_or_b32 exec_lo, exec_lo, s42
                                        ; implicit-def: $vgpr12
.LBB6_4217:                             ;   in Loop: Header=BB6_130 Depth=2
	s_and_not1_saveexec_b32 s10, s15
; %bb.4218:                             ;   in Loop: Header=BB6_130 Depth=2
	v_or_b32_e32 v0, 0x7b, v12
; %bb.4219:                             ;   in Loop: Header=BB6_130 Depth=2
	s_or_b32 exec_lo, exec_lo, s10
                                        ; implicit-def: $vgpr1
                                        ; implicit-def: $vgpr2
.LBB6_4220:                             ;   in Loop: Header=BB6_130 Depth=2
	s_and_not1_saveexec_b32 s10, s11
	s_cbranch_execz .LBB6_129
; %bb.4221:                             ;   in Loop: Header=BB6_130 Depth=2
	s_mov_b32 s11, exec_lo
                                        ; implicit-def: $vgpr0
	v_cmpx_ne_u64_e32 0, v[24:25]
	s_xor_b32 s11, exec_lo, s11
; %bb.4222:                             ;   in Loop: Header=BB6_130 Depth=2
	v_or_b32_e32 v0, 0x7f, v2
                                        ; implicit-def: $vgpr1
; %bb.4223:                             ;   in Loop: Header=BB6_130 Depth=2
	s_and_not1_saveexec_b32 s11, s11
	s_cbranch_execz .LBB6_128
; %bb.4224:                             ;   in Loop: Header=BB6_130 Depth=2
	v_cmp_lt_i32_e32 vcc_lo, -1, v1
	v_cndmask_b32_e32 v0, 0xfc, v93, vcc_lo
	s_branch .LBB6_128
.LBB6_4225:                             ;   in Loop: Header=BB6_49 Depth=1
	s_or_b32 exec_lo, exec_lo, s13
	s_clause 0x2
	scratch_load_b32 v112, off, s33 offset:324
	scratch_load_b64 v[114:115], off, s33 offset:328
	scratch_load_b64 v[46:47], off, s33 offset:336
	v_mov_b64_e32 v[72:73], v[60:61]
	v_dual_mov_b32 v44, 0x7f800000 :: v_dual_mov_b32 v103, v119
	v_dual_mov_b32 v102, v118 :: v_dual_mov_b32 v58, v40
	v_mov_b32_e32 v59, v41
.LBB6_4226:                             ;   in Loop: Header=BB6_49 Depth=1
	s_wait_xcnt 0x0
	s_or_b32 exec_lo, exec_lo, s12
	v_and_b32_e32 v0, 0x3ffff800, v45
	v_mov_b32_e32 v9, 0
	s_mov_b32 s10, 0
	s_mov_b32 s42, exec_lo
                                        ; implicit-def: $vgpr3
                                        ; implicit-def: $vgpr4
	s_delay_alu instid0(VALU_DEP_2)
	v_cmpx_ne_u32_e64 v45, v0
	s_cbranch_execz .LBB6_5128
; %bb.4227:                             ;   in Loop: Header=BB6_49 Depth=1
	scratch_load_b32 v2, off, s33 offset:452 ; 4-byte Folded Reload
	v_lshlrev_b32_e32 v1, 5, v22
	v_and_b32_e32 v9, 0x1ff, v45
	v_bfe_u32 v4, v45, 9, 2
	s_delay_alu instid0(VALU_DEP_2) | instskip(NEXT) | instid1(VALU_DEP_1)
	v_cmp_lt_u32_e64 s10, 15, v9
	v_add_co_ci_u32_e64 v4, null, 0, v4, s10
	s_wait_loadcnt 0x0
	v_sub_nc_u32_e32 v1, v2, v1
	s_delay_alu instid0(VALU_DEP_1) | instskip(NEXT) | instid1(VALU_DEP_1)
	v_ashrrev_i32_e32 v2, 31, v1
	v_lshrrev_b32_e32 v2, 27, v2
	s_delay_alu instid0(VALU_DEP_1) | instskip(NEXT) | instid1(VALU_DEP_1)
	v_add_nc_u32_e32 v2, v1, v2
	v_and_b32_e32 v3, 0xffffffe0, v2
	s_delay_alu instid0(VALU_DEP_1) | instskip(SKIP_1) | instid1(VALU_DEP_2)
	v_sub_nc_u32_e32 v8, v1, v3
	v_and_b32_e32 v3, 0x7ff, v45
	v_dual_lshlrev_b32 v1, 4, v8 :: v_dual_ashrrev_i32 v2, 5, v2
	s_delay_alu instid0(VALU_DEP_1) | instskip(NEXT) | instid1(VALU_DEP_1)
	v_lshl_add_u32 v1, v2, 9, v1
	v_dual_sub_nc_u32 v23, v3, v1 :: v_dual_sub_nc_u32 v22, v4, v2
	s_delay_alu instid0(VALU_DEP_1) | instskip(SKIP_4) | instid1(SALU_CYCLE_1)
	v_cmp_lt_i32_e32 vcc_lo, 15, v23
	s_wait_xcnt 0x0
	s_mov_b32 s43, exec_lo
	v_mov_b32_e32 v51, 0x7f800000
	s_and_b32 s11, s43, vcc_lo
	s_mov_b32 exec_lo, s11
	s_cbranch_execz .LBB6_5127
; %bb.4228:                             ;   in Loop: Header=BB6_49 Depth=1
	s_trap 2
	ds_load_b64 v[4:5], v0
	v_add_nc_u32_e32 v0, v1, v0
	s_bitcmp1_b32 s41, 0
	s_mov_b32 s44, 0
	s_cselect_b32 s45, -1, 0
	s_delay_alu instid0(VALU_DEP_1) | instskip(NEXT) | instid1(VALU_DEP_1)
	v_ashrrev_i32_e32 v1, 31, v0
	v_add_nc_u64_e32 v[2:3], v[0:1], v[42:43]
	v_add_nc_u64_e32 v[20:21], v[0:1], v[104:105]
	s_wait_dscnt 0x0
	v_add_nc_u64_e32 v[18:19], v[4:5], v[0:1]
	s_branch .LBB6_4231
.LBB6_4229:                             ;   in Loop: Header=BB6_4231 Depth=2
	s_or_b32 exec_lo, exec_lo, s12
.LBB6_4230:                             ;   in Loop: Header=BB6_4231 Depth=2
	s_delay_alu instid0(SALU_CYCLE_1)
	s_or_b32 exec_lo, exec_lo, s11
	v_lshl_or_b32 v1, v31, 8, v30
	v_dual_lshlrev_b32 v4, 16, v32 :: v_dual_lshlrev_b32 v5, 24, v10
	v_dual_lshlrev_b32 v0, 24, v0 :: v_dual_lshlrev_b32 v7, 16, v7
	v_lshl_or_b32 v16, v6, 8, v34
	v_lshl_or_b32 v10, v27, 8, v26
	s_delay_alu instid0(VALU_DEP_4) | instskip(SKIP_1) | instid1(VALU_DEP_4)
	v_or3_b32 v5, v1, v4, v5
	v_dual_lshlrev_b32 v12, 16, v28 :: v_dual_lshlrev_b32 v13, 24, v29
	v_or3_b32 v7, v16, v7, v0
	scratch_load_b64 v[0:1], off, s33 offset:212 ; 8-byte Folded Reload
	v_lshl_or_b32 v11, v14, 8, v11
	v_dual_lshlrev_b32 v14, 16, v15 :: v_dual_lshlrev_b32 v15, 24, v33
	v_or3_b32 v4, v10, v12, v13
	v_sub_nc_u32_e32 v23, v23, v88
	v_add_nc_u64_e32 v[2:3], v[2:3], v[88:89]
	v_add_nc_u64_e32 v[18:19], v[18:19], v[88:89]
	v_or3_b32 v6, v11, v14, v15
	s_delay_alu instid0(VALU_DEP_4)
	v_cmp_gt_i32_e32 vcc_lo, 16, v23
	global_store_b128 v[20:21], v[4:7], off th:TH_STORE_NT
	s_wait_xcnt 0x0
	v_add_nc_u64_e32 v[20:21], v[20:21], v[88:89]
	s_or_b32 s44, vcc_lo, s44
	s_wait_loadcnt 0x0
	v_sub_nc_u32_e32 v22, v22, v0
	s_and_not1_b32 exec_lo, exec_lo, s44
	s_cbranch_execz .LBB6_5126
.LBB6_4231:                             ;   Parent Loop BB6_49 Depth=1
                                        ; =>  This Inner Loop Header: Depth=2
	global_load_b128 v[14:17], v[18:19], off th:TH_LOAD_NT
	global_load_b128 v[10:13], v[2:3], off th:TH_LOAD_NT
	s_mov_b32 s14, -1
	s_wait_loadcnt 0x1
	v_dual_lshlrev_b32 v5, 24, v14 :: v_dual_bitop2_b32 v0, 3, v14 bitop3:0x40
	v_bfe_i32 v24, v14, 0, 8
	v_and_b32_e32 v4, 0x7c, v14
	s_wait_loadcnt 0x0
	v_and_b32_e32 v7, 0xff, v10
	v_clz_i32_u32_e32 v1, v0
	v_bfe_i32 v26, v10, 0, 8
	v_cmp_lt_i16_e32 vcc_lo, -1, v24
	v_cmp_eq_u32_e64 s11, 0x7c, v4
	v_and_or_b32 v4, 0x80000000, v5, s28
	v_min_u32_e32 v6, 32, v1
	v_bfe_u32 v1, v14, 2, 5
	v_cndmask_b32_e32 v30, 0xff800000, v51, vcc_lo
	v_cmp_eq_u32_e32 vcc_lo, 0, v0
	v_cmp_ne_u16_e64 s13, 0, v7
	v_subrev_nc_u32_e32 v27, 29, v6
	v_cmp_eq_u32_e64 s12, 0, v1
	v_cndmask_b32_e32 v5, 0x7f800001, v30, vcc_lo
	s_and_b32 vcc_lo, exec_lo, s45
	v_lshlrev_b64_e32 v[28:29], v27, v[14:15]
	v_sub_nc_u32_e32 v6, 30, v6
                                        ; implicit-def: $vgpr27
	s_delay_alu instid0(VALU_DEP_2)
	v_and_b32_e32 v7, 3, v28
	s_cbranch_vccz .LBB6_4249
; %bb.4232:                             ;   in Loop: Header=BB6_4231 Depth=2
	v_mov_b32_e32 v27, 0
	s_wait_xcnt 0x0
	s_and_saveexec_b32 s14, s13
	s_cbranch_execz .LBB6_4242
; %bb.4233:                             ;   in Loop: Header=BB6_4231 Depth=2
	v_bfrev_b32_e32 v27, 1
	s_mov_b32 s15, exec_lo
	v_cmpx_ne_u16_e32 0xff80, v26
	s_cbranch_execz .LBB6_4241
; %bb.4234:                             ;   in Loop: Header=BB6_4231 Depth=2
	v_and_b32_e32 v27, 0x7c, v10
	v_and_b32_e32 v28, 3, v10
	s_delay_alu instid0(VALU_DEP_2) | instskip(SKIP_1) | instid1(SALU_CYCLE_1)
	v_cmp_ne_u32_e32 vcc_lo, 0x7c, v27
                                        ; implicit-def: $vgpr27
	s_and_saveexec_b32 s46, vcc_lo
	s_xor_b32 s46, exec_lo, s46
	s_cbranch_execz .LBB6_4238
; %bb.4235:                             ;   in Loop: Header=BB6_4231 Depth=2
	v_bfe_u32 v27, v10, 2, 5
	s_mov_b32 s47, exec_lo
	s_delay_alu instid0(VALU_DEP_1)
	v_cmpx_eq_u32_e32 0, v27
; %bb.4236:                             ;   in Loop: Header=BB6_4231 Depth=2
	v_clz_i32_u32_e32 v27, v28
	s_delay_alu instid0(VALU_DEP_1) | instskip(NEXT) | instid1(VALU_DEP_1)
	v_min_u32_e32 v27, 32, v27
	v_subrev_nc_u32_e32 v28, 29, v27
	s_delay_alu instid0(VALU_DEP_1) | instskip(NEXT) | instid1(VALU_DEP_1)
	v_lshlrev_b64_e32 v[28:29], v28, v[10:11]
	v_dual_sub_nc_u32 v27, 30, v27 :: v_dual_bitop2_b32 v28, 3, v28 bitop3:0x40
; %bb.4237:                             ;   in Loop: Header=BB6_4231 Depth=2
	s_or_b32 exec_lo, exec_lo, s47
	v_lshlrev_b32_e32 v29, 24, v10
	s_delay_alu instid0(VALU_DEP_1) | instskip(NEXT) | instid1(VALU_DEP_1)
	v_and_b32_e32 v29, 0x80000000, v29
	v_lshl_add_u32 v27, v27, 23, v29
	s_delay_alu instid0(VALU_DEP_1) | instskip(NEXT) | instid1(VALU_DEP_1)
	v_lshl_or_b32 v27, v28, 21, v27
                                        ; implicit-def: $vgpr28
	v_add_nc_u32_e32 v27, 0x38000000, v27
.LBB6_4238:                             ;   in Loop: Header=BB6_4231 Depth=2
	s_and_not1_saveexec_b32 s46, s46
; %bb.4239:                             ;   in Loop: Header=BB6_4231 Depth=2
	v_cmp_lt_i16_e32 vcc_lo, -1, v26
	v_cndmask_b32_e32 v27, 0xff800000, v51, vcc_lo
	v_cmp_eq_u32_e32 vcc_lo, 0, v28
	s_delay_alu instid0(VALU_DEP_2)
	v_cndmask_b32_e32 v27, 0x7f800001, v27, vcc_lo
; %bb.4240:                             ;   in Loop: Header=BB6_4231 Depth=2
	s_or_b32 exec_lo, exec_lo, s46
.LBB6_4241:                             ;   in Loop: Header=BB6_4231 Depth=2
	s_delay_alu instid0(SALU_CYCLE_1)
	s_or_b32 exec_lo, exec_lo, s15
.LBB6_4242:                             ;   in Loop: Header=BB6_4231 Depth=2
	s_delay_alu instid0(SALU_CYCLE_1) | instskip(SKIP_3) | instid1(VALU_DEP_1)
	s_or_b32 exec_lo, exec_lo, s14
	v_and_b32_e32 v29, 0xff, v24
	s_mov_b32 s14, 0
	s_mov_b32 s15, exec_lo
	v_cmpx_lt_i16_e32 0x7f, v29
	s_xor_b32 s15, exec_lo, s15
	s_cbranch_execz .LBB6_5078
; %bb.4243:                             ;   in Loop: Header=BB6_4231 Depth=2
	s_mov_b32 s14, -1
	s_mov_b32 s46, exec_lo
	v_cmpx_eq_u16_e32 0x80, v29
; %bb.4244:                             ;   in Loop: Header=BB6_4231 Depth=2
	s_xor_b32 s14, exec_lo, -1
; %bb.4245:                             ;   in Loop: Header=BB6_4231 Depth=2
	s_or_b32 exec_lo, exec_lo, s46
	s_delay_alu instid0(SALU_CYCLE_1)
	s_and_b32 s14, s14, exec_lo
                                        ; implicit-def: $vgpr29
	s_or_saveexec_b32 s15, s15
	v_bfrev_b32_e32 v28, 1
	s_xor_b32 exec_lo, exec_lo, s15
	s_cbranch_execnz .LBB6_5079
.LBB6_4246:                             ;   in Loop: Header=BB6_4231 Depth=2
	s_or_b32 exec_lo, exec_lo, s15
	s_and_saveexec_b32 s15, s14
.LBB6_4247:                             ;   in Loop: Header=BB6_4231 Depth=2
	v_dual_cndmask_b32 v28, v1, v6, s12 :: v_dual_cndmask_b32 v29, v0, v7, s12
	s_delay_alu instid0(VALU_DEP_1) | instskip(NEXT) | instid1(VALU_DEP_1)
	v_lshl_add_u32 v28, v28, 23, v4
	v_lshl_or_b32 v28, v29, 21, v28
	s_delay_alu instid0(VALU_DEP_1)
	v_cndmask_b32_e64 v28, v28, v5, s11
.LBB6_4248:                             ;   in Loop: Header=BB6_4231 Depth=2
	s_or_b32 exec_lo, exec_lo, s15
	s_delay_alu instid0(VALU_DEP_1) | instskip(SKIP_1) | instid1(VALU_DEP_1)
	v_dual_max_num_f32 v28, v28, v28 :: v_dual_max_num_f32 v27, v27, v27
	s_mov_b32 s14, 0
	v_max_num_f32_e32 v27, v27, v28
.LBB6_4249:                             ;   in Loop: Header=BB6_4231 Depth=2
	s_and_b32 vcc_lo, exec_lo, s14
	s_cbranch_vccz .LBB6_4267
; %bb.4250:                             ;   in Loop: Header=BB6_4231 Depth=2
	v_mov_b32_e32 v27, 0
	s_wait_xcnt 0x0
	s_and_saveexec_b32 s14, s13
	s_cbranch_execz .LBB6_4260
; %bb.4251:                             ;   in Loop: Header=BB6_4231 Depth=2
	v_bfrev_b32_e32 v27, 1
	s_mov_b32 s13, exec_lo
	v_cmpx_ne_u16_e32 0xff80, v26
	s_cbranch_execz .LBB6_4259
; %bb.4252:                             ;   in Loop: Header=BB6_4231 Depth=2
	v_and_b32_e32 v27, 0x7c, v10
	v_and_b32_e32 v28, 3, v10
	s_delay_alu instid0(VALU_DEP_2) | instskip(SKIP_1) | instid1(SALU_CYCLE_1)
	v_cmp_ne_u32_e32 vcc_lo, 0x7c, v27
                                        ; implicit-def: $vgpr27
	s_and_saveexec_b32 s15, vcc_lo
	s_xor_b32 s15, exec_lo, s15
	s_cbranch_execz .LBB6_4256
; %bb.4253:                             ;   in Loop: Header=BB6_4231 Depth=2
	v_bfe_u32 v26, v10, 2, 5
	s_mov_b32 s46, exec_lo
	s_delay_alu instid0(VALU_DEP_1)
	v_cmpx_eq_u32_e32 0, v26
; %bb.4254:                             ;   in Loop: Header=BB6_4231 Depth=2
	v_clz_i32_u32_e32 v26, v28
	s_delay_alu instid0(VALU_DEP_1) | instskip(NEXT) | instid1(VALU_DEP_1)
	v_min_u32_e32 v26, 32, v26
	v_subrev_nc_u32_e32 v27, 29, v26
	s_delay_alu instid0(VALU_DEP_1) | instskip(NEXT) | instid1(VALU_DEP_1)
	v_lshlrev_b64_e32 v[28:29], v27, v[10:11]
	v_dual_sub_nc_u32 v26, 30, v26 :: v_dual_bitop2_b32 v28, 3, v28 bitop3:0x40
; %bb.4255:                             ;   in Loop: Header=BB6_4231 Depth=2
	s_or_b32 exec_lo, exec_lo, s46
	v_lshlrev_b32_e32 v27, 24, v10
	s_delay_alu instid0(VALU_DEP_1) | instskip(NEXT) | instid1(VALU_DEP_1)
	v_and_b32_e32 v27, 0x80000000, v27
	v_lshl_add_u32 v26, v26, 23, v27
	s_delay_alu instid0(VALU_DEP_1) | instskip(NEXT) | instid1(VALU_DEP_1)
	v_lshl_or_b32 v26, v28, 21, v26
                                        ; implicit-def: $vgpr28
	v_add_nc_u32_e32 v27, 0x38000000, v26
                                        ; implicit-def: $vgpr26
.LBB6_4256:                             ;   in Loop: Header=BB6_4231 Depth=2
	s_and_not1_saveexec_b32 s15, s15
; %bb.4257:                             ;   in Loop: Header=BB6_4231 Depth=2
	v_cmp_lt_i16_e32 vcc_lo, -1, v26
	v_cndmask_b32_e32 v26, 0xff800000, v51, vcc_lo
	v_cmp_eq_u32_e32 vcc_lo, 0, v28
	s_delay_alu instid0(VALU_DEP_2)
	v_cndmask_b32_e32 v27, 0x7f800001, v26, vcc_lo
; %bb.4258:                             ;   in Loop: Header=BB6_4231 Depth=2
	s_or_b32 exec_lo, exec_lo, s15
.LBB6_4259:                             ;   in Loop: Header=BB6_4231 Depth=2
	s_delay_alu instid0(SALU_CYCLE_1)
	s_or_b32 exec_lo, exec_lo, s13
.LBB6_4260:                             ;   in Loop: Header=BB6_4231 Depth=2
	s_delay_alu instid0(SALU_CYCLE_1) | instskip(SKIP_3) | instid1(VALU_DEP_1)
	s_or_b32 exec_lo, exec_lo, s14
	v_and_b32_e32 v26, 0xff, v24
	s_mov_b32 s13, 0
	s_mov_b32 s14, exec_lo
	v_cmpx_lt_i16_e32 0x7f, v26
	s_xor_b32 s14, exec_lo, s14
	s_cbranch_execz .LBB6_5080
; %bb.4261:                             ;   in Loop: Header=BB6_4231 Depth=2
	s_mov_b32 s13, -1
	s_mov_b32 s15, exec_lo
	v_cmpx_eq_u16_e32 0x80, v26
; %bb.4262:                             ;   in Loop: Header=BB6_4231 Depth=2
	s_xor_b32 s13, exec_lo, -1
; %bb.4263:                             ;   in Loop: Header=BB6_4231 Depth=2
	s_or_b32 exec_lo, exec_lo, s15
	s_delay_alu instid0(SALU_CYCLE_1)
	s_and_b32 s13, s13, exec_lo
                                        ; implicit-def: $vgpr26
	s_or_saveexec_b32 s14, s14
	v_bfrev_b32_e32 v24, 1
	s_xor_b32 exec_lo, exec_lo, s14
	s_cbranch_execnz .LBB6_5081
.LBB6_4264:                             ;   in Loop: Header=BB6_4231 Depth=2
	s_or_b32 exec_lo, exec_lo, s14
	s_and_saveexec_b32 s14, s13
.LBB6_4265:                             ;   in Loop: Header=BB6_4231 Depth=2
	v_dual_cndmask_b32 v1, v1, v6, s12 :: v_dual_cndmask_b32 v0, v0, v7, s12
	s_delay_alu instid0(VALU_DEP_1) | instskip(NEXT) | instid1(VALU_DEP_1)
	v_lshl_add_u32 v1, v1, 23, v4
	v_lshl_or_b32 v0, v0, 21, v1
	s_delay_alu instid0(VALU_DEP_1)
	v_cndmask_b32_e64 v24, v0, v5, s11
.LBB6_4266:                             ;   in Loop: Header=BB6_4231 Depth=2
	s_or_b32 exec_lo, exec_lo, s14
	s_delay_alu instid0(VALU_DEP_1) | instskip(NEXT) | instid1(VALU_DEP_1)
	v_dual_max_num_f32 v0, v24, v24 :: v_dual_max_num_f32 v1, v27, v27
	v_min_num_f32_e32 v27, v1, v0
.LBB6_4267:                             ;   in Loop: Header=BB6_4231 Depth=2
	s_delay_alu instid0(VALU_DEP_1) | instskip(SKIP_2) | instid1(VALU_DEP_2)
	v_and_b32_e32 v0, 0x7f800000, v27
	v_mov_b32_e32 v1, v25
	v_and_b32_e32 v24, 0x7fffff, v27
                                        ; implicit-def: $vgpr26
	v_cmp_ne_u64_e32 vcc_lo, 0x7f800000, v[0:1]
	v_lshrrev_b32_e32 v0, 24, v27
	s_wait_xcnt 0x0
	s_and_saveexec_b32 s11, vcc_lo
	s_delay_alu instid0(SALU_CYCLE_1)
	s_xor_b32 s12, exec_lo, s11
	s_cbranch_execz .LBB6_4281
; %bb.4268:                             ;   in Loop: Header=BB6_4231 Depth=2
	v_and_b32_e32 v4, 0x7fffffff, v27
	v_mov_b32_e32 v5, v25
	v_and_b32_e32 v6, 0x80, v0
                                        ; implicit-def: $vgpr26
	s_mov_b32 s11, exec_lo
	s_delay_alu instid0(VALU_DEP_2)
	v_cmpx_gt_u64_e32 0x47600001, v[4:5]
	s_xor_b32 s13, exec_lo, s11
	s_cbranch_execz .LBB6_4278
; %bb.4269:                             ;   in Loop: Header=BB6_4231 Depth=2
	v_mov_b32_e32 v26, 0
	s_mov_b32 s14, exec_lo
	v_cmpx_ne_u32_e32 0, v27
	s_cbranch_execz .LBB6_4277
; %bb.4270:                             ;   in Loop: Header=BB6_4231 Depth=2
	v_bfe_u32 v7, v27, 23, 8
	v_or_b32_e32 v4, 0x800000, v24
	s_delay_alu instid0(VALU_DEP_2) | instskip(SKIP_1) | instid1(VALU_DEP_2)
	v_sub_nc_u32_e32 v0, 0x71, v7
	v_cmp_gt_u32_e32 vcc_lo, 0x72, v7
	v_cndmask_b32_e32 v0, 0, v0, vcc_lo
	v_cmp_eq_u32_e32 vcc_lo, 0, v7
	s_delay_alu instid0(VALU_DEP_2) | instskip(NEXT) | instid1(VALU_DEP_1)
	v_cndmask_b32_e64 v26, v0, 0x70, vcc_lo
	v_dual_cndmask_b32 v24, v4, v24, vcc_lo :: v_dual_add_nc_u32 v0, 21, v26
	v_add_nc_u32_e32 v5, 20, v26
	s_delay_alu instid0(VALU_DEP_2) | instskip(NEXT) | instid1(VALU_DEP_2)
	v_lshlrev_b64_e64 v[0:1], v0, -1
	v_lshlrev_b64_e64 v[4:5], v5, 1
	s_delay_alu instid0(VALU_DEP_2) | instskip(NEXT) | instid1(VALU_DEP_3)
	v_bfi_b32 v29, v1, 0, 0
	v_bfi_b32 v28, v0, 0, v24
	v_lshrrev_b64 v[0:1], v26, v[24:25]
	s_delay_alu instid0(VALU_DEP_2) | instskip(NEXT) | instid1(VALU_DEP_2)
	v_cmp_eq_u64_e64 s11, v[28:29], v[4:5]
	v_mov_b64_e32 v[4:5], v[0:1]
	s_and_saveexec_b32 s15, s11
; %bb.4271:                             ;   in Loop: Header=BB6_4231 Depth=2
	v_bfe_u32 v24, v0, 21, 1
	s_delay_alu instid0(VALU_DEP_1) | instskip(NEXT) | instid1(VALU_DEP_1)
	v_add_nc_u64_e32 v[4:5], v[0:1], v[24:25]
	v_add_nc_u64_e32 v[4:5], -1, v[4:5]
; %bb.4272:                             ;   in Loop: Header=BB6_4231 Depth=2
	s_or_b32 exec_lo, exec_lo, s15
	v_add_nc_u32_e32 v1, 0xffffff81, v7
	v_lshrrev_b32_e32 v5, 23, v0
	s_mov_b32 s11, exec_lo
	s_delay_alu instid0(VALU_DEP_2) | instskip(NEXT) | instid1(VALU_DEP_1)
	v_cndmask_b32_e64 v1, v1, 0xffffff82, vcc_lo
	v_add3_u32 v5, v26, v1, v5
	v_and_b32_e32 v1, 0x1fffff, v4
                                        ; implicit-def: $vgpr4
	s_delay_alu instid0(VALU_DEP_1) | instskip(NEXT) | instid1(VALU_DEP_1)
	v_dual_add_nc_u32 v7, 14, v5 :: v_dual_add_nc_u32 v24, v1, v0
                                        ; implicit-def: $vgpr0_vgpr1
	v_cmpx_ne_u32_e32 0, v7
	s_xor_b32 s11, exec_lo, s11
; %bb.4273:                             ;   in Loop: Header=BB6_4231 Depth=2
	s_delay_alu instid0(VALU_DEP_2) | instskip(SKIP_1) | instid1(VALU_DEP_1)
	v_cmp_lt_u64_e32 vcc_lo, 0xffffff, v[24:25]
	v_add_nc_u32_e32 v0, 15, v5
	v_cndmask_b32_e32 v4, v7, v0, vcc_lo
	v_cndmask_b32_e64 v0, 0, 1, vcc_lo
	s_delay_alu instid0(VALU_DEP_1)
	v_lshrrev_b64 v[0:1], v0, v[24:25]
; %bb.4274:                             ;   in Loop: Header=BB6_4231 Depth=2
	s_and_not1_saveexec_b32 s11, s11
; %bb.4275:                             ;   in Loop: Header=BB6_4231 Depth=2
	v_mov_b64_e32 v[0:1], v[24:25]
	v_bfe_u32 v4, v24, 23, 1
; %bb.4276:                             ;   in Loop: Header=BB6_4231 Depth=2
	s_or_b32 exec_lo, exec_lo, s11
	s_delay_alu instid0(VALU_DEP_2) | instskip(NEXT) | instid1(VALU_DEP_2)
	v_lshrrev_b64 v[0:1], 21, v[0:1]
	v_cmp_gt_i32_e32 vcc_lo, 32, v4
	v_min_i32_e32 v5, 31, v4
	v_cmp_eq_u32_e64 s11, 0, v4
	s_delay_alu instid0(VALU_DEP_4) | instskip(NEXT) | instid1(VALU_DEP_3)
	v_cndmask_b32_e32 v1, 0, v1, vcc_lo
	v_dual_cndmask_b32 v0, 3, v0 :: v_dual_lshlrev_b32 v5, 2, v5
	s_delay_alu instid0(VALU_DEP_1) | instskip(NEXT) | instid1(VALU_DEP_2)
	v_and_b32_e32 v5, 0xfc, v5
	v_cmp_eq_u64_e32 vcc_lo, 0, v[0:1]
	s_delay_alu instid0(VALU_DEP_2)
	v_and_or_b32 v0, v0, 3, v5
	s_and_b32 s11, s11, vcc_lo
	s_delay_alu instid0(VALU_DEP_1) | instid1(SALU_CYCLE_1)
	v_cndmask_b32_e64 v0, v0, 0, s11
	s_delay_alu instid0(VALU_DEP_1)
	v_or_b32_e32 v26, v0, v6
.LBB6_4277:                             ;   in Loop: Header=BB6_4231 Depth=2
	s_or_b32 exec_lo, exec_lo, s14
                                        ; implicit-def: $vgpr6
.LBB6_4278:                             ;   in Loop: Header=BB6_4231 Depth=2
	s_and_not1_saveexec_b32 s11, s13
; %bb.4279:                             ;   in Loop: Header=BB6_4231 Depth=2
	v_or_b32_e32 v26, 0x7b, v6
; %bb.4280:                             ;   in Loop: Header=BB6_4231 Depth=2
	s_or_b32 exec_lo, exec_lo, s11
                                        ; implicit-def: $vgpr27
                                        ; implicit-def: $vgpr0
.LBB6_4281:                             ;   in Loop: Header=BB6_4231 Depth=2
	s_and_not1_saveexec_b32 s11, s12
	s_cbranch_execz .LBB6_4287
; %bb.4282:                             ;   in Loop: Header=BB6_4231 Depth=2
	s_mov_b32 s12, exec_lo
                                        ; implicit-def: $vgpr26
	v_cmpx_ne_u64_e32 0, v[24:25]
	s_xor_b32 s12, exec_lo, s12
; %bb.4283:                             ;   in Loop: Header=BB6_4231 Depth=2
	v_or_b32_e32 v26, 0x7f, v0
                                        ; implicit-def: $vgpr27
; %bb.4284:                             ;   in Loop: Header=BB6_4231 Depth=2
	s_and_not1_saveexec_b32 s12, s12
; %bb.4285:                             ;   in Loop: Header=BB6_4231 Depth=2
	v_cmp_lt_i32_e32 vcc_lo, -1, v27
	v_cndmask_b32_e32 v26, 0xfc, v93, vcc_lo
; %bb.4286:                             ;   in Loop: Header=BB6_4231 Depth=2
	s_or_b32 exec_lo, exec_lo, s12
.LBB6_4287:                             ;   in Loop: Header=BB6_4231 Depth=2
	s_delay_alu instid0(SALU_CYCLE_1) | instskip(SKIP_3) | instid1(VALU_DEP_2)
	s_or_b32 exec_lo, exec_lo, s11
	v_lshrrev_b16 v24, 8, v14
	v_cmp_lt_i16_e32 vcc_lo, -1, v14
	s_mov_b32 s14, -1
	v_and_b32_e32 v1, 0xffff, v24
	v_dual_cndmask_b32 v7, 0xff800000, v51 :: v_dual_lshlrev_b32 v6, 24, v24
	s_delay_alu instid0(VALU_DEP_2) | instskip(SKIP_2) | instid1(VALU_DEP_4)
	v_and_b32_e32 v4, 3, v1
	v_and_b32_e32 v32, 0x7c, v1
	v_bfe_u32 v5, v1, 2, 5
                                        ; implicit-def: $vgpr1
	v_and_or_b32 v6, 0x80000000, v6, s28
	s_delay_alu instid0(VALU_DEP_4) | instskip(SKIP_3) | instid1(VALU_DEP_4)
	v_clz_i32_u32_e32 v0, v4
	v_cmp_eq_u32_e32 vcc_lo, 0, v4
	v_cmp_eq_u32_e64 s11, 0x7c, v32
	v_cmp_eq_u32_e64 s12, 0, v5
	v_min_u32_e32 v27, 32, v0
	v_lshrrev_b16 v0, 8, v10
	v_cndmask_b32_e32 v7, 0x7f800001, v7, vcc_lo
	s_and_b32 vcc_lo, exec_lo, s45
	s_delay_alu instid0(VALU_DEP_3) | instskip(NEXT) | instid1(VALU_DEP_3)
	v_subrev_nc_u32_e32 v28, 29, v27
	v_and_b32_e32 v29, 0xffff, v0
	v_cmp_ne_u16_e64 s13, 0, v0
	s_delay_alu instid0(VALU_DEP_3) | instskip(NEXT) | instid1(VALU_DEP_1)
	v_lshlrev_b64_e32 v[30:31], v28, v[24:25]
	v_dual_sub_nc_u32 v27, 30, v27 :: v_dual_bitop2_b32 v28, 3, v30 bitop3:0x40
	s_cbranch_vccz .LBB6_4305
; %bb.4288:                             ;   in Loop: Header=BB6_4231 Depth=2
	v_mov_b32_e32 v1, 0
	s_and_saveexec_b32 s14, s13
	s_cbranch_execz .LBB6_4298
; %bb.4289:                             ;   in Loop: Header=BB6_4231 Depth=2
	v_bfrev_b32_e32 v1, 1
	s_mov_b32 s15, exec_lo
	v_cmpx_ne_u16_e32 0x80, v0
	s_cbranch_execz .LBB6_4297
; %bb.4290:                             ;   in Loop: Header=BB6_4231 Depth=2
	v_and_b32_e32 v1, 0x7c, v29
	v_and_b32_e32 v30, 3, v29
	s_delay_alu instid0(VALU_DEP_2) | instskip(SKIP_1) | instid1(SALU_CYCLE_1)
	v_cmp_ne_u32_e32 vcc_lo, 0x7c, v1
                                        ; implicit-def: $vgpr1
	s_and_saveexec_b32 s46, vcc_lo
	s_xor_b32 s46, exec_lo, s46
	s_cbranch_execz .LBB6_4294
; %bb.4291:                             ;   in Loop: Header=BB6_4231 Depth=2
	v_bfe_u32 v1, v29, 2, 5
	s_mov_b32 s47, exec_lo
	s_delay_alu instid0(VALU_DEP_1)
	v_cmpx_eq_u32_e32 0, v1
; %bb.4292:                             ;   in Loop: Header=BB6_4231 Depth=2
	v_clz_i32_u32_e32 v1, v30
	s_delay_alu instid0(VALU_DEP_1) | instskip(SKIP_1) | instid1(VALU_DEP_2)
	v_min_u32_e32 v32, 32, v1
	v_mov_b32_e32 v1, v25
	v_subrev_nc_u32_e32 v30, 29, v32
	s_delay_alu instid0(VALU_DEP_1) | instskip(NEXT) | instid1(VALU_DEP_1)
	v_lshlrev_b64_e32 v[30:31], v30, v[0:1]
	v_dual_sub_nc_u32 v1, 30, v32 :: v_dual_bitop2_b32 v30, 3, v30 bitop3:0x40
; %bb.4293:                             ;   in Loop: Header=BB6_4231 Depth=2
	s_or_b32 exec_lo, exec_lo, s47
	v_lshlrev_b32_e32 v31, 16, v10
	s_delay_alu instid0(VALU_DEP_1) | instskip(NEXT) | instid1(VALU_DEP_1)
	v_and_b32_e32 v31, 0x80000000, v31
	v_lshl_add_u32 v1, v1, 23, v31
	s_delay_alu instid0(VALU_DEP_1) | instskip(NEXT) | instid1(VALU_DEP_1)
	v_lshl_or_b32 v1, v30, 21, v1
                                        ; implicit-def: $vgpr30
	v_add_nc_u32_e32 v1, 0x38000000, v1
.LBB6_4294:                             ;   in Loop: Header=BB6_4231 Depth=2
	s_and_not1_saveexec_b32 s46, s46
; %bb.4295:                             ;   in Loop: Header=BB6_4231 Depth=2
	v_cmp_lt_i16_e32 vcc_lo, -1, v10
	v_cndmask_b32_e32 v1, 0xff800000, v51, vcc_lo
	v_cmp_eq_u32_e32 vcc_lo, 0, v30
	s_delay_alu instid0(VALU_DEP_2)
	v_cndmask_b32_e32 v1, 0x7f800001, v1, vcc_lo
; %bb.4296:                             ;   in Loop: Header=BB6_4231 Depth=2
	s_or_b32 exec_lo, exec_lo, s46
.LBB6_4297:                             ;   in Loop: Header=BB6_4231 Depth=2
	s_delay_alu instid0(SALU_CYCLE_1)
	s_or_b32 exec_lo, exec_lo, s15
.LBB6_4298:                             ;   in Loop: Header=BB6_4231 Depth=2
	s_delay_alu instid0(SALU_CYCLE_1)
	s_or_b32 exec_lo, exec_lo, s14
	s_mov_b32 s14, 0
	s_mov_b32 s15, exec_lo
	v_cmpx_lt_i16_e32 0x7f, v24
	s_xor_b32 s15, exec_lo, s15
	s_cbranch_execz .LBB6_5082
; %bb.4299:                             ;   in Loop: Header=BB6_4231 Depth=2
	s_mov_b32 s14, -1
	s_mov_b32 s46, exec_lo
	v_cmpx_eq_u16_e32 0x80, v24
; %bb.4300:                             ;   in Loop: Header=BB6_4231 Depth=2
	s_xor_b32 s14, exec_lo, -1
; %bb.4301:                             ;   in Loop: Header=BB6_4231 Depth=2
	s_or_b32 exec_lo, exec_lo, s46
	s_delay_alu instid0(SALU_CYCLE_1)
	s_and_b32 s14, s14, exec_lo
	s_or_saveexec_b32 s15, s15
	v_bfrev_b32_e32 v30, 1
	s_xor_b32 exec_lo, exec_lo, s15
	s_cbranch_execnz .LBB6_5083
.LBB6_4302:                             ;   in Loop: Header=BB6_4231 Depth=2
	s_or_b32 exec_lo, exec_lo, s15
	s_and_saveexec_b32 s15, s14
.LBB6_4303:                             ;   in Loop: Header=BB6_4231 Depth=2
	v_dual_cndmask_b32 v30, v5, v27, s12 :: v_dual_cndmask_b32 v31, v4, v28, s12
	s_delay_alu instid0(VALU_DEP_1) | instskip(NEXT) | instid1(VALU_DEP_1)
	v_lshl_add_u32 v30, v30, 23, v6
	v_lshl_or_b32 v30, v31, 21, v30
	s_delay_alu instid0(VALU_DEP_1)
	v_cndmask_b32_e64 v30, v30, v7, s11
.LBB6_4304:                             ;   in Loop: Header=BB6_4231 Depth=2
	s_or_b32 exec_lo, exec_lo, s15
	s_delay_alu instid0(VALU_DEP_1) | instskip(SKIP_1) | instid1(VALU_DEP_1)
	v_dual_max_num_f32 v30, v30, v30 :: v_dual_max_num_f32 v1, v1, v1
	s_mov_b32 s14, 0
	v_max_num_f32_e32 v1, v1, v30
.LBB6_4305:                             ;   in Loop: Header=BB6_4231 Depth=2
	s_and_b32 vcc_lo, exec_lo, s14
	s_cbranch_vccz .LBB6_4323
; %bb.4306:                             ;   in Loop: Header=BB6_4231 Depth=2
	v_mov_b32_e32 v1, 0
	s_and_saveexec_b32 s14, s13
	s_cbranch_execz .LBB6_4316
; %bb.4307:                             ;   in Loop: Header=BB6_4231 Depth=2
	v_bfrev_b32_e32 v1, 1
	s_mov_b32 s13, exec_lo
	v_cmpx_ne_u16_e32 0x80, v0
	s_cbranch_execz .LBB6_4315
; %bb.4308:                             ;   in Loop: Header=BB6_4231 Depth=2
	v_and_b32_e32 v1, 0x7c, v29
	v_and_b32_e32 v30, 3, v29
	s_delay_alu instid0(VALU_DEP_2) | instskip(SKIP_1) | instid1(SALU_CYCLE_1)
	v_cmp_ne_u32_e32 vcc_lo, 0x7c, v1
                                        ; implicit-def: $vgpr1
	s_and_saveexec_b32 s15, vcc_lo
	s_xor_b32 s15, exec_lo, s15
	s_cbranch_execz .LBB6_4312
; %bb.4309:                             ;   in Loop: Header=BB6_4231 Depth=2
	v_bfe_u32 v1, v29, 2, 5
	s_mov_b32 s46, exec_lo
	s_delay_alu instid0(VALU_DEP_1)
	v_cmpx_eq_u32_e32 0, v1
; %bb.4310:                             ;   in Loop: Header=BB6_4231 Depth=2
	v_clz_i32_u32_e32 v1, v30
	s_delay_alu instid0(VALU_DEP_1) | instskip(SKIP_1) | instid1(VALU_DEP_2)
	v_min_u32_e32 v29, 32, v1
	v_mov_b32_e32 v1, v25
	v_subrev_nc_u32_e32 v30, 29, v29
	s_delay_alu instid0(VALU_DEP_1) | instskip(NEXT) | instid1(VALU_DEP_1)
	v_lshlrev_b64_e32 v[0:1], v30, v[0:1]
	v_dual_sub_nc_u32 v1, 30, v29 :: v_dual_bitop2_b32 v30, 3, v0 bitop3:0x40
; %bb.4311:                             ;   in Loop: Header=BB6_4231 Depth=2
	s_or_b32 exec_lo, exec_lo, s46
	v_lshlrev_b32_e32 v0, 16, v10
	s_delay_alu instid0(VALU_DEP_1) | instskip(NEXT) | instid1(VALU_DEP_1)
	v_and_b32_e32 v0, 0x80000000, v0
	v_lshl_add_u32 v0, v1, 23, v0
	s_delay_alu instid0(VALU_DEP_1) | instskip(NEXT) | instid1(VALU_DEP_1)
	v_lshl_or_b32 v0, v30, 21, v0
                                        ; implicit-def: $vgpr30
	v_add_nc_u32_e32 v1, 0x38000000, v0
.LBB6_4312:                             ;   in Loop: Header=BB6_4231 Depth=2
	s_and_not1_saveexec_b32 s15, s15
; %bb.4313:                             ;   in Loop: Header=BB6_4231 Depth=2
	v_cmp_lt_i16_e32 vcc_lo, -1, v10
	v_cndmask_b32_e32 v0, 0xff800000, v51, vcc_lo
	v_cmp_eq_u32_e32 vcc_lo, 0, v30
	s_delay_alu instid0(VALU_DEP_2)
	v_cndmask_b32_e32 v1, 0x7f800001, v0, vcc_lo
; %bb.4314:                             ;   in Loop: Header=BB6_4231 Depth=2
	s_or_b32 exec_lo, exec_lo, s15
.LBB6_4315:                             ;   in Loop: Header=BB6_4231 Depth=2
	s_delay_alu instid0(SALU_CYCLE_1)
	s_or_b32 exec_lo, exec_lo, s13
.LBB6_4316:                             ;   in Loop: Header=BB6_4231 Depth=2
	s_delay_alu instid0(SALU_CYCLE_1)
	s_or_b32 exec_lo, exec_lo, s14
	s_mov_b32 s13, 0
	s_mov_b32 s14, exec_lo
	v_cmpx_lt_i16_e32 0x7f, v24
	s_xor_b32 s14, exec_lo, s14
	s_cbranch_execz .LBB6_5084
; %bb.4317:                             ;   in Loop: Header=BB6_4231 Depth=2
	s_mov_b32 s13, -1
	s_mov_b32 s15, exec_lo
	v_cmpx_eq_u16_e32 0x80, v24
; %bb.4318:                             ;   in Loop: Header=BB6_4231 Depth=2
	s_xor_b32 s13, exec_lo, -1
; %bb.4319:                             ;   in Loop: Header=BB6_4231 Depth=2
	s_or_b32 exec_lo, exec_lo, s15
	s_delay_alu instid0(SALU_CYCLE_1)
	s_and_b32 s13, s13, exec_lo
	s_or_saveexec_b32 s14, s14
	v_bfrev_b32_e32 v0, 1
	s_xor_b32 exec_lo, exec_lo, s14
	s_cbranch_execnz .LBB6_5085
.LBB6_4320:                             ;   in Loop: Header=BB6_4231 Depth=2
	s_or_b32 exec_lo, exec_lo, s14
	s_and_saveexec_b32 s14, s13
.LBB6_4321:                             ;   in Loop: Header=BB6_4231 Depth=2
	v_dual_cndmask_b32 v0, v5, v27, s12 :: v_dual_cndmask_b32 v4, v4, v28, s12
	s_delay_alu instid0(VALU_DEP_1) | instskip(NEXT) | instid1(VALU_DEP_1)
	v_lshl_add_u32 v0, v0, 23, v6
	v_lshl_or_b32 v0, v4, 21, v0
	s_delay_alu instid0(VALU_DEP_1)
	v_cndmask_b32_e64 v0, v0, v7, s11
.LBB6_4322:                             ;   in Loop: Header=BB6_4231 Depth=2
	s_or_b32 exec_lo, exec_lo, s14
	s_delay_alu instid0(VALU_DEP_1) | instskip(NEXT) | instid1(VALU_DEP_1)
	v_dual_max_num_f32 v0, v0, v0 :: v_dual_max_num_f32 v1, v1, v1
	v_min_num_f32_e32 v1, v1, v0
.LBB6_4323:                             ;   in Loop: Header=BB6_4231 Depth=2
	s_delay_alu instid0(VALU_DEP_1) | instskip(SKIP_3) | instid1(VALU_DEP_2)
	v_and_b32_e32 v4, 0x7f800000, v1
	v_dual_mov_b32 v5, v25 :: v_dual_lshrrev_b32 v0, 24, v1
	v_and_b32_e32 v24, 0x7fffff, v1
                                        ; implicit-def: $vgpr27
	s_mov_b32 s11, exec_lo
	v_cmpx_ne_u64_e32 0x7f800000, v[4:5]
	s_xor_b32 s12, exec_lo, s11
	s_cbranch_execz .LBB6_4337
; %bb.4324:                             ;   in Loop: Header=BB6_4231 Depth=2
	v_and_b32_e32 v4, 0x7fffffff, v1
	v_mov_b32_e32 v5, v25
	v_and_b32_e32 v6, 0x80, v0
                                        ; implicit-def: $vgpr27
	s_mov_b32 s11, exec_lo
	s_delay_alu instid0(VALU_DEP_2)
	v_cmpx_gt_u64_e32 0x47600001, v[4:5]
	s_xor_b32 s13, exec_lo, s11
	s_cbranch_execz .LBB6_4334
; %bb.4325:                             ;   in Loop: Header=BB6_4231 Depth=2
	v_mov_b32_e32 v27, 0
	s_mov_b32 s14, exec_lo
	v_cmpx_ne_u32_e32 0, v1
	s_cbranch_execz .LBB6_4333
; %bb.4326:                             ;   in Loop: Header=BB6_4231 Depth=2
	v_bfe_u32 v7, v1, 23, 8
	v_or_b32_e32 v4, 0x800000, v24
	s_delay_alu instid0(VALU_DEP_2) | instskip(SKIP_1) | instid1(VALU_DEP_2)
	v_sub_nc_u32_e32 v0, 0x71, v7
	v_cmp_gt_u32_e32 vcc_lo, 0x72, v7
	v_cndmask_b32_e32 v0, 0, v0, vcc_lo
	v_cmp_eq_u32_e32 vcc_lo, 0, v7
	s_delay_alu instid0(VALU_DEP_2) | instskip(NEXT) | instid1(VALU_DEP_1)
	v_cndmask_b32_e64 v27, v0, 0x70, vcc_lo
	v_dual_cndmask_b32 v24, v4, v24, vcc_lo :: v_dual_add_nc_u32 v0, 21, v27
	v_add_nc_u32_e32 v5, 20, v27
	s_delay_alu instid0(VALU_DEP_2) | instskip(NEXT) | instid1(VALU_DEP_2)
	v_lshlrev_b64_e64 v[0:1], v0, -1
	v_lshlrev_b64_e64 v[4:5], v5, 1
	s_delay_alu instid0(VALU_DEP_2) | instskip(NEXT) | instid1(VALU_DEP_3)
	v_bfi_b32 v29, v1, 0, 0
	v_bfi_b32 v28, v0, 0, v24
	v_lshrrev_b64 v[0:1], v27, v[24:25]
	s_delay_alu instid0(VALU_DEP_2) | instskip(NEXT) | instid1(VALU_DEP_2)
	v_cmp_eq_u64_e64 s11, v[28:29], v[4:5]
	v_mov_b64_e32 v[4:5], v[0:1]
	s_and_saveexec_b32 s15, s11
; %bb.4327:                             ;   in Loop: Header=BB6_4231 Depth=2
	v_bfe_u32 v24, v0, 21, 1
	s_delay_alu instid0(VALU_DEP_1) | instskip(NEXT) | instid1(VALU_DEP_1)
	v_add_nc_u64_e32 v[4:5], v[0:1], v[24:25]
	v_add_nc_u64_e32 v[4:5], -1, v[4:5]
; %bb.4328:                             ;   in Loop: Header=BB6_4231 Depth=2
	s_or_b32 exec_lo, exec_lo, s15
	v_add_nc_u32_e32 v1, 0xffffff81, v7
	v_lshrrev_b32_e32 v5, 23, v0
	s_mov_b32 s11, exec_lo
	s_delay_alu instid0(VALU_DEP_2) | instskip(NEXT) | instid1(VALU_DEP_1)
	v_cndmask_b32_e64 v1, v1, 0xffffff82, vcc_lo
	v_add3_u32 v5, v27, v1, v5
	v_and_b32_e32 v1, 0x1fffff, v4
                                        ; implicit-def: $vgpr4
	s_delay_alu instid0(VALU_DEP_1) | instskip(NEXT) | instid1(VALU_DEP_1)
	v_dual_add_nc_u32 v7, 14, v5 :: v_dual_add_nc_u32 v24, v1, v0
                                        ; implicit-def: $vgpr0_vgpr1
	v_cmpx_ne_u32_e32 0, v7
	s_xor_b32 s11, exec_lo, s11
; %bb.4329:                             ;   in Loop: Header=BB6_4231 Depth=2
	s_delay_alu instid0(VALU_DEP_2) | instskip(SKIP_1) | instid1(VALU_DEP_1)
	v_cmp_lt_u64_e32 vcc_lo, 0xffffff, v[24:25]
	v_add_nc_u32_e32 v0, 15, v5
	v_cndmask_b32_e32 v4, v7, v0, vcc_lo
	v_cndmask_b32_e64 v0, 0, 1, vcc_lo
	s_delay_alu instid0(VALU_DEP_1)
	v_lshrrev_b64 v[0:1], v0, v[24:25]
; %bb.4330:                             ;   in Loop: Header=BB6_4231 Depth=2
	s_and_not1_saveexec_b32 s11, s11
; %bb.4331:                             ;   in Loop: Header=BB6_4231 Depth=2
	v_mov_b64_e32 v[0:1], v[24:25]
	v_bfe_u32 v4, v24, 23, 1
; %bb.4332:                             ;   in Loop: Header=BB6_4231 Depth=2
	s_or_b32 exec_lo, exec_lo, s11
	s_delay_alu instid0(VALU_DEP_2) | instskip(NEXT) | instid1(VALU_DEP_2)
	v_lshrrev_b64 v[0:1], 21, v[0:1]
	v_cmp_gt_i32_e32 vcc_lo, 32, v4
	v_min_i32_e32 v5, 31, v4
	v_cmp_eq_u32_e64 s11, 0, v4
	s_delay_alu instid0(VALU_DEP_4) | instskip(NEXT) | instid1(VALU_DEP_3)
	v_cndmask_b32_e32 v1, 0, v1, vcc_lo
	v_dual_cndmask_b32 v0, 3, v0 :: v_dual_lshlrev_b32 v5, 2, v5
	s_delay_alu instid0(VALU_DEP_1) | instskip(NEXT) | instid1(VALU_DEP_2)
	v_and_b32_e32 v5, 0xfc, v5
	v_cmp_eq_u64_e32 vcc_lo, 0, v[0:1]
	s_delay_alu instid0(VALU_DEP_2)
	v_and_or_b32 v0, v0, 3, v5
	s_and_b32 s11, s11, vcc_lo
	s_delay_alu instid0(VALU_DEP_1) | instid1(SALU_CYCLE_1)
	v_cndmask_b32_e64 v0, v0, 0, s11
	s_delay_alu instid0(VALU_DEP_1)
	v_or_b32_e32 v27, v0, v6
.LBB6_4333:                             ;   in Loop: Header=BB6_4231 Depth=2
	s_or_b32 exec_lo, exec_lo, s14
                                        ; implicit-def: $vgpr6
.LBB6_4334:                             ;   in Loop: Header=BB6_4231 Depth=2
	s_and_not1_saveexec_b32 s11, s13
; %bb.4335:                             ;   in Loop: Header=BB6_4231 Depth=2
	v_or_b32_e32 v27, 0x7b, v6
; %bb.4336:                             ;   in Loop: Header=BB6_4231 Depth=2
	s_or_b32 exec_lo, exec_lo, s11
                                        ; implicit-def: $vgpr1
                                        ; implicit-def: $vgpr0
.LBB6_4337:                             ;   in Loop: Header=BB6_4231 Depth=2
	s_and_not1_saveexec_b32 s11, s12
	s_cbranch_execz .LBB6_4343
; %bb.4338:                             ;   in Loop: Header=BB6_4231 Depth=2
	s_mov_b32 s12, exec_lo
                                        ; implicit-def: $vgpr27
	v_cmpx_ne_u64_e32 0, v[24:25]
	s_xor_b32 s12, exec_lo, s12
; %bb.4339:                             ;   in Loop: Header=BB6_4231 Depth=2
	v_or_b32_e32 v27, 0x7f, v0
                                        ; implicit-def: $vgpr1
; %bb.4340:                             ;   in Loop: Header=BB6_4231 Depth=2
	s_and_not1_saveexec_b32 s12, s12
; %bb.4341:                             ;   in Loop: Header=BB6_4231 Depth=2
	v_cmp_lt_i32_e32 vcc_lo, -1, v1
	v_cndmask_b32_e32 v27, 0xfc, v93, vcc_lo
; %bb.4342:                             ;   in Loop: Header=BB6_4231 Depth=2
	s_or_b32 exec_lo, exec_lo, s12
.LBB6_4343:                             ;   in Loop: Header=BB6_4231 Depth=2
	s_delay_alu instid0(SALU_CYCLE_1) | instskip(SKIP_4) | instid1(VALU_DEP_4)
	s_or_b32 exec_lo, exec_lo, s11
	v_bfe_u32 v1, v14, 16, 2
	v_dual_lshrrev_b32 v6, 16, v14 :: v_dual_lshlrev_b32 v24, 8, v14
	v_bfe_u32 v4, v14, 18, 5
	v_and_b32_e32 v5, 0x7c0000, v14
	v_clz_i32_u32_e32 v0, v1
	s_delay_alu instid0(VALU_DEP_4)
	v_bfe_i32 v28, v6, 0, 8
	s_mov_b32 s14, -1
	v_cmp_eq_u32_e64 s12, 0, v4
	v_cmp_eq_u32_e64 s11, 0x7c0000, v5
	v_min_u32_e32 v7, 32, v0
	v_lshrrev_b32_e32 v0, 16, v10
	v_cmp_lt_i16_e32 vcc_lo, -1, v28
	v_and_or_b32 v5, 0x80000000, v24, s28
	s_delay_alu instid0(VALU_DEP_4) | instskip(NEXT) | instid1(VALU_DEP_1)
	v_subrev_nc_u32_e32 v30, 29, v7
	v_lshlrev_b64_e32 v[30:31], v30, v[6:7]
	v_cndmask_b32_e32 v6, 0xff800000, v51, vcc_lo
	v_sub_nc_u32_e32 v7, 30, v7
	v_and_b32_e32 v29, 0xff, v0
	v_cmp_eq_u32_e32 vcc_lo, 0, v1
	v_and_b32_e32 v24, 3, v30
	s_delay_alu instid0(VALU_DEP_3)
	v_cmp_ne_u16_e64 s13, 0, v29
	v_cndmask_b32_e32 v6, 0x7f800001, v6, vcc_lo
	s_and_b32 vcc_lo, exec_lo, s45
                                        ; implicit-def: $vgpr30
	s_cbranch_vccz .LBB6_4361
; %bb.4344:                             ;   in Loop: Header=BB6_4231 Depth=2
	v_mov_b32_e32 v30, 0
	s_and_saveexec_b32 s14, s13
	s_cbranch_execz .LBB6_4354
; %bb.4345:                             ;   in Loop: Header=BB6_4231 Depth=2
	v_bfrev_b32_e32 v30, 1
	s_mov_b32 s15, exec_lo
	v_cmpx_ne_u16_e32 0x80, v29
	s_cbranch_execz .LBB6_4353
; %bb.4346:                             ;   in Loop: Header=BB6_4231 Depth=2
	v_and_b32_e32 v30, 0x7c0000, v10
	v_bfe_u32 v31, v10, 16, 2
	s_delay_alu instid0(VALU_DEP_2) | instskip(SKIP_1) | instid1(SALU_CYCLE_1)
	v_cmp_ne_u32_e32 vcc_lo, 0x7c0000, v30
                                        ; implicit-def: $vgpr30
	s_and_saveexec_b32 s46, vcc_lo
	s_xor_b32 s46, exec_lo, s46
	s_cbranch_execz .LBB6_4350
; %bb.4347:                             ;   in Loop: Header=BB6_4231 Depth=2
	v_bfe_u32 v30, v10, 18, 5
	s_mov_b32 s47, exec_lo
	s_delay_alu instid0(VALU_DEP_1)
	v_cmpx_eq_u32_e32 0, v30
; %bb.4348:                             ;   in Loop: Header=BB6_4231 Depth=2
	v_clz_i32_u32_e32 v30, v31
	s_delay_alu instid0(VALU_DEP_1) | instskip(NEXT) | instid1(VALU_DEP_1)
	v_min_u32_e32 v30, 32, v30
	v_subrev_nc_u32_e32 v31, 29, v30
	s_delay_alu instid0(VALU_DEP_1) | instskip(NEXT) | instid1(VALU_DEP_1)
	v_lshlrev_b64_e32 v[32:33], v31, v[0:1]
	v_dual_sub_nc_u32 v30, 30, v30 :: v_dual_bitop2_b32 v31, 3, v32 bitop3:0x40
; %bb.4349:                             ;   in Loop: Header=BB6_4231 Depth=2
	s_or_b32 exec_lo, exec_lo, s47
	v_lshlrev_b32_e32 v32, 24, v0
	s_delay_alu instid0(VALU_DEP_1) | instskip(NEXT) | instid1(VALU_DEP_1)
	v_and_b32_e32 v32, 0x80000000, v32
	v_lshl_add_u32 v30, v30, 23, v32
	s_delay_alu instid0(VALU_DEP_1) | instskip(NEXT) | instid1(VALU_DEP_1)
	v_lshl_or_b32 v30, v31, 21, v30
                                        ; implicit-def: $vgpr31
	v_add_nc_u32_e32 v30, 0x38000000, v30
.LBB6_4350:                             ;   in Loop: Header=BB6_4231 Depth=2
	s_and_not1_saveexec_b32 s46, s46
; %bb.4351:                             ;   in Loop: Header=BB6_4231 Depth=2
	v_bfe_i32 v30, v0, 0, 8
	s_delay_alu instid0(VALU_DEP_1) | instskip(SKIP_2) | instid1(VALU_DEP_2)
	v_cmp_lt_i16_e32 vcc_lo, -1, v30
	v_cndmask_b32_e32 v30, 0xff800000, v51, vcc_lo
	v_cmp_eq_u32_e32 vcc_lo, 0, v31
	v_cndmask_b32_e32 v30, 0x7f800001, v30, vcc_lo
; %bb.4352:                             ;   in Loop: Header=BB6_4231 Depth=2
	s_or_b32 exec_lo, exec_lo, s46
.LBB6_4353:                             ;   in Loop: Header=BB6_4231 Depth=2
	s_delay_alu instid0(SALU_CYCLE_1)
	s_or_b32 exec_lo, exec_lo, s15
.LBB6_4354:                             ;   in Loop: Header=BB6_4231 Depth=2
	s_delay_alu instid0(SALU_CYCLE_1) | instskip(SKIP_3) | instid1(VALU_DEP_1)
	s_or_b32 exec_lo, exec_lo, s14
	v_and_b32_e32 v32, 0xff, v28
	s_mov_b32 s14, 0
	s_mov_b32 s15, exec_lo
	v_cmpx_lt_i16_e32 0x7f, v32
	s_xor_b32 s15, exec_lo, s15
	s_cbranch_execz .LBB6_5086
; %bb.4355:                             ;   in Loop: Header=BB6_4231 Depth=2
	s_mov_b32 s14, -1
	s_mov_b32 s46, exec_lo
	v_cmpx_eq_u16_e32 0x80, v32
; %bb.4356:                             ;   in Loop: Header=BB6_4231 Depth=2
	s_xor_b32 s14, exec_lo, -1
; %bb.4357:                             ;   in Loop: Header=BB6_4231 Depth=2
	s_or_b32 exec_lo, exec_lo, s46
	s_delay_alu instid0(SALU_CYCLE_1)
	s_and_b32 s14, s14, exec_lo
                                        ; implicit-def: $vgpr32
	s_or_saveexec_b32 s15, s15
	v_bfrev_b32_e32 v31, 1
	s_xor_b32 exec_lo, exec_lo, s15
	s_cbranch_execnz .LBB6_5087
.LBB6_4358:                             ;   in Loop: Header=BB6_4231 Depth=2
	s_or_b32 exec_lo, exec_lo, s15
	s_and_saveexec_b32 s15, s14
.LBB6_4359:                             ;   in Loop: Header=BB6_4231 Depth=2
	v_dual_cndmask_b32 v31, v4, v7, s12 :: v_dual_cndmask_b32 v32, v1, v24, s12
	s_delay_alu instid0(VALU_DEP_1) | instskip(NEXT) | instid1(VALU_DEP_1)
	v_lshl_add_u32 v31, v31, 23, v5
	v_lshl_or_b32 v31, v32, 21, v31
	s_delay_alu instid0(VALU_DEP_1)
	v_cndmask_b32_e64 v31, v31, v6, s11
.LBB6_4360:                             ;   in Loop: Header=BB6_4231 Depth=2
	s_or_b32 exec_lo, exec_lo, s15
	s_delay_alu instid0(VALU_DEP_1) | instskip(SKIP_1) | instid1(VALU_DEP_1)
	v_dual_max_num_f32 v31, v31, v31 :: v_dual_max_num_f32 v30, v30, v30
	s_mov_b32 s14, 0
	v_max_num_f32_e32 v30, v30, v31
.LBB6_4361:                             ;   in Loop: Header=BB6_4231 Depth=2
	s_and_b32 vcc_lo, exec_lo, s14
	s_cbranch_vccz .LBB6_4379
; %bb.4362:                             ;   in Loop: Header=BB6_4231 Depth=2
	v_mov_b32_e32 v30, 0
	s_and_saveexec_b32 s14, s13
	s_cbranch_execz .LBB6_4372
; %bb.4363:                             ;   in Loop: Header=BB6_4231 Depth=2
	v_bfrev_b32_e32 v30, 1
	s_mov_b32 s13, exec_lo
	v_cmpx_ne_u16_e32 0x80, v29
	s_cbranch_execz .LBB6_4371
; %bb.4364:                             ;   in Loop: Header=BB6_4231 Depth=2
	v_and_b32_e32 v30, 0x7c0000, v10
	v_bfe_u32 v29, v10, 16, 2
	s_delay_alu instid0(VALU_DEP_2) | instskip(SKIP_1) | instid1(SALU_CYCLE_1)
	v_cmp_ne_u32_e32 vcc_lo, 0x7c0000, v30
                                        ; implicit-def: $vgpr30
	s_and_saveexec_b32 s15, vcc_lo
	s_xor_b32 s15, exec_lo, s15
	s_cbranch_execz .LBB6_4368
; %bb.4365:                             ;   in Loop: Header=BB6_4231 Depth=2
	v_bfe_u32 v30, v10, 18, 5
	s_mov_b32 s46, exec_lo
	s_delay_alu instid0(VALU_DEP_1)
	v_cmpx_eq_u32_e32 0, v30
; %bb.4366:                             ;   in Loop: Header=BB6_4231 Depth=2
	v_clz_i32_u32_e32 v29, v29
	s_delay_alu instid0(VALU_DEP_1) | instskip(NEXT) | instid1(VALU_DEP_1)
	v_min_u32_e32 v29, 32, v29
	v_subrev_nc_u32_e32 v30, 29, v29
	s_delay_alu instid0(VALU_DEP_1) | instskip(NEXT) | instid1(VALU_DEP_1)
	v_lshlrev_b64_e32 v[32:33], v30, v[0:1]
	v_dual_sub_nc_u32 v30, 30, v29 :: v_dual_bitop2_b32 v29, 3, v32 bitop3:0x40
; %bb.4367:                             ;   in Loop: Header=BB6_4231 Depth=2
	s_or_b32 exec_lo, exec_lo, s46
	v_lshlrev_b32_e32 v0, 24, v0
	s_delay_alu instid0(VALU_DEP_1) | instskip(NEXT) | instid1(VALU_DEP_1)
	v_and_b32_e32 v0, 0x80000000, v0
	v_lshl_add_u32 v0, v30, 23, v0
	s_delay_alu instid0(VALU_DEP_1) | instskip(NEXT) | instid1(VALU_DEP_1)
	v_lshl_or_b32 v0, v29, 21, v0
                                        ; implicit-def: $vgpr29
	v_add_nc_u32_e32 v30, 0x38000000, v0
                                        ; implicit-def: $vgpr0
.LBB6_4368:                             ;   in Loop: Header=BB6_4231 Depth=2
	s_and_not1_saveexec_b32 s15, s15
; %bb.4369:                             ;   in Loop: Header=BB6_4231 Depth=2
	v_bfe_i32 v0, v0, 0, 8
	s_delay_alu instid0(VALU_DEP_1) | instskip(SKIP_2) | instid1(VALU_DEP_2)
	v_cmp_lt_i16_e32 vcc_lo, -1, v0
	v_cndmask_b32_e32 v0, 0xff800000, v51, vcc_lo
	v_cmp_eq_u32_e32 vcc_lo, 0, v29
	v_cndmask_b32_e32 v30, 0x7f800001, v0, vcc_lo
; %bb.4370:                             ;   in Loop: Header=BB6_4231 Depth=2
	s_or_b32 exec_lo, exec_lo, s15
.LBB6_4371:                             ;   in Loop: Header=BB6_4231 Depth=2
	s_delay_alu instid0(SALU_CYCLE_1)
	s_or_b32 exec_lo, exec_lo, s13
.LBB6_4372:                             ;   in Loop: Header=BB6_4231 Depth=2
	s_delay_alu instid0(SALU_CYCLE_1) | instskip(SKIP_3) | instid1(VALU_DEP_1)
	s_or_b32 exec_lo, exec_lo, s14
	v_and_b32_e32 v28, 0xff, v28
	s_mov_b32 s13, 0
	s_mov_b32 s14, exec_lo
	v_cmpx_lt_i16_e32 0x7f, v28
	s_xor_b32 s14, exec_lo, s14
	s_cbranch_execz .LBB6_5088
; %bb.4373:                             ;   in Loop: Header=BB6_4231 Depth=2
	s_mov_b32 s13, -1
	s_mov_b32 s15, exec_lo
	v_cmpx_eq_u16_e32 0x80, v28
; %bb.4374:                             ;   in Loop: Header=BB6_4231 Depth=2
	s_xor_b32 s13, exec_lo, -1
; %bb.4375:                             ;   in Loop: Header=BB6_4231 Depth=2
	s_or_b32 exec_lo, exec_lo, s15
	s_delay_alu instid0(SALU_CYCLE_1)
	s_and_b32 s13, s13, exec_lo
                                        ; implicit-def: $vgpr28
	s_or_saveexec_b32 s14, s14
	v_bfrev_b32_e32 v0, 1
	s_xor_b32 exec_lo, exec_lo, s14
	s_cbranch_execnz .LBB6_5089
.LBB6_4376:                             ;   in Loop: Header=BB6_4231 Depth=2
	s_or_b32 exec_lo, exec_lo, s14
	s_and_saveexec_b32 s14, s13
.LBB6_4377:                             ;   in Loop: Header=BB6_4231 Depth=2
	v_dual_cndmask_b32 v0, v4, v7, s12 :: v_dual_cndmask_b32 v1, v1, v24, s12
	s_delay_alu instid0(VALU_DEP_1) | instskip(NEXT) | instid1(VALU_DEP_1)
	v_lshl_add_u32 v0, v0, 23, v5
	v_lshl_or_b32 v0, v1, 21, v0
	s_delay_alu instid0(VALU_DEP_1)
	v_cndmask_b32_e64 v0, v0, v6, s11
.LBB6_4378:                             ;   in Loop: Header=BB6_4231 Depth=2
	s_or_b32 exec_lo, exec_lo, s14
	s_delay_alu instid0(VALU_DEP_1) | instskip(NEXT) | instid1(VALU_DEP_1)
	v_dual_max_num_f32 v0, v0, v0 :: v_dual_max_num_f32 v1, v30, v30
	v_min_num_f32_e32 v30, v1, v0
.LBB6_4379:                             ;   in Loop: Header=BB6_4231 Depth=2
	s_delay_alu instid0(VALU_DEP_1) | instskip(SKIP_2) | instid1(VALU_DEP_2)
	v_and_b32_e32 v0, 0x7f800000, v30
	v_mov_b32_e32 v1, v25
	v_and_b32_e32 v24, 0x7fffff, v30
                                        ; implicit-def: $vgpr28
	v_cmp_ne_u64_e32 vcc_lo, 0x7f800000, v[0:1]
	v_lshrrev_b32_e32 v0, 24, v30
	s_and_saveexec_b32 s11, vcc_lo
	s_delay_alu instid0(SALU_CYCLE_1)
	s_xor_b32 s12, exec_lo, s11
	s_cbranch_execz .LBB6_4393
; %bb.4380:                             ;   in Loop: Header=BB6_4231 Depth=2
	v_and_b32_e32 v4, 0x7fffffff, v30
	v_mov_b32_e32 v5, v25
	v_and_b32_e32 v6, 0x80, v0
                                        ; implicit-def: $vgpr28
	s_mov_b32 s11, exec_lo
	s_delay_alu instid0(VALU_DEP_2)
	v_cmpx_gt_u64_e32 0x47600001, v[4:5]
	s_xor_b32 s13, exec_lo, s11
	s_cbranch_execz .LBB6_4390
; %bb.4381:                             ;   in Loop: Header=BB6_4231 Depth=2
	v_mov_b32_e32 v28, 0
	s_mov_b32 s14, exec_lo
	v_cmpx_ne_u32_e32 0, v30
	s_cbranch_execz .LBB6_4389
; %bb.4382:                             ;   in Loop: Header=BB6_4231 Depth=2
	v_bfe_u32 v7, v30, 23, 8
	v_or_b32_e32 v4, 0x800000, v24
	s_delay_alu instid0(VALU_DEP_2) | instskip(SKIP_1) | instid1(VALU_DEP_2)
	v_sub_nc_u32_e32 v0, 0x71, v7
	v_cmp_gt_u32_e32 vcc_lo, 0x72, v7
	v_cndmask_b32_e32 v0, 0, v0, vcc_lo
	v_cmp_eq_u32_e32 vcc_lo, 0, v7
	s_delay_alu instid0(VALU_DEP_2) | instskip(SKIP_1) | instid1(VALU_DEP_2)
	v_cndmask_b32_e64 v28, v0, 0x70, vcc_lo
	v_cndmask_b32_e32 v24, v4, v24, vcc_lo
	v_dual_add_nc_u32 v0, 21, v28 :: v_dual_add_nc_u32 v5, 20, v28
	s_delay_alu instid0(VALU_DEP_1) | instskip(NEXT) | instid1(VALU_DEP_2)
	v_lshlrev_b64_e64 v[0:1], v0, -1
	v_lshlrev_b64_e64 v[4:5], v5, 1
	s_delay_alu instid0(VALU_DEP_2) | instskip(NEXT) | instid1(VALU_DEP_3)
	v_bfi_b32 v31, v1, 0, 0
	v_bfi_b32 v30, v0, 0, v24
	v_lshrrev_b64 v[0:1], v28, v[24:25]
	s_delay_alu instid0(VALU_DEP_2) | instskip(NEXT) | instid1(VALU_DEP_2)
	v_cmp_eq_u64_e64 s11, v[30:31], v[4:5]
	v_mov_b64_e32 v[4:5], v[0:1]
	s_and_saveexec_b32 s15, s11
; %bb.4383:                             ;   in Loop: Header=BB6_4231 Depth=2
	v_bfe_u32 v24, v0, 21, 1
	s_delay_alu instid0(VALU_DEP_1) | instskip(NEXT) | instid1(VALU_DEP_1)
	v_add_nc_u64_e32 v[4:5], v[0:1], v[24:25]
	v_add_nc_u64_e32 v[4:5], -1, v[4:5]
; %bb.4384:                             ;   in Loop: Header=BB6_4231 Depth=2
	s_or_b32 exec_lo, exec_lo, s15
	v_add_nc_u32_e32 v1, 0xffffff81, v7
	v_lshrrev_b32_e32 v5, 23, v0
	s_mov_b32 s11, exec_lo
	s_delay_alu instid0(VALU_DEP_2) | instskip(NEXT) | instid1(VALU_DEP_1)
	v_cndmask_b32_e64 v1, v1, 0xffffff82, vcc_lo
	v_add3_u32 v5, v28, v1, v5
	v_and_b32_e32 v1, 0x1fffff, v4
                                        ; implicit-def: $vgpr4
	s_delay_alu instid0(VALU_DEP_1) | instskip(NEXT) | instid1(VALU_DEP_1)
	v_dual_add_nc_u32 v7, 14, v5 :: v_dual_add_nc_u32 v24, v1, v0
                                        ; implicit-def: $vgpr0_vgpr1
	v_cmpx_ne_u32_e32 0, v7
	s_xor_b32 s11, exec_lo, s11
; %bb.4385:                             ;   in Loop: Header=BB6_4231 Depth=2
	s_delay_alu instid0(VALU_DEP_2) | instskip(SKIP_1) | instid1(VALU_DEP_1)
	v_cmp_lt_u64_e32 vcc_lo, 0xffffff, v[24:25]
	v_add_nc_u32_e32 v0, 15, v5
	v_cndmask_b32_e32 v4, v7, v0, vcc_lo
	v_cndmask_b32_e64 v0, 0, 1, vcc_lo
	s_delay_alu instid0(VALU_DEP_1)
	v_lshrrev_b64 v[0:1], v0, v[24:25]
; %bb.4386:                             ;   in Loop: Header=BB6_4231 Depth=2
	s_and_not1_saveexec_b32 s11, s11
; %bb.4387:                             ;   in Loop: Header=BB6_4231 Depth=2
	v_mov_b64_e32 v[0:1], v[24:25]
	v_bfe_u32 v4, v24, 23, 1
; %bb.4388:                             ;   in Loop: Header=BB6_4231 Depth=2
	s_or_b32 exec_lo, exec_lo, s11
	s_delay_alu instid0(VALU_DEP_2) | instskip(NEXT) | instid1(VALU_DEP_2)
	v_lshrrev_b64 v[0:1], 21, v[0:1]
	v_cmp_gt_i32_e32 vcc_lo, 32, v4
	v_min_i32_e32 v5, 31, v4
	v_cmp_eq_u32_e64 s11, 0, v4
	s_delay_alu instid0(VALU_DEP_4) | instskip(NEXT) | instid1(VALU_DEP_3)
	v_cndmask_b32_e32 v1, 0, v1, vcc_lo
	v_dual_cndmask_b32 v0, 3, v0 :: v_dual_lshlrev_b32 v5, 2, v5
	s_delay_alu instid0(VALU_DEP_1) | instskip(NEXT) | instid1(VALU_DEP_2)
	v_and_b32_e32 v5, 0xfc, v5
	v_cmp_eq_u64_e32 vcc_lo, 0, v[0:1]
	s_delay_alu instid0(VALU_DEP_2)
	v_and_or_b32 v0, v0, 3, v5
	s_and_b32 s11, s11, vcc_lo
	s_delay_alu instid0(VALU_DEP_1) | instid1(SALU_CYCLE_1)
	v_cndmask_b32_e64 v0, v0, 0, s11
	s_delay_alu instid0(VALU_DEP_1)
	v_or_b32_e32 v28, v0, v6
.LBB6_4389:                             ;   in Loop: Header=BB6_4231 Depth=2
	s_or_b32 exec_lo, exec_lo, s14
                                        ; implicit-def: $vgpr6
.LBB6_4390:                             ;   in Loop: Header=BB6_4231 Depth=2
	s_and_not1_saveexec_b32 s11, s13
; %bb.4391:                             ;   in Loop: Header=BB6_4231 Depth=2
	v_or_b32_e32 v28, 0x7b, v6
; %bb.4392:                             ;   in Loop: Header=BB6_4231 Depth=2
	s_or_b32 exec_lo, exec_lo, s11
                                        ; implicit-def: $vgpr30
                                        ; implicit-def: $vgpr0
.LBB6_4393:                             ;   in Loop: Header=BB6_4231 Depth=2
	s_and_not1_saveexec_b32 s11, s12
	s_cbranch_execz .LBB6_4399
; %bb.4394:                             ;   in Loop: Header=BB6_4231 Depth=2
	s_mov_b32 s12, exec_lo
                                        ; implicit-def: $vgpr28
	v_cmpx_ne_u64_e32 0, v[24:25]
	s_xor_b32 s12, exec_lo, s12
; %bb.4395:                             ;   in Loop: Header=BB6_4231 Depth=2
	v_or_b32_e32 v28, 0x7f, v0
                                        ; implicit-def: $vgpr30
; %bb.4396:                             ;   in Loop: Header=BB6_4231 Depth=2
	s_and_not1_saveexec_b32 s12, s12
; %bb.4397:                             ;   in Loop: Header=BB6_4231 Depth=2
	v_cmp_lt_i32_e32 vcc_lo, -1, v30
	v_cndmask_b32_e32 v28, 0xfc, v93, vcc_lo
; %bb.4398:                             ;   in Loop: Header=BB6_4231 Depth=2
	s_or_b32 exec_lo, exec_lo, s12
.LBB6_4399:                             ;   in Loop: Header=BB6_4231 Depth=2
	s_delay_alu instid0(SALU_CYCLE_1)
	s_or_b32 exec_lo, exec_lo, s11
	v_bfe_u32 v1, v14, 24, 2
	v_lshrrev_b32_e32 v6, 24, v14
	v_cmp_lt_i32_e32 vcc_lo, -1, v14
	v_and_b32_e32 v24, 0x7c000000, v14
	v_cmp_gt_u32_e64 s11, 0x1000000, v14
	v_clz_i32_u32_e32 v4, v1
	v_and_or_b32 v5, 0x80000000, v14, s28
	v_cndmask_b32_e32 v32, 0xff800000, v51, vcc_lo
	v_cmp_eq_u32_e32 vcc_lo, 0, v1
	v_cmp_lt_u32_e64 s15, 0xffffff, v10
	v_min_u32_e32 v7, 32, v4
	v_bfe_u32 v4, v14, 26, 5
	v_lshrrev_b32_e32 v0, 24, v10
	v_cmp_eq_u32_e64 s12, 0x80, v6
	v_cmp_eq_u32_e64 s13, 0x7c000000, v24
	v_subrev_nc_u32_e32 v29, 29, v7
	v_cmp_eq_u32_e64 s14, 0, v4
	s_mov_b32 s46, -1
	v_lshlrev_b64_e32 v[30:31], v29, v[6:7]
	v_dual_cndmask_b32 v6, 0x7f800001, v32 :: v_dual_sub_nc_u32 v7, 30, v7
	s_and_b32 vcc_lo, exec_lo, s45
	s_delay_alu instid0(VALU_DEP_2)
	v_and_b32_e32 v24, 3, v30
                                        ; implicit-def: $vgpr30
	s_cbranch_vccz .LBB6_4411
; %bb.4400:                             ;   in Loop: Header=BB6_4231 Depth=2
	v_mov_b32_e32 v29, 0
	s_and_saveexec_b32 s46, s15
	s_cbranch_execz .LBB6_4410
; %bb.4401:                             ;   in Loop: Header=BB6_4231 Depth=2
	v_bfrev_b32_e32 v29, 1
	s_mov_b32 s47, exec_lo
	v_cmpx_ne_u32_e32 0x80, v0
	s_cbranch_execz .LBB6_4409
; %bb.4402:                             ;   in Loop: Header=BB6_4231 Depth=2
	v_and_b32_e32 v29, 0x7c000000, v10
	v_bfe_u32 v30, v10, 24, 2
	s_delay_alu instid0(VALU_DEP_2) | instskip(SKIP_1) | instid1(SALU_CYCLE_1)
	v_cmp_ne_u32_e32 vcc_lo, 0x7c000000, v29
                                        ; implicit-def: $vgpr29
	s_and_saveexec_b32 s56, vcc_lo
	s_xor_b32 s56, exec_lo, s56
	s_cbranch_execz .LBB6_4406
; %bb.4403:                             ;   in Loop: Header=BB6_4231 Depth=2
	v_bfe_u32 v29, v10, 26, 5
	s_mov_b32 s57, exec_lo
	s_delay_alu instid0(VALU_DEP_1)
	v_cmpx_eq_u32_e32 0, v29
; %bb.4404:                             ;   in Loop: Header=BB6_4231 Depth=2
	v_clz_i32_u32_e32 v29, v30
	s_delay_alu instid0(VALU_DEP_1) | instskip(NEXT) | instid1(VALU_DEP_1)
	v_min_u32_e32 v29, 32, v29
	v_subrev_nc_u32_e32 v30, 29, v29
	s_delay_alu instid0(VALU_DEP_1) | instskip(NEXT) | instid1(VALU_DEP_1)
	v_lshlrev_b64_e32 v[30:31], v30, v[0:1]
	v_dual_sub_nc_u32 v29, 30, v29 :: v_dual_bitop2_b32 v30, 3, v30 bitop3:0x40
; %bb.4405:                             ;   in Loop: Header=BB6_4231 Depth=2
	s_or_b32 exec_lo, exec_lo, s57
	v_and_b32_e32 v31, 0x80000000, v10
	s_delay_alu instid0(VALU_DEP_1) | instskip(NEXT) | instid1(VALU_DEP_1)
	v_lshl_add_u32 v29, v29, 23, v31
	v_lshl_or_b32 v29, v30, 21, v29
                                        ; implicit-def: $vgpr30
	s_delay_alu instid0(VALU_DEP_1)
	v_add_nc_u32_e32 v29, 0x38000000, v29
.LBB6_4406:                             ;   in Loop: Header=BB6_4231 Depth=2
	s_and_not1_saveexec_b32 s56, s56
; %bb.4407:                             ;   in Loop: Header=BB6_4231 Depth=2
	v_cmp_lt_i32_e32 vcc_lo, -1, v10
	v_cndmask_b32_e32 v29, 0xff800000, v51, vcc_lo
	v_cmp_eq_u32_e32 vcc_lo, 0, v30
	s_delay_alu instid0(VALU_DEP_2)
	v_cndmask_b32_e32 v29, 0x7f800001, v29, vcc_lo
; %bb.4408:                             ;   in Loop: Header=BB6_4231 Depth=2
	s_or_b32 exec_lo, exec_lo, s56
.LBB6_4409:                             ;   in Loop: Header=BB6_4231 Depth=2
	s_delay_alu instid0(SALU_CYCLE_1)
	s_or_b32 exec_lo, exec_lo, s47
.LBB6_4410:                             ;   in Loop: Header=BB6_4231 Depth=2
	s_delay_alu instid0(SALU_CYCLE_1) | instskip(SKIP_3) | instid1(VALU_DEP_2)
	s_or_b32 exec_lo, exec_lo, s46
	v_dual_cndmask_b32 v30, v4, v7, s14 :: v_dual_cndmask_b32 v31, v1, v24, s14
	s_mov_b32 s46, 0
	v_max_num_f32_e32 v29, v29, v29
	v_lshl_add_u32 v30, v30, 23, v5
	s_delay_alu instid0(VALU_DEP_1) | instskip(NEXT) | instid1(VALU_DEP_1)
	v_lshl_or_b32 v30, v31, 21, v30
	v_cndmask_b32_e64 v30, v30, v6, s13
	s_delay_alu instid0(VALU_DEP_1) | instskip(NEXT) | instid1(VALU_DEP_1)
	v_cndmask_b32_e64 v30, v30, 0x80000000, s12
	v_cndmask_b32_e64 v30, v30, 0, s11
	s_delay_alu instid0(VALU_DEP_1) | instskip(NEXT) | instid1(VALU_DEP_1)
	v_max_num_f32_e32 v30, v30, v30
	v_max_num_f32_e32 v30, v29, v30
.LBB6_4411:                             ;   in Loop: Header=BB6_4231 Depth=2
	s_and_b32 vcc_lo, exec_lo, s46
	s_cbranch_vccz .LBB6_4423
; %bb.4412:                             ;   in Loop: Header=BB6_4231 Depth=2
	v_mov_b32_e32 v29, 0
	s_and_saveexec_b32 s46, s15
	s_cbranch_execz .LBB6_4422
; %bb.4413:                             ;   in Loop: Header=BB6_4231 Depth=2
	v_bfrev_b32_e32 v29, 1
	s_mov_b32 s15, exec_lo
	v_cmpx_ne_u32_e32 0x80, v0
	s_cbranch_execz .LBB6_4421
; %bb.4414:                             ;   in Loop: Header=BB6_4231 Depth=2
	v_and_b32_e32 v29, 0x7c000000, v10
	v_bfe_u32 v30, v10, 24, 2
	s_delay_alu instid0(VALU_DEP_2) | instskip(SKIP_1) | instid1(SALU_CYCLE_1)
	v_cmp_ne_u32_e32 vcc_lo, 0x7c000000, v29
                                        ; implicit-def: $vgpr29
	s_and_saveexec_b32 s47, vcc_lo
	s_xor_b32 s47, exec_lo, s47
	s_cbranch_execz .LBB6_4418
; %bb.4415:                             ;   in Loop: Header=BB6_4231 Depth=2
	v_bfe_u32 v29, v10, 26, 5
	s_mov_b32 s56, exec_lo
	s_delay_alu instid0(VALU_DEP_1)
	v_cmpx_eq_u32_e32 0, v29
; %bb.4416:                             ;   in Loop: Header=BB6_4231 Depth=2
	v_clz_i32_u32_e32 v29, v30
	s_delay_alu instid0(VALU_DEP_1) | instskip(NEXT) | instid1(VALU_DEP_1)
	v_min_u32_e32 v29, 32, v29
	v_subrev_nc_u32_e32 v30, 29, v29
	s_delay_alu instid0(VALU_DEP_1) | instskip(NEXT) | instid1(VALU_DEP_1)
	v_lshlrev_b64_e32 v[30:31], v30, v[0:1]
	v_dual_sub_nc_u32 v29, 30, v29 :: v_dual_bitop2_b32 v30, 3, v30 bitop3:0x40
; %bb.4417:                             ;   in Loop: Header=BB6_4231 Depth=2
	s_or_b32 exec_lo, exec_lo, s56
	v_and_b32_e32 v0, 0x80000000, v10
	s_delay_alu instid0(VALU_DEP_1) | instskip(NEXT) | instid1(VALU_DEP_1)
	v_lshl_add_u32 v0, v29, 23, v0
	v_lshl_or_b32 v0, v30, 21, v0
                                        ; implicit-def: $vgpr30
	s_delay_alu instid0(VALU_DEP_1)
	v_add_nc_u32_e32 v29, 0x38000000, v0
.LBB6_4418:                             ;   in Loop: Header=BB6_4231 Depth=2
	s_and_not1_saveexec_b32 s47, s47
; %bb.4419:                             ;   in Loop: Header=BB6_4231 Depth=2
	v_cmp_lt_i32_e32 vcc_lo, -1, v10
	v_cndmask_b32_e32 v0, 0xff800000, v51, vcc_lo
	v_cmp_eq_u32_e32 vcc_lo, 0, v30
	s_delay_alu instid0(VALU_DEP_2)
	v_cndmask_b32_e32 v29, 0x7f800001, v0, vcc_lo
; %bb.4420:                             ;   in Loop: Header=BB6_4231 Depth=2
	s_or_b32 exec_lo, exec_lo, s47
.LBB6_4421:                             ;   in Loop: Header=BB6_4231 Depth=2
	s_delay_alu instid0(SALU_CYCLE_1)
	s_or_b32 exec_lo, exec_lo, s15
.LBB6_4422:                             ;   in Loop: Header=BB6_4231 Depth=2
	s_delay_alu instid0(SALU_CYCLE_1) | instskip(SKIP_1) | instid1(VALU_DEP_1)
	s_or_b32 exec_lo, exec_lo, s46
	v_dual_cndmask_b32 v0, v4, v7, s14 :: v_dual_cndmask_b32 v1, v1, v24, s14
	v_lshl_add_u32 v0, v0, 23, v5
	s_delay_alu instid0(VALU_DEP_1) | instskip(NEXT) | instid1(VALU_DEP_1)
	v_lshl_or_b32 v0, v1, 21, v0
	v_dual_max_num_f32 v1, v29, v29 :: v_dual_cndmask_b32 v0, v0, v6, s13
	s_delay_alu instid0(VALU_DEP_1) | instskip(NEXT) | instid1(VALU_DEP_1)
	v_cndmask_b32_e64 v0, v0, 0x80000000, s12
	v_cndmask_b32_e64 v0, v0, 0, s11
	s_delay_alu instid0(VALU_DEP_1) | instskip(NEXT) | instid1(VALU_DEP_1)
	v_max_num_f32_e32 v0, v0, v0
	v_min_num_f32_e32 v30, v1, v0
.LBB6_4423:                             ;   in Loop: Header=BB6_4231 Depth=2
	s_delay_alu instid0(VALU_DEP_1) | instskip(SKIP_2) | instid1(VALU_DEP_2)
	v_and_b32_e32 v0, 0x7f800000, v30
	v_mov_b32_e32 v1, v25
	v_and_b32_e32 v24, 0x7fffff, v30
                                        ; implicit-def: $vgpr29
	v_cmp_ne_u64_e32 vcc_lo, 0x7f800000, v[0:1]
	v_lshrrev_b32_e32 v0, 24, v30
	s_and_saveexec_b32 s11, vcc_lo
	s_delay_alu instid0(SALU_CYCLE_1)
	s_xor_b32 s12, exec_lo, s11
	s_cbranch_execz .LBB6_4437
; %bb.4424:                             ;   in Loop: Header=BB6_4231 Depth=2
	v_and_b32_e32 v4, 0x7fffffff, v30
	v_mov_b32_e32 v5, v25
	v_and_b32_e32 v6, 0x80, v0
                                        ; implicit-def: $vgpr29
	s_mov_b32 s11, exec_lo
	s_delay_alu instid0(VALU_DEP_2)
	v_cmpx_gt_u64_e32 0x47600001, v[4:5]
	s_xor_b32 s13, exec_lo, s11
	s_cbranch_execz .LBB6_4434
; %bb.4425:                             ;   in Loop: Header=BB6_4231 Depth=2
	v_mov_b32_e32 v29, 0
	s_mov_b32 s14, exec_lo
	v_cmpx_ne_u32_e32 0, v30
	s_cbranch_execz .LBB6_4433
; %bb.4426:                             ;   in Loop: Header=BB6_4231 Depth=2
	v_bfe_u32 v7, v30, 23, 8
	v_or_b32_e32 v4, 0x800000, v24
	s_delay_alu instid0(VALU_DEP_2) | instskip(SKIP_1) | instid1(VALU_DEP_2)
	v_sub_nc_u32_e32 v0, 0x71, v7
	v_cmp_gt_u32_e32 vcc_lo, 0x72, v7
	v_cndmask_b32_e32 v0, 0, v0, vcc_lo
	v_cmp_eq_u32_e32 vcc_lo, 0, v7
	s_delay_alu instid0(VALU_DEP_2) | instskip(NEXT) | instid1(VALU_DEP_1)
	v_cndmask_b32_e64 v29, v0, 0x70, vcc_lo
	v_dual_cndmask_b32 v24, v4, v24, vcc_lo :: v_dual_add_nc_u32 v0, 21, v29
	v_add_nc_u32_e32 v5, 20, v29
	s_delay_alu instid0(VALU_DEP_2) | instskip(NEXT) | instid1(VALU_DEP_2)
	v_lshlrev_b64_e64 v[0:1], v0, -1
	v_lshlrev_b64_e64 v[4:5], v5, 1
	s_delay_alu instid0(VALU_DEP_2) | instskip(NEXT) | instid1(VALU_DEP_3)
	v_bfi_b32 v31, v1, 0, 0
	v_bfi_b32 v30, v0, 0, v24
	v_lshrrev_b64 v[0:1], v29, v[24:25]
	s_delay_alu instid0(VALU_DEP_2) | instskip(NEXT) | instid1(VALU_DEP_2)
	v_cmp_eq_u64_e64 s11, v[30:31], v[4:5]
	v_mov_b64_e32 v[4:5], v[0:1]
	s_and_saveexec_b32 s15, s11
; %bb.4427:                             ;   in Loop: Header=BB6_4231 Depth=2
	v_bfe_u32 v24, v0, 21, 1
	s_delay_alu instid0(VALU_DEP_1) | instskip(NEXT) | instid1(VALU_DEP_1)
	v_add_nc_u64_e32 v[4:5], v[0:1], v[24:25]
	v_add_nc_u64_e32 v[4:5], -1, v[4:5]
; %bb.4428:                             ;   in Loop: Header=BB6_4231 Depth=2
	s_or_b32 exec_lo, exec_lo, s15
	v_add_nc_u32_e32 v1, 0xffffff81, v7
	v_lshrrev_b32_e32 v5, 23, v0
	s_mov_b32 s11, exec_lo
	s_delay_alu instid0(VALU_DEP_2) | instskip(NEXT) | instid1(VALU_DEP_1)
	v_cndmask_b32_e64 v1, v1, 0xffffff82, vcc_lo
	v_add3_u32 v5, v29, v1, v5
	v_and_b32_e32 v1, 0x1fffff, v4
                                        ; implicit-def: $vgpr4
	s_delay_alu instid0(VALU_DEP_1) | instskip(NEXT) | instid1(VALU_DEP_1)
	v_dual_add_nc_u32 v7, 14, v5 :: v_dual_add_nc_u32 v24, v1, v0
                                        ; implicit-def: $vgpr0_vgpr1
	v_cmpx_ne_u32_e32 0, v7
	s_xor_b32 s11, exec_lo, s11
; %bb.4429:                             ;   in Loop: Header=BB6_4231 Depth=2
	s_delay_alu instid0(VALU_DEP_2) | instskip(SKIP_1) | instid1(VALU_DEP_1)
	v_cmp_lt_u64_e32 vcc_lo, 0xffffff, v[24:25]
	v_add_nc_u32_e32 v0, 15, v5
	v_cndmask_b32_e32 v4, v7, v0, vcc_lo
	v_cndmask_b32_e64 v0, 0, 1, vcc_lo
	s_delay_alu instid0(VALU_DEP_1)
	v_lshrrev_b64 v[0:1], v0, v[24:25]
; %bb.4430:                             ;   in Loop: Header=BB6_4231 Depth=2
	s_and_not1_saveexec_b32 s11, s11
; %bb.4431:                             ;   in Loop: Header=BB6_4231 Depth=2
	v_mov_b64_e32 v[0:1], v[24:25]
	v_bfe_u32 v4, v24, 23, 1
; %bb.4432:                             ;   in Loop: Header=BB6_4231 Depth=2
	s_or_b32 exec_lo, exec_lo, s11
	s_delay_alu instid0(VALU_DEP_2) | instskip(NEXT) | instid1(VALU_DEP_2)
	v_lshrrev_b64 v[0:1], 21, v[0:1]
	v_cmp_gt_i32_e32 vcc_lo, 32, v4
	v_min_i32_e32 v5, 31, v4
	v_cmp_eq_u32_e64 s11, 0, v4
	s_delay_alu instid0(VALU_DEP_4) | instskip(NEXT) | instid1(VALU_DEP_3)
	v_cndmask_b32_e32 v1, 0, v1, vcc_lo
	v_dual_cndmask_b32 v0, 3, v0 :: v_dual_lshlrev_b32 v5, 2, v5
	s_delay_alu instid0(VALU_DEP_1) | instskip(NEXT) | instid1(VALU_DEP_2)
	v_and_b32_e32 v5, 0xfc, v5
	v_cmp_eq_u64_e32 vcc_lo, 0, v[0:1]
	s_delay_alu instid0(VALU_DEP_2)
	v_and_or_b32 v0, v0, 3, v5
	s_and_b32 s11, s11, vcc_lo
	s_delay_alu instid0(VALU_DEP_1) | instid1(SALU_CYCLE_1)
	v_cndmask_b32_e64 v0, v0, 0, s11
	s_delay_alu instid0(VALU_DEP_1)
	v_or_b32_e32 v29, v0, v6
.LBB6_4433:                             ;   in Loop: Header=BB6_4231 Depth=2
	s_or_b32 exec_lo, exec_lo, s14
                                        ; implicit-def: $vgpr6
.LBB6_4434:                             ;   in Loop: Header=BB6_4231 Depth=2
	s_and_not1_saveexec_b32 s11, s13
; %bb.4435:                             ;   in Loop: Header=BB6_4231 Depth=2
	v_or_b32_e32 v29, 0x7b, v6
; %bb.4436:                             ;   in Loop: Header=BB6_4231 Depth=2
	s_or_b32 exec_lo, exec_lo, s11
                                        ; implicit-def: $vgpr30
                                        ; implicit-def: $vgpr0
.LBB6_4437:                             ;   in Loop: Header=BB6_4231 Depth=2
	s_and_not1_saveexec_b32 s11, s12
	s_cbranch_execz .LBB6_4443
; %bb.4438:                             ;   in Loop: Header=BB6_4231 Depth=2
	s_mov_b32 s12, exec_lo
                                        ; implicit-def: $vgpr29
	v_cmpx_ne_u64_e32 0, v[24:25]
	s_xor_b32 s12, exec_lo, s12
; %bb.4439:                             ;   in Loop: Header=BB6_4231 Depth=2
	v_or_b32_e32 v29, 0x7f, v0
                                        ; implicit-def: $vgpr30
; %bb.4440:                             ;   in Loop: Header=BB6_4231 Depth=2
	s_and_not1_saveexec_b32 s12, s12
; %bb.4441:                             ;   in Loop: Header=BB6_4231 Depth=2
	v_cmp_lt_i32_e32 vcc_lo, -1, v30
	v_cndmask_b32_e32 v29, 0xfc, v93, vcc_lo
; %bb.4442:                             ;   in Loop: Header=BB6_4231 Depth=2
	s_or_b32 exec_lo, exec_lo, s12
.LBB6_4443:                             ;   in Loop: Header=BB6_4231 Depth=2
	s_delay_alu instid0(SALU_CYCLE_1) | instskip(SKIP_4) | instid1(VALU_DEP_4)
	s_or_b32 exec_lo, exec_lo, s11
	v_dual_mov_b32 v24, v15 :: v_dual_bitop2_b32 v4, 3, v15 bitop3:0x40
	v_bfe_i32 v32, v15, 0, 8
	v_bfe_u32 v5, v15, 2, 5
	v_and_b32_e32 v6, 0x7c, v15
	v_clz_i32_u32_e32 v0, v4
	v_lshlrev_b32_e32 v7, 24, v15
	v_cmp_lt_i16_e32 vcc_lo, -1, v32
	v_mov_b32_e32 v1, v25
	v_and_b32_e32 v33, 0xff, v11
	v_min_u32_e32 v30, 32, v0
	v_mov_b32_e32 v0, v11
	v_cndmask_b32_e32 v36, 0xff800000, v51, vcc_lo
	v_cmp_eq_u32_e32 vcc_lo, 0, v4
	v_cmp_eq_u32_e64 s11, 0x7c, v6
	v_subrev_nc_u32_e32 v31, 29, v30
	v_cmp_eq_u32_e64 s12, 0, v5
	v_and_or_b32 v6, 0x80000000, v7, s28
	v_cmp_ne_u16_e64 s13, 0, v33
	v_dual_cndmask_b32 v7, 0x7f800001, v36 :: v_dual_sub_nc_u32 v30, 30, v30
	v_lshlrev_b64_e32 v[34:35], v31, v[24:25]
	s_and_b32 vcc_lo, exec_lo, s45
	s_mov_b32 s14, -1
	s_delay_alu instid0(VALU_DEP_1)
	v_and_b32_e32 v31, 3, v34
                                        ; implicit-def: $vgpr34
	s_cbranch_vccz .LBB6_4461
; %bb.4444:                             ;   in Loop: Header=BB6_4231 Depth=2
	v_mov_b32_e32 v34, 0
	s_and_saveexec_b32 s14, s13
	s_cbranch_execz .LBB6_4454
; %bb.4445:                             ;   in Loop: Header=BB6_4231 Depth=2
	v_bfrev_b32_e32 v34, 1
	s_mov_b32 s15, exec_lo
	v_cmpx_ne_u16_e32 0x80, v33
	s_cbranch_execz .LBB6_4453
; %bb.4446:                             ;   in Loop: Header=BB6_4231 Depth=2
	v_and_b32_e32 v34, 0x7c, v11
	v_and_b32_e32 v35, 3, v11
	s_delay_alu instid0(VALU_DEP_2) | instskip(SKIP_1) | instid1(SALU_CYCLE_1)
	v_cmp_ne_u32_e32 vcc_lo, 0x7c, v34
                                        ; implicit-def: $vgpr34
	s_and_saveexec_b32 s46, vcc_lo
	s_xor_b32 s46, exec_lo, s46
	s_cbranch_execz .LBB6_4450
; %bb.4447:                             ;   in Loop: Header=BB6_4231 Depth=2
	v_bfe_u32 v34, v11, 2, 5
	s_mov_b32 s47, exec_lo
	s_delay_alu instid0(VALU_DEP_1)
	v_cmpx_eq_u32_e32 0, v34
; %bb.4448:                             ;   in Loop: Header=BB6_4231 Depth=2
	v_clz_i32_u32_e32 v34, v35
	s_delay_alu instid0(VALU_DEP_1) | instskip(NEXT) | instid1(VALU_DEP_1)
	v_min_u32_e32 v34, 32, v34
	v_subrev_nc_u32_e32 v35, 29, v34
	s_delay_alu instid0(VALU_DEP_1) | instskip(NEXT) | instid1(VALU_DEP_1)
	v_lshlrev_b64_e32 v[36:37], v35, v[0:1]
	v_dual_sub_nc_u32 v34, 30, v34 :: v_dual_bitop2_b32 v35, 3, v36 bitop3:0x40
; %bb.4449:                             ;   in Loop: Header=BB6_4231 Depth=2
	s_or_b32 exec_lo, exec_lo, s47
	v_lshlrev_b32_e32 v36, 24, v11
	s_delay_alu instid0(VALU_DEP_1) | instskip(NEXT) | instid1(VALU_DEP_1)
	v_and_b32_e32 v36, 0x80000000, v36
	v_lshl_add_u32 v34, v34, 23, v36
	s_delay_alu instid0(VALU_DEP_1) | instskip(NEXT) | instid1(VALU_DEP_1)
	v_lshl_or_b32 v34, v35, 21, v34
                                        ; implicit-def: $vgpr35
	v_add_nc_u32_e32 v34, 0x38000000, v34
.LBB6_4450:                             ;   in Loop: Header=BB6_4231 Depth=2
	s_and_not1_saveexec_b32 s46, s46
; %bb.4451:                             ;   in Loop: Header=BB6_4231 Depth=2
	v_bfe_i32 v34, v11, 0, 8
	s_delay_alu instid0(VALU_DEP_1) | instskip(SKIP_2) | instid1(VALU_DEP_2)
	v_cmp_lt_i16_e32 vcc_lo, -1, v34
	v_cndmask_b32_e32 v34, 0xff800000, v51, vcc_lo
	v_cmp_eq_u32_e32 vcc_lo, 0, v35
	v_cndmask_b32_e32 v34, 0x7f800001, v34, vcc_lo
; %bb.4452:                             ;   in Loop: Header=BB6_4231 Depth=2
	s_or_b32 exec_lo, exec_lo, s46
.LBB6_4453:                             ;   in Loop: Header=BB6_4231 Depth=2
	s_delay_alu instid0(SALU_CYCLE_1)
	s_or_b32 exec_lo, exec_lo, s15
.LBB6_4454:                             ;   in Loop: Header=BB6_4231 Depth=2
	s_delay_alu instid0(SALU_CYCLE_1) | instskip(SKIP_3) | instid1(VALU_DEP_1)
	s_or_b32 exec_lo, exec_lo, s14
	v_and_b32_e32 v36, 0xff, v32
	s_mov_b32 s14, 0
	s_mov_b32 s15, exec_lo
	v_cmpx_lt_i16_e32 0x7f, v36
	s_xor_b32 s15, exec_lo, s15
	s_cbranch_execz .LBB6_5090
; %bb.4455:                             ;   in Loop: Header=BB6_4231 Depth=2
	s_mov_b32 s14, -1
	s_mov_b32 s46, exec_lo
	v_cmpx_eq_u16_e32 0x80, v36
; %bb.4456:                             ;   in Loop: Header=BB6_4231 Depth=2
	s_xor_b32 s14, exec_lo, -1
; %bb.4457:                             ;   in Loop: Header=BB6_4231 Depth=2
	s_or_b32 exec_lo, exec_lo, s46
	s_delay_alu instid0(SALU_CYCLE_1)
	s_and_b32 s14, s14, exec_lo
                                        ; implicit-def: $vgpr36
	s_or_saveexec_b32 s15, s15
	v_bfrev_b32_e32 v35, 1
	s_xor_b32 exec_lo, exec_lo, s15
	s_cbranch_execnz .LBB6_5091
.LBB6_4458:                             ;   in Loop: Header=BB6_4231 Depth=2
	s_or_b32 exec_lo, exec_lo, s15
	s_and_saveexec_b32 s15, s14
.LBB6_4459:                             ;   in Loop: Header=BB6_4231 Depth=2
	v_dual_cndmask_b32 v35, v5, v30, s12 :: v_dual_cndmask_b32 v36, v4, v31, s12
	s_delay_alu instid0(VALU_DEP_1) | instskip(NEXT) | instid1(VALU_DEP_1)
	v_lshl_add_u32 v35, v35, 23, v6
	v_lshl_or_b32 v35, v36, 21, v35
	s_delay_alu instid0(VALU_DEP_1)
	v_cndmask_b32_e64 v35, v35, v7, s11
.LBB6_4460:                             ;   in Loop: Header=BB6_4231 Depth=2
	s_or_b32 exec_lo, exec_lo, s15
	s_delay_alu instid0(VALU_DEP_1) | instskip(SKIP_1) | instid1(VALU_DEP_1)
	v_dual_max_num_f32 v35, v35, v35 :: v_dual_max_num_f32 v34, v34, v34
	s_mov_b32 s14, 0
	v_max_num_f32_e32 v34, v34, v35
.LBB6_4461:                             ;   in Loop: Header=BB6_4231 Depth=2
	s_and_b32 vcc_lo, exec_lo, s14
	s_cbranch_vccz .LBB6_4479
; %bb.4462:                             ;   in Loop: Header=BB6_4231 Depth=2
	v_mov_b32_e32 v34, 0
	s_and_saveexec_b32 s14, s13
	s_cbranch_execz .LBB6_4472
; %bb.4463:                             ;   in Loop: Header=BB6_4231 Depth=2
	v_bfrev_b32_e32 v34, 1
	s_mov_b32 s13, exec_lo
	v_cmpx_ne_u16_e32 0x80, v33
	s_cbranch_execz .LBB6_4471
; %bb.4464:                             ;   in Loop: Header=BB6_4231 Depth=2
	v_and_b32_e32 v34, 0x7c, v11
	v_and_b32_e32 v33, 3, v11
	s_delay_alu instid0(VALU_DEP_2) | instskip(SKIP_1) | instid1(SALU_CYCLE_1)
	v_cmp_ne_u32_e32 vcc_lo, 0x7c, v34
                                        ; implicit-def: $vgpr34
	s_and_saveexec_b32 s15, vcc_lo
	s_xor_b32 s15, exec_lo, s15
	s_cbranch_execz .LBB6_4468
; %bb.4465:                             ;   in Loop: Header=BB6_4231 Depth=2
	v_bfe_u32 v34, v11, 2, 5
	s_mov_b32 s46, exec_lo
	s_delay_alu instid0(VALU_DEP_1)
	v_cmpx_eq_u32_e32 0, v34
; %bb.4466:                             ;   in Loop: Header=BB6_4231 Depth=2
	v_clz_i32_u32_e32 v33, v33
	s_delay_alu instid0(VALU_DEP_1) | instskip(NEXT) | instid1(VALU_DEP_1)
	v_min_u32_e32 v33, 32, v33
	v_subrev_nc_u32_e32 v34, 29, v33
	s_delay_alu instid0(VALU_DEP_1) | instskip(NEXT) | instid1(VALU_DEP_1)
	v_lshlrev_b64_e32 v[36:37], v34, v[0:1]
	v_dual_sub_nc_u32 v34, 30, v33 :: v_dual_bitop2_b32 v33, 3, v36 bitop3:0x40
; %bb.4467:                             ;   in Loop: Header=BB6_4231 Depth=2
	s_or_b32 exec_lo, exec_lo, s46
	v_lshlrev_b32_e32 v1, 24, v11
	s_delay_alu instid0(VALU_DEP_1) | instskip(NEXT) | instid1(VALU_DEP_1)
	v_and_b32_e32 v1, 0x80000000, v1
	v_lshl_add_u32 v1, v34, 23, v1
	s_delay_alu instid0(VALU_DEP_1) | instskip(NEXT) | instid1(VALU_DEP_1)
	v_lshl_or_b32 v1, v33, 21, v1
                                        ; implicit-def: $vgpr33
	v_add_nc_u32_e32 v34, 0x38000000, v1
.LBB6_4468:                             ;   in Loop: Header=BB6_4231 Depth=2
	s_and_not1_saveexec_b32 s15, s15
; %bb.4469:                             ;   in Loop: Header=BB6_4231 Depth=2
	v_bfe_i32 v1, v11, 0, 8
	s_delay_alu instid0(VALU_DEP_1) | instskip(SKIP_2) | instid1(VALU_DEP_2)
	v_cmp_lt_i16_e32 vcc_lo, -1, v1
	v_cndmask_b32_e32 v1, 0xff800000, v51, vcc_lo
	v_cmp_eq_u32_e32 vcc_lo, 0, v33
	v_cndmask_b32_e32 v34, 0x7f800001, v1, vcc_lo
; %bb.4470:                             ;   in Loop: Header=BB6_4231 Depth=2
	s_or_b32 exec_lo, exec_lo, s15
.LBB6_4471:                             ;   in Loop: Header=BB6_4231 Depth=2
	s_delay_alu instid0(SALU_CYCLE_1)
	s_or_b32 exec_lo, exec_lo, s13
.LBB6_4472:                             ;   in Loop: Header=BB6_4231 Depth=2
	s_delay_alu instid0(SALU_CYCLE_1) | instskip(SKIP_3) | instid1(VALU_DEP_1)
	s_or_b32 exec_lo, exec_lo, s14
	v_and_b32_e32 v32, 0xff, v32
	s_mov_b32 s13, 0
	s_mov_b32 s14, exec_lo
	v_cmpx_lt_i16_e32 0x7f, v32
	s_xor_b32 s14, exec_lo, s14
	s_cbranch_execz .LBB6_5092
; %bb.4473:                             ;   in Loop: Header=BB6_4231 Depth=2
	s_mov_b32 s13, -1
	s_mov_b32 s15, exec_lo
	v_cmpx_eq_u16_e32 0x80, v32
; %bb.4474:                             ;   in Loop: Header=BB6_4231 Depth=2
	s_xor_b32 s13, exec_lo, -1
; %bb.4475:                             ;   in Loop: Header=BB6_4231 Depth=2
	s_or_b32 exec_lo, exec_lo, s15
	s_delay_alu instid0(SALU_CYCLE_1)
	s_and_b32 s13, s13, exec_lo
                                        ; implicit-def: $vgpr32
	s_or_saveexec_b32 s14, s14
	v_bfrev_b32_e32 v1, 1
	s_xor_b32 exec_lo, exec_lo, s14
	s_cbranch_execnz .LBB6_5093
.LBB6_4476:                             ;   in Loop: Header=BB6_4231 Depth=2
	s_or_b32 exec_lo, exec_lo, s14
	s_and_saveexec_b32 s14, s13
.LBB6_4477:                             ;   in Loop: Header=BB6_4231 Depth=2
	v_dual_cndmask_b32 v1, v5, v30, s12 :: v_dual_cndmask_b32 v4, v4, v31, s12
	s_delay_alu instid0(VALU_DEP_1) | instskip(NEXT) | instid1(VALU_DEP_1)
	v_lshl_add_u32 v1, v1, 23, v6
	v_lshl_or_b32 v1, v4, 21, v1
	s_delay_alu instid0(VALU_DEP_1)
	v_cndmask_b32_e64 v1, v1, v7, s11
.LBB6_4478:                             ;   in Loop: Header=BB6_4231 Depth=2
	s_or_b32 exec_lo, exec_lo, s14
	s_delay_alu instid0(VALU_DEP_1) | instskip(NEXT) | instid1(VALU_DEP_1)
	v_dual_max_num_f32 v1, v1, v1 :: v_dual_max_num_f32 v4, v34, v34
	v_min_num_f32_e32 v34, v4, v1
.LBB6_4479:                             ;   in Loop: Header=BB6_4231 Depth=2
	s_delay_alu instid0(VALU_DEP_1) | instskip(SKIP_4) | instid1(VALU_DEP_3)
	v_and_b32_e32 v6, 0x7f800000, v34
	v_dual_mov_b32 v7, v25 :: v_dual_mov_b32 v5, v25
	v_and_b32_e32 v4, 0x7fffff, v34
	v_lshrrev_b32_e32 v1, 24, v34
                                        ; implicit-def: $vgpr30
	s_mov_b32 s11, exec_lo
	v_cmpx_ne_u64_e32 0x7f800000, v[6:7]
	s_xor_b32 s12, exec_lo, s11
	s_cbranch_execz .LBB6_4493
; %bb.4480:                             ;   in Loop: Header=BB6_4231 Depth=2
	v_and_b32_e32 v6, 0x7fffffff, v34
	v_mov_b32_e32 v7, v25
	v_and_b32_e32 v1, 0x80, v1
                                        ; implicit-def: $vgpr30
	s_mov_b32 s11, exec_lo
	s_delay_alu instid0(VALU_DEP_2)
	v_cmpx_gt_u64_e32 0x47600001, v[6:7]
	s_xor_b32 s13, exec_lo, s11
	s_cbranch_execz .LBB6_4490
; %bb.4481:                             ;   in Loop: Header=BB6_4231 Depth=2
	v_mov_b32_e32 v30, 0
	s_mov_b32 s14, exec_lo
	v_cmpx_ne_u32_e32 0, v34
	s_cbranch_execz .LBB6_4489
; %bb.4482:                             ;   in Loop: Header=BB6_4231 Depth=2
	v_bfe_u32 v30, v34, 23, 8
	v_or_b32_e32 v32, 0x800000, v4
	s_delay_alu instid0(VALU_DEP_2) | instskip(SKIP_1) | instid1(VALU_DEP_2)
	v_sub_nc_u32_e32 v6, 0x71, v30
	v_cmp_gt_u32_e32 vcc_lo, 0x72, v30
	v_cndmask_b32_e32 v6, 0, v6, vcc_lo
	v_cmp_eq_u32_e32 vcc_lo, 0, v30
	s_delay_alu instid0(VALU_DEP_2) | instskip(NEXT) | instid1(VALU_DEP_1)
	v_cndmask_b32_e64 v31, v6, 0x70, vcc_lo
	v_dual_cndmask_b32 v4, v32, v4, vcc_lo :: v_dual_add_nc_u32 v6, 21, v31
	v_add_nc_u32_e32 v33, 20, v31
	s_delay_alu instid0(VALU_DEP_2) | instskip(NEXT) | instid1(VALU_DEP_2)
	v_lshlrev_b64_e64 v[6:7], v6, -1
	v_lshlrev_b64_e64 v[32:33], v33, 1
	s_delay_alu instid0(VALU_DEP_2) | instskip(SKIP_1) | instid1(VALU_DEP_4)
	v_bfi_b32 v6, v6, 0, v4
	v_lshrrev_b64 v[4:5], v31, v[4:5]
	v_bfi_b32 v7, v7, 0, 0
	s_delay_alu instid0(VALU_DEP_1) | instskip(NEXT) | instid1(VALU_DEP_3)
	v_cmp_eq_u64_e64 s11, v[6:7], v[32:33]
	v_mov_b64_e32 v[6:7], v[4:5]
	s_and_saveexec_b32 s15, s11
; %bb.4483:                             ;   in Loop: Header=BB6_4231 Depth=2
	v_bfe_u32 v6, v4, 21, 1
	v_mov_b32_e32 v7, v25
	s_delay_alu instid0(VALU_DEP_1) | instskip(NEXT) | instid1(VALU_DEP_1)
	v_add_nc_u64_e32 v[6:7], v[4:5], v[6:7]
	v_add_nc_u64_e32 v[6:7], -1, v[6:7]
; %bb.4484:                             ;   in Loop: Header=BB6_4231 Depth=2
	s_or_b32 exec_lo, exec_lo, s15
	v_add_nc_u32_e32 v5, 0xffffff81, v30
	v_lshrrev_b32_e32 v7, 23, v4
	s_mov_b32 s11, exec_lo
	s_delay_alu instid0(VALU_DEP_2) | instskip(NEXT) | instid1(VALU_DEP_1)
	v_cndmask_b32_e64 v5, v5, 0xffffff82, vcc_lo
	v_add3_u32 v7, v31, v5, v7
	v_and_b32_e32 v5, 0x1fffff, v6
                                        ; implicit-def: $vgpr6
	s_delay_alu instid0(VALU_DEP_1) | instskip(SKIP_1) | instid1(VALU_DEP_2)
	v_dual_add_nc_u32 v30, 14, v7 :: v_dual_add_nc_u32 v4, v5, v4
	v_mov_b32_e32 v5, v25
	v_cmpx_ne_u32_e32 0, v30
	s_xor_b32 s11, exec_lo, s11
; %bb.4485:                             ;   in Loop: Header=BB6_4231 Depth=2
	s_delay_alu instid0(VALU_DEP_2) | instskip(SKIP_2) | instid1(VALU_DEP_2)
	v_cmp_lt_u64_e32 vcc_lo, 0xffffff, v[4:5]
	v_add_nc_u32_e32 v6, 15, v7
	v_cndmask_b32_e64 v7, 0, 1, vcc_lo
	v_cndmask_b32_e32 v6, v30, v6, vcc_lo
	s_delay_alu instid0(VALU_DEP_2)
	v_lshrrev_b64 v[4:5], v7, v[4:5]
; %bb.4486:                             ;   in Loop: Header=BB6_4231 Depth=2
	s_and_not1_saveexec_b32 s11, s11
; %bb.4487:                             ;   in Loop: Header=BB6_4231 Depth=2
	s_delay_alu instid0(VALU_DEP_1)
	v_bfe_u32 v6, v4, 23, 1
; %bb.4488:                             ;   in Loop: Header=BB6_4231 Depth=2
	s_or_b32 exec_lo, exec_lo, s11
	s_delay_alu instid0(VALU_DEP_2) | instskip(NEXT) | instid1(VALU_DEP_2)
	v_lshrrev_b64 v[4:5], 21, v[4:5]
	v_cmp_gt_i32_e32 vcc_lo, 32, v6
	v_min_i32_e32 v7, 31, v6
	v_cmp_eq_u32_e64 s11, 0, v6
	s_delay_alu instid0(VALU_DEP_2) | instskip(SKIP_1) | instid1(VALU_DEP_2)
	v_dual_cndmask_b32 v5, 0, v5, vcc_lo :: v_dual_lshlrev_b32 v7, 2, v7
	v_cndmask_b32_e32 v4, 3, v4, vcc_lo
	v_and_b32_e32 v7, 0xfc, v7
	s_delay_alu instid0(VALU_DEP_2) | instskip(NEXT) | instid1(VALU_DEP_2)
	v_cmp_eq_u64_e32 vcc_lo, 0, v[4:5]
	v_and_or_b32 v4, v4, 3, v7
	s_and_b32 s11, s11, vcc_lo
	s_delay_alu instid0(VALU_DEP_1) | instid1(SALU_CYCLE_1)
	v_cndmask_b32_e64 v4, v4, 0, s11
	s_delay_alu instid0(VALU_DEP_1)
	v_or_b32_e32 v30, v4, v1
.LBB6_4489:                             ;   in Loop: Header=BB6_4231 Depth=2
	s_or_b32 exec_lo, exec_lo, s14
                                        ; implicit-def: $vgpr1
.LBB6_4490:                             ;   in Loop: Header=BB6_4231 Depth=2
	s_and_not1_saveexec_b32 s11, s13
; %bb.4491:                             ;   in Loop: Header=BB6_4231 Depth=2
	v_or_b32_e32 v30, 0x7b, v1
; %bb.4492:                             ;   in Loop: Header=BB6_4231 Depth=2
	s_or_b32 exec_lo, exec_lo, s11
                                        ; implicit-def: $vgpr34
                                        ; implicit-def: $vgpr4_vgpr5
                                        ; implicit-def: $vgpr1
.LBB6_4493:                             ;   in Loop: Header=BB6_4231 Depth=2
	s_and_not1_saveexec_b32 s11, s12
	s_cbranch_execz .LBB6_4499
; %bb.4494:                             ;   in Loop: Header=BB6_4231 Depth=2
	s_mov_b32 s12, exec_lo
                                        ; implicit-def: $vgpr30
	v_cmpx_ne_u64_e32 0, v[4:5]
	s_xor_b32 s12, exec_lo, s12
; %bb.4495:                             ;   in Loop: Header=BB6_4231 Depth=2
	v_or_b32_e32 v30, 0x7f, v1
                                        ; implicit-def: $vgpr34
; %bb.4496:                             ;   in Loop: Header=BB6_4231 Depth=2
	s_and_not1_saveexec_b32 s12, s12
; %bb.4497:                             ;   in Loop: Header=BB6_4231 Depth=2
	v_cmp_lt_i32_e32 vcc_lo, -1, v34
	v_cndmask_b32_e32 v30, 0xfc, v93, vcc_lo
; %bb.4498:                             ;   in Loop: Header=BB6_4231 Depth=2
	s_or_b32 exec_lo, exec_lo, s12
.LBB6_4499:                             ;   in Loop: Header=BB6_4231 Depth=2
	s_delay_alu instid0(SALU_CYCLE_1)
	s_or_b32 exec_lo, exec_lo, s11
	v_lshrrev_b16 v4, 8, v24
	v_cmp_lt_i16_e32 vcc_lo, -1, v24
	v_lshrrev_b16 v6, 8, v0
	s_mov_b32 s14, -1
	v_mov_b32_e32 v5, v25
	v_and_b32_e32 v7, 0xffff, v4
	s_delay_alu instid0(VALU_DEP_3) | instskip(NEXT) | instid1(VALU_DEP_2)
	v_cmp_ne_u16_e64 s13, 0, v6
	v_and_b32_e32 v31, 3, v7
	v_and_b32_e32 v37, 0x7c, v7
	v_bfe_u32 v24, v7, 2, 5
                                        ; implicit-def: $vgpr7
	s_delay_alu instid0(VALU_DEP_3) | instskip(NEXT) | instid1(VALU_DEP_3)
	v_clz_i32_u32_e32 v1, v31
	v_cmp_eq_u32_e64 s11, 0x7c, v37
	s_delay_alu instid0(VALU_DEP_3) | instskip(NEXT) | instid1(VALU_DEP_3)
	v_cmp_eq_u32_e64 s12, 0, v24
	v_min_u32_e32 v33, 32, v1
	v_cndmask_b32_e32 v32, 0xff800000, v51, vcc_lo
	v_cmp_eq_u32_e32 vcc_lo, 0, v31
	v_and_b32_e32 v1, 0xffff, v6
	s_delay_alu instid0(VALU_DEP_4) | instskip(NEXT) | instid1(VALU_DEP_4)
	v_subrev_nc_u32_e32 v34, 29, v33
	v_dual_cndmask_b32 v32, 0x7f800001, v32 :: v_dual_sub_nc_u32 v33, 30, v33
	s_and_b32 vcc_lo, exec_lo, s45
	s_delay_alu instid0(VALU_DEP_2) | instskip(NEXT) | instid1(VALU_DEP_1)
	v_lshlrev_b64_e32 v[34:35], v34, v[4:5]
	v_dual_lshlrev_b32 v36, 24, v4 :: v_dual_bitop2_b32 v34, 3, v34 bitop3:0x40
	s_delay_alu instid0(VALU_DEP_1)
	v_and_or_b32 v5, 0x80000000, v36, s28
	s_cbranch_vccz .LBB6_4517
; %bb.4500:                             ;   in Loop: Header=BB6_4231 Depth=2
	v_mov_b32_e32 v7, 0
	s_and_saveexec_b32 s14, s13
	s_cbranch_execz .LBB6_4510
; %bb.4501:                             ;   in Loop: Header=BB6_4231 Depth=2
	v_bfrev_b32_e32 v7, 1
	s_mov_b32 s15, exec_lo
	v_cmpx_ne_u16_e32 0x80, v6
	s_cbranch_execz .LBB6_4509
; %bb.4502:                             ;   in Loop: Header=BB6_4231 Depth=2
	v_and_b32_e32 v7, 0x7c, v1
	v_and_b32_e32 v35, 3, v1
	s_delay_alu instid0(VALU_DEP_2) | instskip(SKIP_1) | instid1(SALU_CYCLE_1)
	v_cmp_ne_u32_e32 vcc_lo, 0x7c, v7
                                        ; implicit-def: $vgpr7
	s_and_saveexec_b32 s46, vcc_lo
	s_xor_b32 s46, exec_lo, s46
	s_cbranch_execz .LBB6_4506
; %bb.4503:                             ;   in Loop: Header=BB6_4231 Depth=2
	v_bfe_u32 v7, v1, 2, 5
	s_mov_b32 s47, exec_lo
	s_delay_alu instid0(VALU_DEP_1)
	v_cmpx_eq_u32_e32 0, v7
; %bb.4504:                             ;   in Loop: Header=BB6_4231 Depth=2
	v_clz_i32_u32_e32 v7, v35
	s_delay_alu instid0(VALU_DEP_1) | instskip(SKIP_1) | instid1(VALU_DEP_2)
	v_min_u32_e32 v35, 32, v7
	v_mov_b32_e32 v7, v25
	v_subrev_nc_u32_e32 v36, 29, v35
	s_delay_alu instid0(VALU_DEP_1) | instskip(NEXT) | instid1(VALU_DEP_1)
	v_lshlrev_b64_e32 v[36:37], v36, v[6:7]
	v_dual_sub_nc_u32 v7, 30, v35 :: v_dual_bitop2_b32 v35, 3, v36 bitop3:0x40
; %bb.4505:                             ;   in Loop: Header=BB6_4231 Depth=2
	s_or_b32 exec_lo, exec_lo, s47
	v_lshlrev_b32_e32 v36, 16, v0
	s_delay_alu instid0(VALU_DEP_1) | instskip(NEXT) | instid1(VALU_DEP_1)
	v_and_b32_e32 v36, 0x80000000, v36
	v_lshl_add_u32 v7, v7, 23, v36
	s_delay_alu instid0(VALU_DEP_1) | instskip(NEXT) | instid1(VALU_DEP_1)
	v_lshl_or_b32 v7, v35, 21, v7
                                        ; implicit-def: $vgpr35
	v_add_nc_u32_e32 v7, 0x38000000, v7
.LBB6_4506:                             ;   in Loop: Header=BB6_4231 Depth=2
	s_and_not1_saveexec_b32 s46, s46
; %bb.4507:                             ;   in Loop: Header=BB6_4231 Depth=2
	v_cmp_lt_i16_e32 vcc_lo, -1, v0
	v_cndmask_b32_e32 v7, 0xff800000, v51, vcc_lo
	v_cmp_eq_u32_e32 vcc_lo, 0, v35
	s_delay_alu instid0(VALU_DEP_2)
	v_cndmask_b32_e32 v7, 0x7f800001, v7, vcc_lo
; %bb.4508:                             ;   in Loop: Header=BB6_4231 Depth=2
	s_or_b32 exec_lo, exec_lo, s46
.LBB6_4509:                             ;   in Loop: Header=BB6_4231 Depth=2
	s_delay_alu instid0(SALU_CYCLE_1)
	s_or_b32 exec_lo, exec_lo, s15
.LBB6_4510:                             ;   in Loop: Header=BB6_4231 Depth=2
	s_delay_alu instid0(SALU_CYCLE_1)
	s_or_b32 exec_lo, exec_lo, s14
	s_mov_b32 s14, 0
	s_mov_b32 s15, exec_lo
	v_cmpx_lt_i16_e32 0x7f, v4
	s_xor_b32 s15, exec_lo, s15
	s_cbranch_execz .LBB6_5094
; %bb.4511:                             ;   in Loop: Header=BB6_4231 Depth=2
	s_mov_b32 s14, -1
	s_mov_b32 s46, exec_lo
	v_cmpx_eq_u16_e32 0x80, v4
; %bb.4512:                             ;   in Loop: Header=BB6_4231 Depth=2
	s_xor_b32 s14, exec_lo, -1
; %bb.4513:                             ;   in Loop: Header=BB6_4231 Depth=2
	s_or_b32 exec_lo, exec_lo, s46
	s_delay_alu instid0(SALU_CYCLE_1)
	s_and_b32 s14, s14, exec_lo
	s_or_saveexec_b32 s15, s15
	v_bfrev_b32_e32 v35, 1
	s_xor_b32 exec_lo, exec_lo, s15
	s_cbranch_execnz .LBB6_5095
.LBB6_4514:                             ;   in Loop: Header=BB6_4231 Depth=2
	s_or_b32 exec_lo, exec_lo, s15
	s_and_saveexec_b32 s15, s14
.LBB6_4515:                             ;   in Loop: Header=BB6_4231 Depth=2
	v_dual_cndmask_b32 v35, v24, v33, s12 :: v_dual_cndmask_b32 v36, v31, v34, s12
	s_delay_alu instid0(VALU_DEP_1) | instskip(NEXT) | instid1(VALU_DEP_1)
	v_lshl_add_u32 v35, v35, 23, v5
	v_lshl_or_b32 v35, v36, 21, v35
	s_delay_alu instid0(VALU_DEP_1)
	v_cndmask_b32_e64 v35, v35, v32, s11
.LBB6_4516:                             ;   in Loop: Header=BB6_4231 Depth=2
	s_or_b32 exec_lo, exec_lo, s15
	s_delay_alu instid0(VALU_DEP_1) | instskip(SKIP_2) | instid1(VALU_DEP_1)
	v_max_num_f32_e32 v35, v35, v35
	v_max_num_f32_e32 v7, v7, v7
	s_mov_b32 s14, 0
	v_max_num_f32_e32 v7, v7, v35
.LBB6_4517:                             ;   in Loop: Header=BB6_4231 Depth=2
	s_and_b32 vcc_lo, exec_lo, s14
	s_cbranch_vccz .LBB6_4535
; %bb.4518:                             ;   in Loop: Header=BB6_4231 Depth=2
	v_mov_b32_e32 v7, 0
	s_and_saveexec_b32 s14, s13
	s_cbranch_execz .LBB6_4528
; %bb.4519:                             ;   in Loop: Header=BB6_4231 Depth=2
	v_bfrev_b32_e32 v7, 1
	s_mov_b32 s13, exec_lo
	v_cmpx_ne_u16_e32 0x80, v6
	s_cbranch_execz .LBB6_4527
; %bb.4520:                             ;   in Loop: Header=BB6_4231 Depth=2
	v_and_b32_e32 v7, 0x7c, v1
	v_and_b32_e32 v35, 3, v1
	s_delay_alu instid0(VALU_DEP_2) | instskip(SKIP_1) | instid1(SALU_CYCLE_1)
	v_cmp_ne_u32_e32 vcc_lo, 0x7c, v7
                                        ; implicit-def: $vgpr7
	s_and_saveexec_b32 s15, vcc_lo
	s_xor_b32 s15, exec_lo, s15
	s_cbranch_execz .LBB6_4524
; %bb.4521:                             ;   in Loop: Header=BB6_4231 Depth=2
	v_bfe_u32 v1, v1, 2, 5
	s_mov_b32 s46, exec_lo
	s_delay_alu instid0(VALU_DEP_1)
	v_cmpx_eq_u32_e32 0, v1
	s_cbranch_execz .LBB6_4523
; %bb.4522:                             ;   in Loop: Header=BB6_4231 Depth=2
	v_clz_i32_u32_e32 v1, v35
	s_delay_alu instid0(VALU_DEP_1) | instskip(SKIP_1) | instid1(VALU_DEP_2)
	v_min_u32_e32 v1, 32, v1
	v_mov_b32_e32 v7, v25
	v_subrev_nc_u32_e32 v35, 29, v1
	v_sub_nc_u32_e32 v1, 30, v1
	s_delay_alu instid0(VALU_DEP_2) | instskip(NEXT) | instid1(VALU_DEP_1)
	v_lshlrev_b64_e32 v[6:7], v35, v[6:7]
	v_and_b32_e32 v35, 3, v6
.LBB6_4523:                             ;   in Loop: Header=BB6_4231 Depth=2
	s_or_b32 exec_lo, exec_lo, s46
	v_lshlrev_b32_e32 v0, 16, v0
	s_delay_alu instid0(VALU_DEP_1) | instskip(NEXT) | instid1(VALU_DEP_1)
	v_and_b32_e32 v0, 0x80000000, v0
	v_lshl_add_u32 v0, v1, 23, v0
	s_delay_alu instid0(VALU_DEP_1) | instskip(NEXT) | instid1(VALU_DEP_1)
	v_lshl_or_b32 v0, v35, 21, v0
                                        ; implicit-def: $vgpr35
	v_add_nc_u32_e32 v7, 0x38000000, v0
                                        ; implicit-def: $vgpr0_vgpr1
.LBB6_4524:                             ;   in Loop: Header=BB6_4231 Depth=2
	s_and_not1_saveexec_b32 s15, s15
; %bb.4525:                             ;   in Loop: Header=BB6_4231 Depth=2
	v_cmp_lt_i16_e32 vcc_lo, -1, v0
	v_cndmask_b32_e32 v0, 0xff800000, v51, vcc_lo
	v_cmp_eq_u32_e32 vcc_lo, 0, v35
	s_delay_alu instid0(VALU_DEP_2)
	v_cndmask_b32_e32 v7, 0x7f800001, v0, vcc_lo
; %bb.4526:                             ;   in Loop: Header=BB6_4231 Depth=2
	s_or_b32 exec_lo, exec_lo, s15
.LBB6_4527:                             ;   in Loop: Header=BB6_4231 Depth=2
	s_delay_alu instid0(SALU_CYCLE_1)
	s_or_b32 exec_lo, exec_lo, s13
.LBB6_4528:                             ;   in Loop: Header=BB6_4231 Depth=2
	s_delay_alu instid0(SALU_CYCLE_1)
	s_or_b32 exec_lo, exec_lo, s14
	s_mov_b32 s13, 0
	s_mov_b32 s14, exec_lo
	v_cmpx_lt_i16_e32 0x7f, v4
	s_xor_b32 s14, exec_lo, s14
	s_cbranch_execz .LBB6_5096
; %bb.4529:                             ;   in Loop: Header=BB6_4231 Depth=2
	s_mov_b32 s13, -1
	s_mov_b32 s15, exec_lo
	v_cmpx_eq_u16_e32 0x80, v4
; %bb.4530:                             ;   in Loop: Header=BB6_4231 Depth=2
	s_xor_b32 s13, exec_lo, -1
; %bb.4531:                             ;   in Loop: Header=BB6_4231 Depth=2
	s_or_b32 exec_lo, exec_lo, s15
	s_delay_alu instid0(SALU_CYCLE_1)
	s_and_b32 s13, s13, exec_lo
                                        ; implicit-def: $vgpr4
	s_or_saveexec_b32 s14, s14
	v_bfrev_b32_e32 v0, 1
	s_xor_b32 exec_lo, exec_lo, s14
	s_cbranch_execnz .LBB6_5097
.LBB6_4532:                             ;   in Loop: Header=BB6_4231 Depth=2
	s_or_b32 exec_lo, exec_lo, s14
	s_and_saveexec_b32 s14, s13
.LBB6_4533:                             ;   in Loop: Header=BB6_4231 Depth=2
	v_dual_cndmask_b32 v0, v24, v33, s12 :: v_dual_cndmask_b32 v1, v31, v34, s12
	s_delay_alu instid0(VALU_DEP_1) | instskip(NEXT) | instid1(VALU_DEP_1)
	v_lshl_add_u32 v0, v0, 23, v5
	v_lshl_or_b32 v0, v1, 21, v0
	s_delay_alu instid0(VALU_DEP_1)
	v_cndmask_b32_e64 v0, v0, v32, s11
.LBB6_4534:                             ;   in Loop: Header=BB6_4231 Depth=2
	s_or_b32 exec_lo, exec_lo, s14
	s_delay_alu instid0(VALU_DEP_1) | instskip(NEXT) | instid1(VALU_DEP_1)
	v_dual_max_num_f32 v0, v0, v0 :: v_dual_max_num_f32 v1, v7, v7
	v_min_num_f32_e32 v7, v1, v0
.LBB6_4535:                             ;   in Loop: Header=BB6_4231 Depth=2
	s_delay_alu instid0(VALU_DEP_1) | instskip(SKIP_2) | instid1(VALU_DEP_2)
	v_and_b32_e32 v0, 0x7f800000, v7
	v_mov_b32_e32 v1, v25
	v_and_b32_e32 v24, 0x7fffff, v7
                                        ; implicit-def: $vgpr31
	v_cmp_ne_u64_e32 vcc_lo, 0x7f800000, v[0:1]
	v_lshrrev_b32_e32 v0, 24, v7
	s_and_saveexec_b32 s11, vcc_lo
	s_delay_alu instid0(SALU_CYCLE_1)
	s_xor_b32 s12, exec_lo, s11
	s_cbranch_execz .LBB6_4549
; %bb.4536:                             ;   in Loop: Header=BB6_4231 Depth=2
	v_and_b32_e32 v4, 0x7fffffff, v7
	v_mov_b32_e32 v5, v25
	v_and_b32_e32 v6, 0x80, v0
                                        ; implicit-def: $vgpr31
	s_mov_b32 s11, exec_lo
	s_delay_alu instid0(VALU_DEP_2)
	v_cmpx_gt_u64_e32 0x47600001, v[4:5]
	s_xor_b32 s13, exec_lo, s11
	s_cbranch_execz .LBB6_4546
; %bb.4537:                             ;   in Loop: Header=BB6_4231 Depth=2
	v_mov_b32_e32 v31, 0
	s_mov_b32 s14, exec_lo
	v_cmpx_ne_u32_e32 0, v7
	s_cbranch_execz .LBB6_4545
; %bb.4538:                             ;   in Loop: Header=BB6_4231 Depth=2
	v_bfe_u32 v7, v7, 23, 8
	v_or_b32_e32 v4, 0x800000, v24
	s_delay_alu instid0(VALU_DEP_2) | instskip(SKIP_1) | instid1(VALU_DEP_2)
	v_sub_nc_u32_e32 v0, 0x71, v7
	v_cmp_gt_u32_e32 vcc_lo, 0x72, v7
	v_cndmask_b32_e32 v0, 0, v0, vcc_lo
	v_cmp_eq_u32_e32 vcc_lo, 0, v7
	s_delay_alu instid0(VALU_DEP_2) | instskip(NEXT) | instid1(VALU_DEP_1)
	v_cndmask_b32_e64 v31, v0, 0x70, vcc_lo
	v_dual_cndmask_b32 v24, v4, v24, vcc_lo :: v_dual_add_nc_u32 v0, 21, v31
	v_add_nc_u32_e32 v5, 20, v31
	s_delay_alu instid0(VALU_DEP_2) | instskip(NEXT) | instid1(VALU_DEP_2)
	v_lshlrev_b64_e64 v[0:1], v0, -1
	v_lshlrev_b64_e64 v[4:5], v5, 1
	s_delay_alu instid0(VALU_DEP_2) | instskip(NEXT) | instid1(VALU_DEP_3)
	v_bfi_b32 v33, v1, 0, 0
	v_bfi_b32 v32, v0, 0, v24
	v_lshrrev_b64 v[0:1], v31, v[24:25]
	s_delay_alu instid0(VALU_DEP_2) | instskip(NEXT) | instid1(VALU_DEP_2)
	v_cmp_eq_u64_e64 s11, v[32:33], v[4:5]
	v_mov_b64_e32 v[4:5], v[0:1]
	s_and_saveexec_b32 s15, s11
; %bb.4539:                             ;   in Loop: Header=BB6_4231 Depth=2
	v_bfe_u32 v24, v0, 21, 1
	s_delay_alu instid0(VALU_DEP_1) | instskip(NEXT) | instid1(VALU_DEP_1)
	v_add_nc_u64_e32 v[4:5], v[0:1], v[24:25]
	v_add_nc_u64_e32 v[4:5], -1, v[4:5]
; %bb.4540:                             ;   in Loop: Header=BB6_4231 Depth=2
	s_or_b32 exec_lo, exec_lo, s15
	v_add_nc_u32_e32 v1, 0xffffff81, v7
	v_lshrrev_b32_e32 v5, 23, v0
	s_mov_b32 s11, exec_lo
	s_delay_alu instid0(VALU_DEP_2) | instskip(NEXT) | instid1(VALU_DEP_1)
	v_cndmask_b32_e64 v1, v1, 0xffffff82, vcc_lo
	v_add3_u32 v5, v31, v1, v5
	v_and_b32_e32 v1, 0x1fffff, v4
                                        ; implicit-def: $vgpr4
	s_delay_alu instid0(VALU_DEP_1) | instskip(NEXT) | instid1(VALU_DEP_1)
	v_dual_add_nc_u32 v7, 14, v5 :: v_dual_add_nc_u32 v24, v1, v0
                                        ; implicit-def: $vgpr0_vgpr1
	v_cmpx_ne_u32_e32 0, v7
	s_xor_b32 s11, exec_lo, s11
; %bb.4541:                             ;   in Loop: Header=BB6_4231 Depth=2
	s_delay_alu instid0(VALU_DEP_2) | instskip(SKIP_1) | instid1(VALU_DEP_1)
	v_cmp_lt_u64_e32 vcc_lo, 0xffffff, v[24:25]
	v_add_nc_u32_e32 v0, 15, v5
	v_cndmask_b32_e32 v4, v7, v0, vcc_lo
	v_cndmask_b32_e64 v0, 0, 1, vcc_lo
	s_delay_alu instid0(VALU_DEP_1)
	v_lshrrev_b64 v[0:1], v0, v[24:25]
; %bb.4542:                             ;   in Loop: Header=BB6_4231 Depth=2
	s_and_not1_saveexec_b32 s11, s11
; %bb.4543:                             ;   in Loop: Header=BB6_4231 Depth=2
	v_mov_b64_e32 v[0:1], v[24:25]
	v_bfe_u32 v4, v24, 23, 1
; %bb.4544:                             ;   in Loop: Header=BB6_4231 Depth=2
	s_or_b32 exec_lo, exec_lo, s11
	s_delay_alu instid0(VALU_DEP_2) | instskip(NEXT) | instid1(VALU_DEP_2)
	v_lshrrev_b64 v[0:1], 21, v[0:1]
	v_cmp_gt_i32_e32 vcc_lo, 32, v4
	v_min_i32_e32 v5, 31, v4
	v_cmp_eq_u32_e64 s11, 0, v4
	s_delay_alu instid0(VALU_DEP_4) | instskip(NEXT) | instid1(VALU_DEP_3)
	v_cndmask_b32_e32 v1, 0, v1, vcc_lo
	v_dual_cndmask_b32 v0, 3, v0 :: v_dual_lshlrev_b32 v5, 2, v5
	s_delay_alu instid0(VALU_DEP_1) | instskip(NEXT) | instid1(VALU_DEP_2)
	v_and_b32_e32 v5, 0xfc, v5
	v_cmp_eq_u64_e32 vcc_lo, 0, v[0:1]
	s_delay_alu instid0(VALU_DEP_2)
	v_and_or_b32 v0, v0, 3, v5
	s_and_b32 s11, s11, vcc_lo
	s_delay_alu instid0(VALU_DEP_1) | instid1(SALU_CYCLE_1)
	v_cndmask_b32_e64 v0, v0, 0, s11
	s_delay_alu instid0(VALU_DEP_1)
	v_or_b32_e32 v31, v0, v6
.LBB6_4545:                             ;   in Loop: Header=BB6_4231 Depth=2
	s_or_b32 exec_lo, exec_lo, s14
                                        ; implicit-def: $vgpr6
.LBB6_4546:                             ;   in Loop: Header=BB6_4231 Depth=2
	s_and_not1_saveexec_b32 s11, s13
; %bb.4547:                             ;   in Loop: Header=BB6_4231 Depth=2
	v_or_b32_e32 v31, 0x7b, v6
; %bb.4548:                             ;   in Loop: Header=BB6_4231 Depth=2
	s_or_b32 exec_lo, exec_lo, s11
                                        ; implicit-def: $vgpr7
                                        ; implicit-def: $vgpr0
.LBB6_4549:                             ;   in Loop: Header=BB6_4231 Depth=2
	s_and_not1_saveexec_b32 s11, s12
	s_cbranch_execz .LBB6_4555
; %bb.4550:                             ;   in Loop: Header=BB6_4231 Depth=2
	s_mov_b32 s12, exec_lo
                                        ; implicit-def: $vgpr31
	v_cmpx_ne_u64_e32 0, v[24:25]
	s_xor_b32 s12, exec_lo, s12
; %bb.4551:                             ;   in Loop: Header=BB6_4231 Depth=2
	v_or_b32_e32 v31, 0x7f, v0
                                        ; implicit-def: $vgpr7
; %bb.4552:                             ;   in Loop: Header=BB6_4231 Depth=2
	s_and_not1_saveexec_b32 s12, s12
; %bb.4553:                             ;   in Loop: Header=BB6_4231 Depth=2
	v_cmp_lt_i32_e32 vcc_lo, -1, v7
	v_cndmask_b32_e32 v31, 0xfc, v93, vcc_lo
; %bb.4554:                             ;   in Loop: Header=BB6_4231 Depth=2
	s_or_b32 exec_lo, exec_lo, s12
.LBB6_4555:                             ;   in Loop: Header=BB6_4231 Depth=2
	s_delay_alu instid0(SALU_CYCLE_1) | instskip(SKIP_4) | instid1(VALU_DEP_3)
	s_or_b32 exec_lo, exec_lo, s11
	v_bfe_u32 v1, v15, 16, 2
	v_dual_lshrrev_b32 v6, 16, v15 :: v_dual_lshlrev_b32 v24, 8, v15
	v_and_b32_e32 v5, 0x7c0000, v15
	s_mov_b32 s14, -1
	v_clz_i32_u32_e32 v4, v1
	s_delay_alu instid0(VALU_DEP_3) | instskip(NEXT) | instid1(VALU_DEP_3)
	v_bfe_i32 v32, v6, 0, 8
	v_cmp_eq_u32_e64 s11, 0x7c0000, v5
	v_and_or_b32 v5, 0x80000000, v24, s28
	s_delay_alu instid0(VALU_DEP_4) | instskip(NEXT) | instid1(VALU_DEP_4)
	v_min_u32_e32 v7, 32, v4
	v_cmp_lt_i16_e32 vcc_lo, -1, v32
	v_bfe_u32 v4, v15, 18, 5
	s_delay_alu instid0(VALU_DEP_3) | instskip(NEXT) | instid1(VALU_DEP_2)
	v_subrev_nc_u32_e32 v34, 29, v7
	v_cmp_eq_u32_e64 s12, 0, v4
	s_delay_alu instid0(VALU_DEP_2) | instskip(SKIP_3) | instid1(VALU_DEP_4)
	v_lshlrev_b64_e32 v[34:35], v34, v[6:7]
	v_lshrrev_b32_e32 v0, 16, v11
	v_cndmask_b32_e32 v6, 0xff800000, v51, vcc_lo
	v_cmp_eq_u32_e32 vcc_lo, 0, v1
	v_dual_sub_nc_u32 v7, 30, v7 :: v_dual_bitop2_b32 v24, 3, v34 bitop3:0x40
	s_delay_alu instid0(VALU_DEP_4) | instskip(NEXT) | instid1(VALU_DEP_4)
	v_and_b32_e32 v33, 0xff, v0
	v_cndmask_b32_e32 v6, 0x7f800001, v6, vcc_lo
	s_and_b32 vcc_lo, exec_lo, s45
                                        ; implicit-def: $vgpr34
	s_delay_alu instid0(VALU_DEP_2)
	v_cmp_ne_u16_e64 s13, 0, v33
	s_cbranch_vccz .LBB6_4573
; %bb.4556:                             ;   in Loop: Header=BB6_4231 Depth=2
	v_mov_b32_e32 v34, 0
	s_and_saveexec_b32 s14, s13
	s_cbranch_execz .LBB6_4566
; %bb.4557:                             ;   in Loop: Header=BB6_4231 Depth=2
	v_bfrev_b32_e32 v34, 1
	s_mov_b32 s15, exec_lo
	v_cmpx_ne_u16_e32 0x80, v33
	s_cbranch_execz .LBB6_4565
; %bb.4558:                             ;   in Loop: Header=BB6_4231 Depth=2
	v_and_b32_e32 v34, 0x7c0000, v11
	v_bfe_u32 v35, v11, 16, 2
	s_delay_alu instid0(VALU_DEP_2) | instskip(SKIP_1) | instid1(SALU_CYCLE_1)
	v_cmp_ne_u32_e32 vcc_lo, 0x7c0000, v34
                                        ; implicit-def: $vgpr34
	s_and_saveexec_b32 s46, vcc_lo
	s_xor_b32 s46, exec_lo, s46
	s_cbranch_execz .LBB6_4562
; %bb.4559:                             ;   in Loop: Header=BB6_4231 Depth=2
	v_bfe_u32 v34, v11, 18, 5
	s_mov_b32 s47, exec_lo
	s_delay_alu instid0(VALU_DEP_1)
	v_cmpx_eq_u32_e32 0, v34
; %bb.4560:                             ;   in Loop: Header=BB6_4231 Depth=2
	v_clz_i32_u32_e32 v34, v35
	s_delay_alu instid0(VALU_DEP_1) | instskip(NEXT) | instid1(VALU_DEP_1)
	v_min_u32_e32 v34, 32, v34
	v_subrev_nc_u32_e32 v35, 29, v34
	s_delay_alu instid0(VALU_DEP_1) | instskip(NEXT) | instid1(VALU_DEP_1)
	v_lshlrev_b64_e32 v[36:37], v35, v[0:1]
	v_dual_sub_nc_u32 v34, 30, v34 :: v_dual_bitop2_b32 v35, 3, v36 bitop3:0x40
; %bb.4561:                             ;   in Loop: Header=BB6_4231 Depth=2
	s_or_b32 exec_lo, exec_lo, s47
	v_lshlrev_b32_e32 v36, 24, v0
	s_delay_alu instid0(VALU_DEP_1) | instskip(NEXT) | instid1(VALU_DEP_1)
	v_and_b32_e32 v36, 0x80000000, v36
	v_lshl_add_u32 v34, v34, 23, v36
	s_delay_alu instid0(VALU_DEP_1) | instskip(NEXT) | instid1(VALU_DEP_1)
	v_lshl_or_b32 v34, v35, 21, v34
                                        ; implicit-def: $vgpr35
	v_add_nc_u32_e32 v34, 0x38000000, v34
.LBB6_4562:                             ;   in Loop: Header=BB6_4231 Depth=2
	s_and_not1_saveexec_b32 s46, s46
; %bb.4563:                             ;   in Loop: Header=BB6_4231 Depth=2
	v_bfe_i32 v34, v0, 0, 8
	s_delay_alu instid0(VALU_DEP_1) | instskip(SKIP_2) | instid1(VALU_DEP_2)
	v_cmp_lt_i16_e32 vcc_lo, -1, v34
	v_cndmask_b32_e32 v34, 0xff800000, v51, vcc_lo
	v_cmp_eq_u32_e32 vcc_lo, 0, v35
	v_cndmask_b32_e32 v34, 0x7f800001, v34, vcc_lo
; %bb.4564:                             ;   in Loop: Header=BB6_4231 Depth=2
	s_or_b32 exec_lo, exec_lo, s46
.LBB6_4565:                             ;   in Loop: Header=BB6_4231 Depth=2
	s_delay_alu instid0(SALU_CYCLE_1)
	s_or_b32 exec_lo, exec_lo, s15
.LBB6_4566:                             ;   in Loop: Header=BB6_4231 Depth=2
	s_delay_alu instid0(SALU_CYCLE_1) | instskip(SKIP_3) | instid1(VALU_DEP_1)
	s_or_b32 exec_lo, exec_lo, s14
	v_and_b32_e32 v36, 0xff, v32
	s_mov_b32 s14, 0
	s_mov_b32 s15, exec_lo
	v_cmpx_lt_i16_e32 0x7f, v36
	s_xor_b32 s15, exec_lo, s15
	s_cbranch_execz .LBB6_5098
; %bb.4567:                             ;   in Loop: Header=BB6_4231 Depth=2
	s_mov_b32 s14, -1
	s_mov_b32 s46, exec_lo
	v_cmpx_eq_u16_e32 0x80, v36
; %bb.4568:                             ;   in Loop: Header=BB6_4231 Depth=2
	s_xor_b32 s14, exec_lo, -1
; %bb.4569:                             ;   in Loop: Header=BB6_4231 Depth=2
	s_or_b32 exec_lo, exec_lo, s46
	s_delay_alu instid0(SALU_CYCLE_1)
	s_and_b32 s14, s14, exec_lo
                                        ; implicit-def: $vgpr36
	s_or_saveexec_b32 s15, s15
	v_bfrev_b32_e32 v35, 1
	s_xor_b32 exec_lo, exec_lo, s15
	s_cbranch_execnz .LBB6_5099
.LBB6_4570:                             ;   in Loop: Header=BB6_4231 Depth=2
	s_or_b32 exec_lo, exec_lo, s15
	s_and_saveexec_b32 s15, s14
.LBB6_4571:                             ;   in Loop: Header=BB6_4231 Depth=2
	v_dual_cndmask_b32 v35, v4, v7, s12 :: v_dual_cndmask_b32 v36, v1, v24, s12
	s_delay_alu instid0(VALU_DEP_1) | instskip(NEXT) | instid1(VALU_DEP_1)
	v_lshl_add_u32 v35, v35, 23, v5
	v_lshl_or_b32 v35, v36, 21, v35
	s_delay_alu instid0(VALU_DEP_1)
	v_cndmask_b32_e64 v35, v35, v6, s11
.LBB6_4572:                             ;   in Loop: Header=BB6_4231 Depth=2
	s_or_b32 exec_lo, exec_lo, s15
	s_delay_alu instid0(VALU_DEP_1) | instskip(SKIP_1) | instid1(VALU_DEP_1)
	v_dual_max_num_f32 v35, v35, v35 :: v_dual_max_num_f32 v34, v34, v34
	s_mov_b32 s14, 0
	v_max_num_f32_e32 v34, v34, v35
.LBB6_4573:                             ;   in Loop: Header=BB6_4231 Depth=2
	s_and_b32 vcc_lo, exec_lo, s14
	s_cbranch_vccz .LBB6_4591
; %bb.4574:                             ;   in Loop: Header=BB6_4231 Depth=2
	v_mov_b32_e32 v34, 0
	s_and_saveexec_b32 s14, s13
	s_cbranch_execz .LBB6_4584
; %bb.4575:                             ;   in Loop: Header=BB6_4231 Depth=2
	v_bfrev_b32_e32 v34, 1
	s_mov_b32 s13, exec_lo
	v_cmpx_ne_u16_e32 0x80, v33
	s_cbranch_execz .LBB6_4583
; %bb.4576:                             ;   in Loop: Header=BB6_4231 Depth=2
	v_and_b32_e32 v34, 0x7c0000, v11
	v_bfe_u32 v33, v11, 16, 2
	s_delay_alu instid0(VALU_DEP_2) | instskip(SKIP_1) | instid1(SALU_CYCLE_1)
	v_cmp_ne_u32_e32 vcc_lo, 0x7c0000, v34
                                        ; implicit-def: $vgpr34
	s_and_saveexec_b32 s15, vcc_lo
	s_xor_b32 s15, exec_lo, s15
	s_cbranch_execz .LBB6_4580
; %bb.4577:                             ;   in Loop: Header=BB6_4231 Depth=2
	v_bfe_u32 v34, v11, 18, 5
	s_mov_b32 s46, exec_lo
	s_delay_alu instid0(VALU_DEP_1)
	v_cmpx_eq_u32_e32 0, v34
; %bb.4578:                             ;   in Loop: Header=BB6_4231 Depth=2
	v_clz_i32_u32_e32 v33, v33
	s_delay_alu instid0(VALU_DEP_1) | instskip(NEXT) | instid1(VALU_DEP_1)
	v_min_u32_e32 v33, 32, v33
	v_subrev_nc_u32_e32 v34, 29, v33
	s_delay_alu instid0(VALU_DEP_1) | instskip(NEXT) | instid1(VALU_DEP_1)
	v_lshlrev_b64_e32 v[36:37], v34, v[0:1]
	v_dual_sub_nc_u32 v34, 30, v33 :: v_dual_bitop2_b32 v33, 3, v36 bitop3:0x40
; %bb.4579:                             ;   in Loop: Header=BB6_4231 Depth=2
	s_or_b32 exec_lo, exec_lo, s46
	v_lshlrev_b32_e32 v0, 24, v0
	s_delay_alu instid0(VALU_DEP_1) | instskip(NEXT) | instid1(VALU_DEP_1)
	v_and_b32_e32 v0, 0x80000000, v0
	v_lshl_add_u32 v0, v34, 23, v0
	s_delay_alu instid0(VALU_DEP_1) | instskip(NEXT) | instid1(VALU_DEP_1)
	v_lshl_or_b32 v0, v33, 21, v0
                                        ; implicit-def: $vgpr33
	v_add_nc_u32_e32 v34, 0x38000000, v0
                                        ; implicit-def: $vgpr0
.LBB6_4580:                             ;   in Loop: Header=BB6_4231 Depth=2
	s_and_not1_saveexec_b32 s15, s15
; %bb.4581:                             ;   in Loop: Header=BB6_4231 Depth=2
	v_bfe_i32 v0, v0, 0, 8
	s_delay_alu instid0(VALU_DEP_1) | instskip(SKIP_2) | instid1(VALU_DEP_2)
	v_cmp_lt_i16_e32 vcc_lo, -1, v0
	v_cndmask_b32_e32 v0, 0xff800000, v51, vcc_lo
	v_cmp_eq_u32_e32 vcc_lo, 0, v33
	v_cndmask_b32_e32 v34, 0x7f800001, v0, vcc_lo
; %bb.4582:                             ;   in Loop: Header=BB6_4231 Depth=2
	s_or_b32 exec_lo, exec_lo, s15
.LBB6_4583:                             ;   in Loop: Header=BB6_4231 Depth=2
	s_delay_alu instid0(SALU_CYCLE_1)
	s_or_b32 exec_lo, exec_lo, s13
.LBB6_4584:                             ;   in Loop: Header=BB6_4231 Depth=2
	s_delay_alu instid0(SALU_CYCLE_1) | instskip(SKIP_3) | instid1(VALU_DEP_1)
	s_or_b32 exec_lo, exec_lo, s14
	v_and_b32_e32 v32, 0xff, v32
	s_mov_b32 s13, 0
	s_mov_b32 s14, exec_lo
	v_cmpx_lt_i16_e32 0x7f, v32
	s_xor_b32 s14, exec_lo, s14
	s_cbranch_execz .LBB6_5100
; %bb.4585:                             ;   in Loop: Header=BB6_4231 Depth=2
	s_mov_b32 s13, -1
	s_mov_b32 s15, exec_lo
	v_cmpx_eq_u16_e32 0x80, v32
; %bb.4586:                             ;   in Loop: Header=BB6_4231 Depth=2
	s_xor_b32 s13, exec_lo, -1
; %bb.4587:                             ;   in Loop: Header=BB6_4231 Depth=2
	s_or_b32 exec_lo, exec_lo, s15
	s_delay_alu instid0(SALU_CYCLE_1)
	s_and_b32 s13, s13, exec_lo
                                        ; implicit-def: $vgpr32
	s_or_saveexec_b32 s14, s14
	v_bfrev_b32_e32 v0, 1
	s_xor_b32 exec_lo, exec_lo, s14
	s_cbranch_execnz .LBB6_5101
.LBB6_4588:                             ;   in Loop: Header=BB6_4231 Depth=2
	s_or_b32 exec_lo, exec_lo, s14
	s_and_saveexec_b32 s14, s13
.LBB6_4589:                             ;   in Loop: Header=BB6_4231 Depth=2
	v_dual_cndmask_b32 v0, v4, v7, s12 :: v_dual_cndmask_b32 v1, v1, v24, s12
	s_delay_alu instid0(VALU_DEP_1) | instskip(NEXT) | instid1(VALU_DEP_1)
	v_lshl_add_u32 v0, v0, 23, v5
	v_lshl_or_b32 v0, v1, 21, v0
	s_delay_alu instid0(VALU_DEP_1)
	v_cndmask_b32_e64 v0, v0, v6, s11
.LBB6_4590:                             ;   in Loop: Header=BB6_4231 Depth=2
	s_or_b32 exec_lo, exec_lo, s14
	s_delay_alu instid0(VALU_DEP_1) | instskip(NEXT) | instid1(VALU_DEP_1)
	v_dual_max_num_f32 v0, v0, v0 :: v_dual_max_num_f32 v1, v34, v34
	v_min_num_f32_e32 v34, v1, v0
.LBB6_4591:                             ;   in Loop: Header=BB6_4231 Depth=2
	s_delay_alu instid0(VALU_DEP_1) | instskip(SKIP_2) | instid1(VALU_DEP_2)
	v_and_b32_e32 v0, 0x7f800000, v34
	v_mov_b32_e32 v1, v25
	v_and_b32_e32 v24, 0x7fffff, v34
                                        ; implicit-def: $vgpr32
	v_cmp_ne_u64_e32 vcc_lo, 0x7f800000, v[0:1]
	v_lshrrev_b32_e32 v0, 24, v34
	s_and_saveexec_b32 s11, vcc_lo
	s_delay_alu instid0(SALU_CYCLE_1)
	s_xor_b32 s12, exec_lo, s11
	s_cbranch_execz .LBB6_4605
; %bb.4592:                             ;   in Loop: Header=BB6_4231 Depth=2
	v_and_b32_e32 v4, 0x7fffffff, v34
	v_mov_b32_e32 v5, v25
	v_and_b32_e32 v6, 0x80, v0
                                        ; implicit-def: $vgpr32
	s_mov_b32 s11, exec_lo
	s_delay_alu instid0(VALU_DEP_2)
	v_cmpx_gt_u64_e32 0x47600001, v[4:5]
	s_xor_b32 s13, exec_lo, s11
	s_cbranch_execz .LBB6_4602
; %bb.4593:                             ;   in Loop: Header=BB6_4231 Depth=2
	v_mov_b32_e32 v32, 0
	s_mov_b32 s14, exec_lo
	v_cmpx_ne_u32_e32 0, v34
	s_cbranch_execz .LBB6_4601
; %bb.4594:                             ;   in Loop: Header=BB6_4231 Depth=2
	v_bfe_u32 v7, v34, 23, 8
	v_or_b32_e32 v4, 0x800000, v24
	s_delay_alu instid0(VALU_DEP_2) | instskip(SKIP_1) | instid1(VALU_DEP_2)
	v_sub_nc_u32_e32 v0, 0x71, v7
	v_cmp_gt_u32_e32 vcc_lo, 0x72, v7
	v_cndmask_b32_e32 v0, 0, v0, vcc_lo
	v_cmp_eq_u32_e32 vcc_lo, 0, v7
	s_delay_alu instid0(VALU_DEP_2) | instskip(SKIP_1) | instid1(VALU_DEP_2)
	v_cndmask_b32_e64 v32, v0, 0x70, vcc_lo
	v_cndmask_b32_e32 v24, v4, v24, vcc_lo
	v_dual_add_nc_u32 v0, 21, v32 :: v_dual_add_nc_u32 v5, 20, v32
	s_delay_alu instid0(VALU_DEP_1) | instskip(NEXT) | instid1(VALU_DEP_2)
	v_lshlrev_b64_e64 v[0:1], v0, -1
	v_lshlrev_b64_e64 v[4:5], v5, 1
	s_delay_alu instid0(VALU_DEP_2) | instskip(NEXT) | instid1(VALU_DEP_3)
	v_bfi_b32 v35, v1, 0, 0
	v_bfi_b32 v34, v0, 0, v24
	v_lshrrev_b64 v[0:1], v32, v[24:25]
	s_delay_alu instid0(VALU_DEP_2) | instskip(NEXT) | instid1(VALU_DEP_2)
	v_cmp_eq_u64_e64 s11, v[34:35], v[4:5]
	v_mov_b64_e32 v[4:5], v[0:1]
	s_and_saveexec_b32 s15, s11
; %bb.4595:                             ;   in Loop: Header=BB6_4231 Depth=2
	v_bfe_u32 v24, v0, 21, 1
	s_delay_alu instid0(VALU_DEP_1) | instskip(NEXT) | instid1(VALU_DEP_1)
	v_add_nc_u64_e32 v[4:5], v[0:1], v[24:25]
	v_add_nc_u64_e32 v[4:5], -1, v[4:5]
; %bb.4596:                             ;   in Loop: Header=BB6_4231 Depth=2
	s_or_b32 exec_lo, exec_lo, s15
	v_add_nc_u32_e32 v1, 0xffffff81, v7
	v_lshrrev_b32_e32 v5, 23, v0
	s_mov_b32 s11, exec_lo
	s_delay_alu instid0(VALU_DEP_2) | instskip(NEXT) | instid1(VALU_DEP_1)
	v_cndmask_b32_e64 v1, v1, 0xffffff82, vcc_lo
	v_add3_u32 v5, v32, v1, v5
	v_and_b32_e32 v1, 0x1fffff, v4
                                        ; implicit-def: $vgpr4
	s_delay_alu instid0(VALU_DEP_1) | instskip(NEXT) | instid1(VALU_DEP_1)
	v_dual_add_nc_u32 v7, 14, v5 :: v_dual_add_nc_u32 v24, v1, v0
                                        ; implicit-def: $vgpr0_vgpr1
	v_cmpx_ne_u32_e32 0, v7
	s_xor_b32 s11, exec_lo, s11
; %bb.4597:                             ;   in Loop: Header=BB6_4231 Depth=2
	s_delay_alu instid0(VALU_DEP_2) | instskip(SKIP_1) | instid1(VALU_DEP_1)
	v_cmp_lt_u64_e32 vcc_lo, 0xffffff, v[24:25]
	v_add_nc_u32_e32 v0, 15, v5
	v_cndmask_b32_e32 v4, v7, v0, vcc_lo
	v_cndmask_b32_e64 v0, 0, 1, vcc_lo
	s_delay_alu instid0(VALU_DEP_1)
	v_lshrrev_b64 v[0:1], v0, v[24:25]
; %bb.4598:                             ;   in Loop: Header=BB6_4231 Depth=2
	s_and_not1_saveexec_b32 s11, s11
; %bb.4599:                             ;   in Loop: Header=BB6_4231 Depth=2
	v_mov_b64_e32 v[0:1], v[24:25]
	v_bfe_u32 v4, v24, 23, 1
; %bb.4600:                             ;   in Loop: Header=BB6_4231 Depth=2
	s_or_b32 exec_lo, exec_lo, s11
	s_delay_alu instid0(VALU_DEP_2) | instskip(NEXT) | instid1(VALU_DEP_2)
	v_lshrrev_b64 v[0:1], 21, v[0:1]
	v_cmp_gt_i32_e32 vcc_lo, 32, v4
	v_min_i32_e32 v5, 31, v4
	v_cmp_eq_u32_e64 s11, 0, v4
	s_delay_alu instid0(VALU_DEP_4) | instskip(NEXT) | instid1(VALU_DEP_3)
	v_cndmask_b32_e32 v1, 0, v1, vcc_lo
	v_dual_cndmask_b32 v0, 3, v0 :: v_dual_lshlrev_b32 v5, 2, v5
	s_delay_alu instid0(VALU_DEP_1) | instskip(NEXT) | instid1(VALU_DEP_2)
	v_and_b32_e32 v5, 0xfc, v5
	v_cmp_eq_u64_e32 vcc_lo, 0, v[0:1]
	s_delay_alu instid0(VALU_DEP_2)
	v_and_or_b32 v0, v0, 3, v5
	s_and_b32 s11, s11, vcc_lo
	s_delay_alu instid0(VALU_DEP_1) | instid1(SALU_CYCLE_1)
	v_cndmask_b32_e64 v0, v0, 0, s11
	s_delay_alu instid0(VALU_DEP_1)
	v_or_b32_e32 v32, v0, v6
.LBB6_4601:                             ;   in Loop: Header=BB6_4231 Depth=2
	s_or_b32 exec_lo, exec_lo, s14
                                        ; implicit-def: $vgpr6
.LBB6_4602:                             ;   in Loop: Header=BB6_4231 Depth=2
	s_and_not1_saveexec_b32 s11, s13
; %bb.4603:                             ;   in Loop: Header=BB6_4231 Depth=2
	v_or_b32_e32 v32, 0x7b, v6
; %bb.4604:                             ;   in Loop: Header=BB6_4231 Depth=2
	s_or_b32 exec_lo, exec_lo, s11
                                        ; implicit-def: $vgpr34
                                        ; implicit-def: $vgpr0
.LBB6_4605:                             ;   in Loop: Header=BB6_4231 Depth=2
	s_and_not1_saveexec_b32 s11, s12
	s_cbranch_execz .LBB6_4611
; %bb.4606:                             ;   in Loop: Header=BB6_4231 Depth=2
	s_mov_b32 s12, exec_lo
                                        ; implicit-def: $vgpr32
	v_cmpx_ne_u64_e32 0, v[24:25]
	s_xor_b32 s12, exec_lo, s12
; %bb.4607:                             ;   in Loop: Header=BB6_4231 Depth=2
	v_or_b32_e32 v32, 0x7f, v0
                                        ; implicit-def: $vgpr34
; %bb.4608:                             ;   in Loop: Header=BB6_4231 Depth=2
	s_and_not1_saveexec_b32 s12, s12
; %bb.4609:                             ;   in Loop: Header=BB6_4231 Depth=2
	v_cmp_lt_i32_e32 vcc_lo, -1, v34
	v_cndmask_b32_e32 v32, 0xfc, v93, vcc_lo
; %bb.4610:                             ;   in Loop: Header=BB6_4231 Depth=2
	s_or_b32 exec_lo, exec_lo, s12
.LBB6_4611:                             ;   in Loop: Header=BB6_4231 Depth=2
	s_delay_alu instid0(SALU_CYCLE_1)
	s_or_b32 exec_lo, exec_lo, s11
	v_bfe_u32 v1, v15, 24, 2
	v_lshrrev_b32_e32 v6, 24, v15
	v_cmp_lt_i64_e32 vcc_lo, -1, v[14:15]
	v_cmp_gt_u64_e64 s11, s[18:19], v[14:15]
	v_and_b32_e32 v24, 0x7c000000, v15
	v_clz_i32_u32_e32 v4, v1
	v_and_or_b32 v5, 0x80000000, v15, s28
	v_cmp_lt_u64_e64 s15, s[16:17], v[10:11]
	v_cmp_eq_u32_e64 s12, 0x80, v6
	v_cndmask_b32_e32 v34, 0xff800000, v51, vcc_lo
	v_min_u32_e32 v7, 32, v4
	v_bfe_u32 v4, v15, 26, 5
	v_cmp_eq_u32_e32 vcc_lo, 0, v1
	v_cmp_eq_u32_e64 s13, 0x7c000000, v24
	s_mov_b32 s46, -1
	v_subrev_nc_u32_e32 v33, 29, v7
	v_cmp_eq_u32_e64 s14, 0, v4
	s_delay_alu instid0(VALU_DEP_2) | instskip(SKIP_3) | instid1(VALU_DEP_3)
	v_lshlrev_b64_e32 v[14:15], v33, v[6:7]
	v_lshrrev_b32_e32 v0, 24, v11
	v_dual_cndmask_b32 v6, 0x7f800001, v34 :: v_dual_sub_nc_u32 v7, 30, v7
	s_and_b32 vcc_lo, exec_lo, s45
                                        ; implicit-def: $vgpr15
	v_and_b32_e32 v14, 3, v14
	s_cbranch_vccz .LBB6_4623
; %bb.4612:                             ;   in Loop: Header=BB6_4231 Depth=2
	v_mov_b32_e32 v15, 0
	s_and_saveexec_b32 s46, s15
	s_cbranch_execz .LBB6_4622
; %bb.4613:                             ;   in Loop: Header=BB6_4231 Depth=2
	v_bfrev_b32_e32 v15, 1
	s_mov_b32 s47, exec_lo
	v_cmpx_ne_u32_e32 0x80, v0
	s_cbranch_execz .LBB6_4621
; %bb.4614:                             ;   in Loop: Header=BB6_4231 Depth=2
	v_and_b32_e32 v15, 0x7c000000, v11
	v_bfe_u32 v24, v11, 24, 2
	s_delay_alu instid0(VALU_DEP_2) | instskip(SKIP_1) | instid1(SALU_CYCLE_1)
	v_cmp_ne_u32_e32 vcc_lo, 0x7c000000, v15
                                        ; implicit-def: $vgpr15
	s_and_saveexec_b32 s56, vcc_lo
	s_xor_b32 s56, exec_lo, s56
	s_cbranch_execz .LBB6_4618
; %bb.4615:                             ;   in Loop: Header=BB6_4231 Depth=2
	v_bfe_u32 v15, v11, 26, 5
	s_mov_b32 s57, exec_lo
	s_delay_alu instid0(VALU_DEP_1)
	v_cmpx_eq_u32_e32 0, v15
; %bb.4616:                             ;   in Loop: Header=BB6_4231 Depth=2
	v_clz_i32_u32_e32 v15, v24
	s_delay_alu instid0(VALU_DEP_1) | instskip(NEXT) | instid1(VALU_DEP_1)
	v_min_u32_e32 v15, 32, v15
	v_subrev_nc_u32_e32 v24, 29, v15
	s_delay_alu instid0(VALU_DEP_1) | instskip(NEXT) | instid1(VALU_DEP_1)
	v_lshlrev_b64_e32 v[34:35], v24, v[0:1]
	v_dual_sub_nc_u32 v15, 30, v15 :: v_dual_bitop2_b32 v24, 3, v34 bitop3:0x40
; %bb.4617:                             ;   in Loop: Header=BB6_4231 Depth=2
	s_or_b32 exec_lo, exec_lo, s57
	v_and_b32_e32 v33, 0x80000000, v11
	s_delay_alu instid0(VALU_DEP_1) | instskip(NEXT) | instid1(VALU_DEP_1)
	v_lshl_add_u32 v15, v15, 23, v33
	v_lshl_or_b32 v15, v24, 21, v15
                                        ; implicit-def: $vgpr24
	s_delay_alu instid0(VALU_DEP_1)
	v_add_nc_u32_e32 v15, 0x38000000, v15
.LBB6_4618:                             ;   in Loop: Header=BB6_4231 Depth=2
	s_and_not1_saveexec_b32 s56, s56
; %bb.4619:                             ;   in Loop: Header=BB6_4231 Depth=2
	v_cmp_lt_i64_e32 vcc_lo, -1, v[10:11]
	v_cndmask_b32_e32 v15, 0xff800000, v51, vcc_lo
	v_cmp_eq_u32_e32 vcc_lo, 0, v24
	s_delay_alu instid0(VALU_DEP_2)
	v_cndmask_b32_e32 v15, 0x7f800001, v15, vcc_lo
; %bb.4620:                             ;   in Loop: Header=BB6_4231 Depth=2
	s_or_b32 exec_lo, exec_lo, s56
.LBB6_4621:                             ;   in Loop: Header=BB6_4231 Depth=2
	s_delay_alu instid0(SALU_CYCLE_1)
	s_or_b32 exec_lo, exec_lo, s47
.LBB6_4622:                             ;   in Loop: Header=BB6_4231 Depth=2
	s_delay_alu instid0(SALU_CYCLE_1) | instskip(SKIP_3) | instid1(VALU_DEP_2)
	s_or_b32 exec_lo, exec_lo, s46
	v_dual_cndmask_b32 v24, v4, v7, s14 :: v_dual_cndmask_b32 v33, v1, v14, s14
	s_mov_b32 s46, 0
	v_max_num_f32_e32 v15, v15, v15
	v_lshl_add_u32 v24, v24, 23, v5
	s_delay_alu instid0(VALU_DEP_1) | instskip(NEXT) | instid1(VALU_DEP_1)
	v_lshl_or_b32 v24, v33, 21, v24
	v_cndmask_b32_e64 v24, v24, v6, s13
	s_delay_alu instid0(VALU_DEP_1) | instskip(NEXT) | instid1(VALU_DEP_1)
	v_cndmask_b32_e64 v24, v24, 0x80000000, s12
	v_cndmask_b32_e64 v24, v24, 0, s11
	s_delay_alu instid0(VALU_DEP_1) | instskip(NEXT) | instid1(VALU_DEP_1)
	v_max_num_f32_e32 v24, v24, v24
	v_max_num_f32_e32 v15, v15, v24
.LBB6_4623:                             ;   in Loop: Header=BB6_4231 Depth=2
	s_and_b32 vcc_lo, exec_lo, s46
	s_cbranch_vccz .LBB6_4635
; %bb.4624:                             ;   in Loop: Header=BB6_4231 Depth=2
	v_mov_b32_e32 v15, 0
	s_and_saveexec_b32 s46, s15
	s_cbranch_execz .LBB6_4634
; %bb.4625:                             ;   in Loop: Header=BB6_4231 Depth=2
	v_bfrev_b32_e32 v15, 1
	s_mov_b32 s15, exec_lo
	v_cmpx_ne_u32_e32 0x80, v0
	s_cbranch_execz .LBB6_4633
; %bb.4626:                             ;   in Loop: Header=BB6_4231 Depth=2
	v_and_b32_e32 v15, 0x7c000000, v11
	v_bfe_u32 v24, v11, 24, 2
	s_delay_alu instid0(VALU_DEP_2) | instskip(SKIP_1) | instid1(SALU_CYCLE_1)
	v_cmp_ne_u32_e32 vcc_lo, 0x7c000000, v15
                                        ; implicit-def: $vgpr15
	s_and_saveexec_b32 s47, vcc_lo
	s_xor_b32 s47, exec_lo, s47
	s_cbranch_execz .LBB6_4630
; %bb.4627:                             ;   in Loop: Header=BB6_4231 Depth=2
	v_bfe_u32 v15, v11, 26, 5
	s_mov_b32 s56, exec_lo
	s_delay_alu instid0(VALU_DEP_1)
	v_cmpx_eq_u32_e32 0, v15
; %bb.4628:                             ;   in Loop: Header=BB6_4231 Depth=2
	v_clz_i32_u32_e32 v15, v24
	s_delay_alu instid0(VALU_DEP_1) | instskip(NEXT) | instid1(VALU_DEP_1)
	v_min_u32_e32 v15, 32, v15
	v_subrev_nc_u32_e32 v24, 29, v15
	s_delay_alu instid0(VALU_DEP_1) | instskip(NEXT) | instid1(VALU_DEP_1)
	v_lshlrev_b64_e32 v[34:35], v24, v[0:1]
	v_dual_sub_nc_u32 v15, 30, v15 :: v_dual_bitop2_b32 v24, 3, v34 bitop3:0x40
; %bb.4629:                             ;   in Loop: Header=BB6_4231 Depth=2
	s_or_b32 exec_lo, exec_lo, s56
	v_and_b32_e32 v0, 0x80000000, v11
	s_delay_alu instid0(VALU_DEP_1) | instskip(NEXT) | instid1(VALU_DEP_1)
	v_lshl_add_u32 v0, v15, 23, v0
	v_lshl_or_b32 v0, v24, 21, v0
                                        ; implicit-def: $vgpr24
	s_delay_alu instid0(VALU_DEP_1)
	v_add_nc_u32_e32 v15, 0x38000000, v0
.LBB6_4630:                             ;   in Loop: Header=BB6_4231 Depth=2
	s_and_not1_saveexec_b32 s47, s47
; %bb.4631:                             ;   in Loop: Header=BB6_4231 Depth=2
	v_cmp_lt_i64_e32 vcc_lo, -1, v[10:11]
	v_cndmask_b32_e32 v0, 0xff800000, v51, vcc_lo
	v_cmp_eq_u32_e32 vcc_lo, 0, v24
	s_delay_alu instid0(VALU_DEP_2)
	v_cndmask_b32_e32 v15, 0x7f800001, v0, vcc_lo
; %bb.4632:                             ;   in Loop: Header=BB6_4231 Depth=2
	s_or_b32 exec_lo, exec_lo, s47
.LBB6_4633:                             ;   in Loop: Header=BB6_4231 Depth=2
	s_delay_alu instid0(SALU_CYCLE_1)
	s_or_b32 exec_lo, exec_lo, s15
.LBB6_4634:                             ;   in Loop: Header=BB6_4231 Depth=2
	s_delay_alu instid0(SALU_CYCLE_1) | instskip(SKIP_1) | instid1(VALU_DEP_1)
	s_or_b32 exec_lo, exec_lo, s46
	v_dual_cndmask_b32 v0, v4, v7, s14 :: v_dual_cndmask_b32 v1, v1, v14, s14
	v_lshl_add_u32 v0, v0, 23, v5
	s_delay_alu instid0(VALU_DEP_1) | instskip(NEXT) | instid1(VALU_DEP_1)
	v_lshl_or_b32 v0, v1, 21, v0
	v_dual_max_num_f32 v1, v15, v15 :: v_dual_cndmask_b32 v0, v0, v6, s13
	s_delay_alu instid0(VALU_DEP_1) | instskip(NEXT) | instid1(VALU_DEP_1)
	v_cndmask_b32_e64 v0, v0, 0x80000000, s12
	v_cndmask_b32_e64 v0, v0, 0, s11
	s_delay_alu instid0(VALU_DEP_1) | instskip(NEXT) | instid1(VALU_DEP_1)
	v_max_num_f32_e32 v0, v0, v0
	v_min_num_f32_e32 v15, v1, v0
.LBB6_4635:                             ;   in Loop: Header=BB6_4231 Depth=2
	s_delay_alu instid0(VALU_DEP_1) | instskip(SKIP_2) | instid1(VALU_DEP_2)
	v_and_b32_e32 v0, 0x7f800000, v15
	v_mov_b32_e32 v1, v25
	v_and_b32_e32 v24, 0x7fffff, v15
                                        ; implicit-def: $vgpr10
	v_cmp_ne_u64_e32 vcc_lo, 0x7f800000, v[0:1]
	v_lshrrev_b32_e32 v0, 24, v15
	s_and_saveexec_b32 s11, vcc_lo
	s_delay_alu instid0(SALU_CYCLE_1)
	s_xor_b32 s12, exec_lo, s11
	s_cbranch_execz .LBB6_4649
; %bb.4636:                             ;   in Loop: Header=BB6_4231 Depth=2
	v_and_b32_e32 v4, 0x7fffffff, v15
	v_mov_b32_e32 v5, v25
	v_and_b32_e32 v6, 0x80, v0
                                        ; implicit-def: $vgpr10
	s_mov_b32 s11, exec_lo
	s_delay_alu instid0(VALU_DEP_2)
	v_cmpx_gt_u64_e32 0x47600001, v[4:5]
	s_xor_b32 s13, exec_lo, s11
	s_cbranch_execz .LBB6_4646
; %bb.4637:                             ;   in Loop: Header=BB6_4231 Depth=2
	v_mov_b32_e32 v10, 0
	s_mov_b32 s14, exec_lo
	v_cmpx_ne_u32_e32 0, v15
	s_cbranch_execz .LBB6_4645
; %bb.4638:                             ;   in Loop: Header=BB6_4231 Depth=2
	v_bfe_u32 v7, v15, 23, 8
	v_or_b32_e32 v4, 0x800000, v24
	s_delay_alu instid0(VALU_DEP_2) | instskip(SKIP_1) | instid1(VALU_DEP_2)
	v_sub_nc_u32_e32 v0, 0x71, v7
	v_cmp_gt_u32_e32 vcc_lo, 0x72, v7
	v_cndmask_b32_e32 v0, 0, v0, vcc_lo
	v_cmp_eq_u32_e32 vcc_lo, 0, v7
	s_delay_alu instid0(VALU_DEP_2) | instskip(NEXT) | instid1(VALU_DEP_1)
	v_cndmask_b32_e64 v10, v0, 0x70, vcc_lo
	v_dual_cndmask_b32 v24, v4, v24, vcc_lo :: v_dual_add_nc_u32 v0, 21, v10
	v_add_nc_u32_e32 v5, 20, v10
	s_delay_alu instid0(VALU_DEP_2) | instskip(NEXT) | instid1(VALU_DEP_2)
	v_lshlrev_b64_e64 v[0:1], v0, -1
	v_lshlrev_b64_e64 v[4:5], v5, 1
	s_delay_alu instid0(VALU_DEP_2) | instskip(NEXT) | instid1(VALU_DEP_3)
	v_bfi_b32 v15, v1, 0, 0
	v_bfi_b32 v14, v0, 0, v24
	v_lshrrev_b64 v[0:1], v10, v[24:25]
	s_delay_alu instid0(VALU_DEP_2) | instskip(NEXT) | instid1(VALU_DEP_2)
	v_cmp_eq_u64_e64 s11, v[14:15], v[4:5]
	v_mov_b64_e32 v[4:5], v[0:1]
	s_and_saveexec_b32 s15, s11
; %bb.4639:                             ;   in Loop: Header=BB6_4231 Depth=2
	v_bfe_u32 v24, v0, 21, 1
	s_delay_alu instid0(VALU_DEP_1) | instskip(NEXT) | instid1(VALU_DEP_1)
	v_add_nc_u64_e32 v[4:5], v[0:1], v[24:25]
	v_add_nc_u64_e32 v[4:5], -1, v[4:5]
; %bb.4640:                             ;   in Loop: Header=BB6_4231 Depth=2
	s_or_b32 exec_lo, exec_lo, s15
	v_add_nc_u32_e32 v1, 0xffffff81, v7
	v_lshrrev_b32_e32 v5, 23, v0
	s_mov_b32 s11, exec_lo
	s_delay_alu instid0(VALU_DEP_2) | instskip(NEXT) | instid1(VALU_DEP_1)
	v_cndmask_b32_e64 v1, v1, 0xffffff82, vcc_lo
	v_add3_u32 v5, v10, v1, v5
	v_and_b32_e32 v1, 0x1fffff, v4
                                        ; implicit-def: $vgpr4
	s_delay_alu instid0(VALU_DEP_1) | instskip(NEXT) | instid1(VALU_DEP_1)
	v_dual_add_nc_u32 v7, 14, v5 :: v_dual_add_nc_u32 v24, v1, v0
                                        ; implicit-def: $vgpr0_vgpr1
	v_cmpx_ne_u32_e32 0, v7
	s_xor_b32 s11, exec_lo, s11
; %bb.4641:                             ;   in Loop: Header=BB6_4231 Depth=2
	s_delay_alu instid0(VALU_DEP_2) | instskip(SKIP_1) | instid1(VALU_DEP_1)
	v_cmp_lt_u64_e32 vcc_lo, 0xffffff, v[24:25]
	v_add_nc_u32_e32 v0, 15, v5
	v_cndmask_b32_e32 v4, v7, v0, vcc_lo
	v_cndmask_b32_e64 v0, 0, 1, vcc_lo
	s_delay_alu instid0(VALU_DEP_1)
	v_lshrrev_b64 v[0:1], v0, v[24:25]
; %bb.4642:                             ;   in Loop: Header=BB6_4231 Depth=2
	s_and_not1_saveexec_b32 s11, s11
; %bb.4643:                             ;   in Loop: Header=BB6_4231 Depth=2
	v_mov_b64_e32 v[0:1], v[24:25]
	v_bfe_u32 v4, v24, 23, 1
; %bb.4644:                             ;   in Loop: Header=BB6_4231 Depth=2
	s_or_b32 exec_lo, exec_lo, s11
	s_delay_alu instid0(VALU_DEP_2) | instskip(NEXT) | instid1(VALU_DEP_2)
	v_lshrrev_b64 v[0:1], 21, v[0:1]
	v_cmp_gt_i32_e32 vcc_lo, 32, v4
	v_min_i32_e32 v5, 31, v4
	v_cmp_eq_u32_e64 s11, 0, v4
	s_delay_alu instid0(VALU_DEP_4) | instskip(NEXT) | instid1(VALU_DEP_3)
	v_cndmask_b32_e32 v1, 0, v1, vcc_lo
	v_dual_cndmask_b32 v0, 3, v0 :: v_dual_lshlrev_b32 v5, 2, v5
	s_delay_alu instid0(VALU_DEP_1) | instskip(NEXT) | instid1(VALU_DEP_2)
	v_and_b32_e32 v5, 0xfc, v5
	v_cmp_eq_u64_e32 vcc_lo, 0, v[0:1]
	s_delay_alu instid0(VALU_DEP_2)
	v_and_or_b32 v0, v0, 3, v5
	s_and_b32 s11, s11, vcc_lo
	s_delay_alu instid0(VALU_DEP_1) | instid1(SALU_CYCLE_1)
	v_cndmask_b32_e64 v0, v0, 0, s11
	s_delay_alu instid0(VALU_DEP_1)
	v_or_b32_e32 v10, v0, v6
.LBB6_4645:                             ;   in Loop: Header=BB6_4231 Depth=2
	s_or_b32 exec_lo, exec_lo, s14
                                        ; implicit-def: $vgpr6
.LBB6_4646:                             ;   in Loop: Header=BB6_4231 Depth=2
	s_and_not1_saveexec_b32 s11, s13
; %bb.4647:                             ;   in Loop: Header=BB6_4231 Depth=2
	v_or_b32_e32 v10, 0x7b, v6
; %bb.4648:                             ;   in Loop: Header=BB6_4231 Depth=2
	s_or_b32 exec_lo, exec_lo, s11
                                        ; implicit-def: $vgpr15
                                        ; implicit-def: $vgpr0
.LBB6_4649:                             ;   in Loop: Header=BB6_4231 Depth=2
	s_and_not1_saveexec_b32 s11, s12
	s_cbranch_execz .LBB6_4655
; %bb.4650:                             ;   in Loop: Header=BB6_4231 Depth=2
	s_mov_b32 s12, exec_lo
                                        ; implicit-def: $vgpr10
	v_cmpx_ne_u64_e32 0, v[24:25]
	s_xor_b32 s12, exec_lo, s12
; %bb.4651:                             ;   in Loop: Header=BB6_4231 Depth=2
	v_or_b32_e32 v10, 0x7f, v0
                                        ; implicit-def: $vgpr15
; %bb.4652:                             ;   in Loop: Header=BB6_4231 Depth=2
	s_and_not1_saveexec_b32 s12, s12
; %bb.4653:                             ;   in Loop: Header=BB6_4231 Depth=2
	v_cmp_lt_i32_e32 vcc_lo, -1, v15
	v_cndmask_b32_e32 v10, 0xfc, v93, vcc_lo
; %bb.4654:                             ;   in Loop: Header=BB6_4231 Depth=2
	s_or_b32 exec_lo, exec_lo, s12
.LBB6_4655:                             ;   in Loop: Header=BB6_4231 Depth=2
	s_delay_alu instid0(SALU_CYCLE_1) | instskip(SKIP_4) | instid1(VALU_DEP_4)
	s_or_b32 exec_lo, exec_lo, s11
	v_dual_lshlrev_b32 v5, 24, v16 :: v_dual_bitop2_b32 v0, 3, v16 bitop3:0x40
	v_bfe_i32 v11, v16, 0, 8
	v_and_b32_e32 v4, 0x7c, v16
	v_and_b32_e32 v7, 0xff, v12
	v_clz_i32_u32_e32 v1, v0
	v_bfe_i32 v14, v12, 0, 8
	v_cmp_lt_i16_e32 vcc_lo, -1, v11
	v_cmp_eq_u32_e64 s11, 0x7c, v4
	v_and_or_b32 v4, 0x80000000, v5, s28
	v_min_u32_e32 v6, 32, v1
	v_bfe_u32 v1, v16, 2, 5
	v_cndmask_b32_e32 v24, 0xff800000, v51, vcc_lo
	v_cmp_eq_u32_e32 vcc_lo, 0, v0
	v_cmp_ne_u16_e64 s13, 0, v7
	v_subrev_nc_u32_e32 v15, 29, v6
	v_cmp_eq_u32_e64 s12, 0, v1
	v_dual_cndmask_b32 v5, 0x7f800001, v24 :: v_dual_sub_nc_u32 v6, 30, v6
	s_and_b32 vcc_lo, exec_lo, s45
	v_lshlrev_b64_e32 v[34:35], v15, v[16:17]
	s_mov_b32 s14, -1
                                        ; implicit-def: $vgpr15
	s_delay_alu instid0(VALU_DEP_1)
	v_and_b32_e32 v7, 3, v34
	s_cbranch_vccz .LBB6_4673
; %bb.4656:                             ;   in Loop: Header=BB6_4231 Depth=2
	v_mov_b32_e32 v15, 0
	s_and_saveexec_b32 s14, s13
	s_cbranch_execz .LBB6_4666
; %bb.4657:                             ;   in Loop: Header=BB6_4231 Depth=2
	v_bfrev_b32_e32 v15, 1
	s_mov_b32 s15, exec_lo
	v_cmpx_ne_u16_e32 0xff80, v14
	s_cbranch_execz .LBB6_4665
; %bb.4658:                             ;   in Loop: Header=BB6_4231 Depth=2
	v_and_b32_e32 v15, 0x7c, v12
	v_and_b32_e32 v24, 3, v12
	s_delay_alu instid0(VALU_DEP_2) | instskip(SKIP_1) | instid1(SALU_CYCLE_1)
	v_cmp_ne_u32_e32 vcc_lo, 0x7c, v15
                                        ; implicit-def: $vgpr15
	s_and_saveexec_b32 s46, vcc_lo
	s_xor_b32 s46, exec_lo, s46
	s_cbranch_execz .LBB6_4662
; %bb.4659:                             ;   in Loop: Header=BB6_4231 Depth=2
	v_bfe_u32 v15, v12, 2, 5
	s_mov_b32 s47, exec_lo
	s_delay_alu instid0(VALU_DEP_1)
	v_cmpx_eq_u32_e32 0, v15
; %bb.4660:                             ;   in Loop: Header=BB6_4231 Depth=2
	v_clz_i32_u32_e32 v15, v24
	s_delay_alu instid0(VALU_DEP_1) | instskip(NEXT) | instid1(VALU_DEP_1)
	v_min_u32_e32 v15, 32, v15
	v_subrev_nc_u32_e32 v24, 29, v15
	s_delay_alu instid0(VALU_DEP_1) | instskip(NEXT) | instid1(VALU_DEP_1)
	v_lshlrev_b64_e32 v[34:35], v24, v[12:13]
	v_dual_sub_nc_u32 v15, 30, v15 :: v_dual_bitop2_b32 v24, 3, v34 bitop3:0x40
; %bb.4661:                             ;   in Loop: Header=BB6_4231 Depth=2
	s_or_b32 exec_lo, exec_lo, s47
	v_lshlrev_b32_e32 v33, 24, v12
	s_delay_alu instid0(VALU_DEP_1) | instskip(NEXT) | instid1(VALU_DEP_1)
	v_and_b32_e32 v33, 0x80000000, v33
	v_lshl_add_u32 v15, v15, 23, v33
	s_delay_alu instid0(VALU_DEP_1) | instskip(NEXT) | instid1(VALU_DEP_1)
	v_lshl_or_b32 v15, v24, 21, v15
                                        ; implicit-def: $vgpr24
	v_add_nc_u32_e32 v15, 0x38000000, v15
.LBB6_4662:                             ;   in Loop: Header=BB6_4231 Depth=2
	s_and_not1_saveexec_b32 s46, s46
; %bb.4663:                             ;   in Loop: Header=BB6_4231 Depth=2
	v_cmp_lt_i16_e32 vcc_lo, -1, v14
	v_cndmask_b32_e32 v15, 0xff800000, v51, vcc_lo
	v_cmp_eq_u32_e32 vcc_lo, 0, v24
	s_delay_alu instid0(VALU_DEP_2)
	v_cndmask_b32_e32 v15, 0x7f800001, v15, vcc_lo
; %bb.4664:                             ;   in Loop: Header=BB6_4231 Depth=2
	s_or_b32 exec_lo, exec_lo, s46
.LBB6_4665:                             ;   in Loop: Header=BB6_4231 Depth=2
	s_delay_alu instid0(SALU_CYCLE_1)
	s_or_b32 exec_lo, exec_lo, s15
.LBB6_4666:                             ;   in Loop: Header=BB6_4231 Depth=2
	s_delay_alu instid0(SALU_CYCLE_1) | instskip(SKIP_3) | instid1(VALU_DEP_1)
	s_or_b32 exec_lo, exec_lo, s14
	v_and_b32_e32 v33, 0xff, v11
	s_mov_b32 s14, 0
	s_mov_b32 s15, exec_lo
	v_cmpx_lt_i16_e32 0x7f, v33
	s_xor_b32 s15, exec_lo, s15
	s_cbranch_execz .LBB6_5102
; %bb.4667:                             ;   in Loop: Header=BB6_4231 Depth=2
	s_mov_b32 s14, -1
	s_mov_b32 s46, exec_lo
	v_cmpx_eq_u16_e32 0x80, v33
; %bb.4668:                             ;   in Loop: Header=BB6_4231 Depth=2
	s_xor_b32 s14, exec_lo, -1
; %bb.4669:                             ;   in Loop: Header=BB6_4231 Depth=2
	s_or_b32 exec_lo, exec_lo, s46
	s_delay_alu instid0(SALU_CYCLE_1)
	s_and_b32 s14, s14, exec_lo
                                        ; implicit-def: $vgpr33
	s_or_saveexec_b32 s15, s15
	v_bfrev_b32_e32 v24, 1
	s_xor_b32 exec_lo, exec_lo, s15
	s_cbranch_execnz .LBB6_5103
.LBB6_4670:                             ;   in Loop: Header=BB6_4231 Depth=2
	s_or_b32 exec_lo, exec_lo, s15
	s_and_saveexec_b32 s15, s14
.LBB6_4671:                             ;   in Loop: Header=BB6_4231 Depth=2
	v_dual_cndmask_b32 v24, v1, v6, s12 :: v_dual_cndmask_b32 v33, v0, v7, s12
	s_delay_alu instid0(VALU_DEP_1) | instskip(NEXT) | instid1(VALU_DEP_1)
	v_lshl_add_u32 v24, v24, 23, v4
	v_lshl_or_b32 v24, v33, 21, v24
	s_delay_alu instid0(VALU_DEP_1)
	v_cndmask_b32_e64 v24, v24, v5, s11
.LBB6_4672:                             ;   in Loop: Header=BB6_4231 Depth=2
	s_or_b32 exec_lo, exec_lo, s15
	s_delay_alu instid0(VALU_DEP_1) | instskip(SKIP_1) | instid1(VALU_DEP_1)
	v_dual_max_num_f32 v24, v24, v24 :: v_dual_max_num_f32 v15, v15, v15
	s_mov_b32 s14, 0
	v_max_num_f32_e32 v15, v15, v24
.LBB6_4673:                             ;   in Loop: Header=BB6_4231 Depth=2
	s_and_b32 vcc_lo, exec_lo, s14
	s_cbranch_vccz .LBB6_4691
; %bb.4674:                             ;   in Loop: Header=BB6_4231 Depth=2
	v_mov_b32_e32 v15, 0
	s_and_saveexec_b32 s14, s13
	s_cbranch_execz .LBB6_4684
; %bb.4675:                             ;   in Loop: Header=BB6_4231 Depth=2
	v_bfrev_b32_e32 v15, 1
	s_mov_b32 s13, exec_lo
	v_cmpx_ne_u16_e32 0xff80, v14
	s_cbranch_execz .LBB6_4683
; %bb.4676:                             ;   in Loop: Header=BB6_4231 Depth=2
	v_and_b32_e32 v15, 0x7c, v12
	v_and_b32_e32 v24, 3, v12
	s_delay_alu instid0(VALU_DEP_2) | instskip(SKIP_1) | instid1(SALU_CYCLE_1)
	v_cmp_ne_u32_e32 vcc_lo, 0x7c, v15
                                        ; implicit-def: $vgpr15
	s_and_saveexec_b32 s15, vcc_lo
	s_xor_b32 s15, exec_lo, s15
	s_cbranch_execz .LBB6_4680
; %bb.4677:                             ;   in Loop: Header=BB6_4231 Depth=2
	v_bfe_u32 v14, v12, 2, 5
	s_mov_b32 s46, exec_lo
	s_delay_alu instid0(VALU_DEP_1)
	v_cmpx_eq_u32_e32 0, v14
; %bb.4678:                             ;   in Loop: Header=BB6_4231 Depth=2
	v_clz_i32_u32_e32 v14, v24
	s_delay_alu instid0(VALU_DEP_1) | instskip(NEXT) | instid1(VALU_DEP_1)
	v_min_u32_e32 v14, 32, v14
	v_subrev_nc_u32_e32 v15, 29, v14
	v_sub_nc_u32_e32 v14, 30, v14
	s_delay_alu instid0(VALU_DEP_2) | instskip(NEXT) | instid1(VALU_DEP_1)
	v_lshlrev_b64_e32 v[34:35], v15, v[12:13]
	v_and_b32_e32 v24, 3, v34
; %bb.4679:                             ;   in Loop: Header=BB6_4231 Depth=2
	s_or_b32 exec_lo, exec_lo, s46
	v_lshlrev_b32_e32 v15, 24, v12
	s_delay_alu instid0(VALU_DEP_1) | instskip(NEXT) | instid1(VALU_DEP_1)
	v_and_b32_e32 v15, 0x80000000, v15
	v_lshl_add_u32 v14, v14, 23, v15
	s_delay_alu instid0(VALU_DEP_1) | instskip(NEXT) | instid1(VALU_DEP_1)
	v_lshl_or_b32 v14, v24, 21, v14
                                        ; implicit-def: $vgpr24
	v_add_nc_u32_e32 v15, 0x38000000, v14
                                        ; implicit-def: $vgpr14
.LBB6_4680:                             ;   in Loop: Header=BB6_4231 Depth=2
	s_and_not1_saveexec_b32 s15, s15
; %bb.4681:                             ;   in Loop: Header=BB6_4231 Depth=2
	v_cmp_lt_i16_e32 vcc_lo, -1, v14
	v_cndmask_b32_e32 v14, 0xff800000, v51, vcc_lo
	v_cmp_eq_u32_e32 vcc_lo, 0, v24
	s_delay_alu instid0(VALU_DEP_2)
	v_cndmask_b32_e32 v15, 0x7f800001, v14, vcc_lo
; %bb.4682:                             ;   in Loop: Header=BB6_4231 Depth=2
	s_or_b32 exec_lo, exec_lo, s15
.LBB6_4683:                             ;   in Loop: Header=BB6_4231 Depth=2
	s_delay_alu instid0(SALU_CYCLE_1)
	s_or_b32 exec_lo, exec_lo, s13
.LBB6_4684:                             ;   in Loop: Header=BB6_4231 Depth=2
	s_delay_alu instid0(SALU_CYCLE_1) | instskip(SKIP_3) | instid1(VALU_DEP_1)
	s_or_b32 exec_lo, exec_lo, s14
	v_and_b32_e32 v14, 0xff, v11
	s_mov_b32 s13, 0
	s_mov_b32 s14, exec_lo
	v_cmpx_lt_i16_e32 0x7f, v14
	s_xor_b32 s14, exec_lo, s14
	s_cbranch_execz .LBB6_5104
; %bb.4685:                             ;   in Loop: Header=BB6_4231 Depth=2
	s_mov_b32 s13, -1
	s_mov_b32 s15, exec_lo
	v_cmpx_eq_u16_e32 0x80, v14
; %bb.4686:                             ;   in Loop: Header=BB6_4231 Depth=2
	s_xor_b32 s13, exec_lo, -1
; %bb.4687:                             ;   in Loop: Header=BB6_4231 Depth=2
	s_or_b32 exec_lo, exec_lo, s15
	s_delay_alu instid0(SALU_CYCLE_1)
	s_and_b32 s13, s13, exec_lo
                                        ; implicit-def: $vgpr14
	s_or_saveexec_b32 s14, s14
	v_bfrev_b32_e32 v11, 1
	s_xor_b32 exec_lo, exec_lo, s14
	s_cbranch_execnz .LBB6_5105
.LBB6_4688:                             ;   in Loop: Header=BB6_4231 Depth=2
	s_or_b32 exec_lo, exec_lo, s14
	s_and_saveexec_b32 s14, s13
.LBB6_4689:                             ;   in Loop: Header=BB6_4231 Depth=2
	v_dual_cndmask_b32 v1, v1, v6, s12 :: v_dual_cndmask_b32 v0, v0, v7, s12
	s_delay_alu instid0(VALU_DEP_1) | instskip(NEXT) | instid1(VALU_DEP_1)
	v_lshl_add_u32 v1, v1, 23, v4
	v_lshl_or_b32 v0, v0, 21, v1
	s_delay_alu instid0(VALU_DEP_1)
	v_cndmask_b32_e64 v11, v0, v5, s11
.LBB6_4690:                             ;   in Loop: Header=BB6_4231 Depth=2
	s_or_b32 exec_lo, exec_lo, s14
	s_delay_alu instid0(VALU_DEP_1) | instskip(SKIP_1) | instid1(VALU_DEP_1)
	v_max_num_f32_e32 v0, v11, v11
	v_max_num_f32_e32 v1, v15, v15
	v_min_num_f32_e32 v15, v1, v0
.LBB6_4691:                             ;   in Loop: Header=BB6_4231 Depth=2
	s_delay_alu instid0(VALU_DEP_1) | instskip(SKIP_2) | instid1(VALU_DEP_2)
	v_and_b32_e32 v0, 0x7f800000, v15
	v_mov_b32_e32 v1, v25
	v_and_b32_e32 v24, 0x7fffff, v15
                                        ; implicit-def: $vgpr11
	v_cmp_ne_u64_e32 vcc_lo, 0x7f800000, v[0:1]
	v_lshrrev_b32_e32 v0, 24, v15
	s_and_saveexec_b32 s11, vcc_lo
	s_delay_alu instid0(SALU_CYCLE_1)
	s_xor_b32 s12, exec_lo, s11
	s_cbranch_execz .LBB6_4705
; %bb.4692:                             ;   in Loop: Header=BB6_4231 Depth=2
	v_and_b32_e32 v4, 0x7fffffff, v15
	v_mov_b32_e32 v5, v25
	v_and_b32_e32 v6, 0x80, v0
                                        ; implicit-def: $vgpr11
	s_mov_b32 s11, exec_lo
	s_delay_alu instid0(VALU_DEP_2)
	v_cmpx_gt_u64_e32 0x47600001, v[4:5]
	s_xor_b32 s13, exec_lo, s11
	s_cbranch_execz .LBB6_4702
; %bb.4693:                             ;   in Loop: Header=BB6_4231 Depth=2
	v_mov_b32_e32 v11, 0
	s_mov_b32 s14, exec_lo
	v_cmpx_ne_u32_e32 0, v15
	s_cbranch_execz .LBB6_4701
; %bb.4694:                             ;   in Loop: Header=BB6_4231 Depth=2
	v_bfe_u32 v7, v15, 23, 8
	v_or_b32_e32 v4, 0x800000, v24
	s_delay_alu instid0(VALU_DEP_2) | instskip(SKIP_1) | instid1(VALU_DEP_2)
	v_sub_nc_u32_e32 v0, 0x71, v7
	v_cmp_gt_u32_e32 vcc_lo, 0x72, v7
	v_cndmask_b32_e32 v0, 0, v0, vcc_lo
	v_cmp_eq_u32_e32 vcc_lo, 0, v7
	s_delay_alu instid0(VALU_DEP_2) | instskip(NEXT) | instid1(VALU_DEP_1)
	v_cndmask_b32_e64 v11, v0, 0x70, vcc_lo
	v_dual_cndmask_b32 v24, v4, v24, vcc_lo :: v_dual_add_nc_u32 v0, 21, v11
	v_add_nc_u32_e32 v5, 20, v11
	s_delay_alu instid0(VALU_DEP_2) | instskip(NEXT) | instid1(VALU_DEP_2)
	v_lshlrev_b64_e64 v[0:1], v0, -1
	v_lshlrev_b64_e64 v[4:5], v5, 1
	s_delay_alu instid0(VALU_DEP_2) | instskip(NEXT) | instid1(VALU_DEP_3)
	v_bfi_b32 v15, v1, 0, 0
	v_bfi_b32 v14, v0, 0, v24
	v_lshrrev_b64 v[0:1], v11, v[24:25]
	s_delay_alu instid0(VALU_DEP_2) | instskip(NEXT) | instid1(VALU_DEP_2)
	v_cmp_eq_u64_e64 s11, v[14:15], v[4:5]
	v_mov_b64_e32 v[4:5], v[0:1]
	s_and_saveexec_b32 s15, s11
; %bb.4695:                             ;   in Loop: Header=BB6_4231 Depth=2
	v_bfe_u32 v24, v0, 21, 1
	s_delay_alu instid0(VALU_DEP_1) | instskip(NEXT) | instid1(VALU_DEP_1)
	v_add_nc_u64_e32 v[4:5], v[0:1], v[24:25]
	v_add_nc_u64_e32 v[4:5], -1, v[4:5]
; %bb.4696:                             ;   in Loop: Header=BB6_4231 Depth=2
	s_or_b32 exec_lo, exec_lo, s15
	v_add_nc_u32_e32 v1, 0xffffff81, v7
	v_lshrrev_b32_e32 v5, 23, v0
	s_mov_b32 s11, exec_lo
	s_delay_alu instid0(VALU_DEP_2) | instskip(NEXT) | instid1(VALU_DEP_1)
	v_cndmask_b32_e64 v1, v1, 0xffffff82, vcc_lo
	v_add3_u32 v5, v11, v1, v5
	v_and_b32_e32 v1, 0x1fffff, v4
                                        ; implicit-def: $vgpr4
	s_delay_alu instid0(VALU_DEP_1) | instskip(NEXT) | instid1(VALU_DEP_1)
	v_dual_add_nc_u32 v7, 14, v5 :: v_dual_add_nc_u32 v24, v1, v0
                                        ; implicit-def: $vgpr0_vgpr1
	v_cmpx_ne_u32_e32 0, v7
	s_xor_b32 s11, exec_lo, s11
; %bb.4697:                             ;   in Loop: Header=BB6_4231 Depth=2
	s_delay_alu instid0(VALU_DEP_2) | instskip(SKIP_1) | instid1(VALU_DEP_1)
	v_cmp_lt_u64_e32 vcc_lo, 0xffffff, v[24:25]
	v_add_nc_u32_e32 v0, 15, v5
	v_cndmask_b32_e32 v4, v7, v0, vcc_lo
	v_cndmask_b32_e64 v0, 0, 1, vcc_lo
	s_delay_alu instid0(VALU_DEP_1)
	v_lshrrev_b64 v[0:1], v0, v[24:25]
; %bb.4698:                             ;   in Loop: Header=BB6_4231 Depth=2
	s_and_not1_saveexec_b32 s11, s11
; %bb.4699:                             ;   in Loop: Header=BB6_4231 Depth=2
	v_mov_b64_e32 v[0:1], v[24:25]
	v_bfe_u32 v4, v24, 23, 1
; %bb.4700:                             ;   in Loop: Header=BB6_4231 Depth=2
	s_or_b32 exec_lo, exec_lo, s11
	s_delay_alu instid0(VALU_DEP_2) | instskip(NEXT) | instid1(VALU_DEP_2)
	v_lshrrev_b64 v[0:1], 21, v[0:1]
	v_cmp_gt_i32_e32 vcc_lo, 32, v4
	v_min_i32_e32 v5, 31, v4
	v_cmp_eq_u32_e64 s11, 0, v4
	s_delay_alu instid0(VALU_DEP_4) | instskip(NEXT) | instid1(VALU_DEP_3)
	v_cndmask_b32_e32 v1, 0, v1, vcc_lo
	v_dual_cndmask_b32 v0, 3, v0 :: v_dual_lshlrev_b32 v5, 2, v5
	s_delay_alu instid0(VALU_DEP_1) | instskip(NEXT) | instid1(VALU_DEP_2)
	v_and_b32_e32 v5, 0xfc, v5
	v_cmp_eq_u64_e32 vcc_lo, 0, v[0:1]
	s_delay_alu instid0(VALU_DEP_2)
	v_and_or_b32 v0, v0, 3, v5
	s_and_b32 s11, s11, vcc_lo
	s_delay_alu instid0(VALU_DEP_1) | instid1(SALU_CYCLE_1)
	v_cndmask_b32_e64 v0, v0, 0, s11
	s_delay_alu instid0(VALU_DEP_1)
	v_or_b32_e32 v11, v0, v6
.LBB6_4701:                             ;   in Loop: Header=BB6_4231 Depth=2
	s_or_b32 exec_lo, exec_lo, s14
                                        ; implicit-def: $vgpr6
.LBB6_4702:                             ;   in Loop: Header=BB6_4231 Depth=2
	s_and_not1_saveexec_b32 s11, s13
; %bb.4703:                             ;   in Loop: Header=BB6_4231 Depth=2
	v_or_b32_e32 v11, 0x7b, v6
; %bb.4704:                             ;   in Loop: Header=BB6_4231 Depth=2
	s_or_b32 exec_lo, exec_lo, s11
                                        ; implicit-def: $vgpr15
                                        ; implicit-def: $vgpr0
.LBB6_4705:                             ;   in Loop: Header=BB6_4231 Depth=2
	s_and_not1_saveexec_b32 s11, s12
	s_cbranch_execz .LBB6_4711
; %bb.4706:                             ;   in Loop: Header=BB6_4231 Depth=2
	s_mov_b32 s12, exec_lo
                                        ; implicit-def: $vgpr11
	v_cmpx_ne_u64_e32 0, v[24:25]
	s_xor_b32 s12, exec_lo, s12
; %bb.4707:                             ;   in Loop: Header=BB6_4231 Depth=2
	v_or_b32_e32 v11, 0x7f, v0
                                        ; implicit-def: $vgpr15
; %bb.4708:                             ;   in Loop: Header=BB6_4231 Depth=2
	s_and_not1_saveexec_b32 s12, s12
; %bb.4709:                             ;   in Loop: Header=BB6_4231 Depth=2
	v_cmp_lt_i32_e32 vcc_lo, -1, v15
	v_cndmask_b32_e32 v11, 0xfc, v93, vcc_lo
; %bb.4710:                             ;   in Loop: Header=BB6_4231 Depth=2
	s_or_b32 exec_lo, exec_lo, s12
.LBB6_4711:                             ;   in Loop: Header=BB6_4231 Depth=2
	s_delay_alu instid0(SALU_CYCLE_1) | instskip(SKIP_3) | instid1(VALU_DEP_2)
	s_or_b32 exec_lo, exec_lo, s11
	v_lshrrev_b16 v24, 8, v16
	v_cmp_lt_i16_e32 vcc_lo, -1, v16
	s_mov_b32 s14, -1
	v_and_b32_e32 v1, 0xffff, v24
	s_delay_alu instid0(VALU_DEP_1) | instskip(SKIP_2) | instid1(VALU_DEP_3)
	v_dual_lshlrev_b32 v6, 24, v24 :: v_dual_bitop2_b32 v4, 3, v1 bitop3:0x40
	v_and_b32_e32 v36, 0x7c, v1
	v_bfe_u32 v5, v1, 2, 5
                                        ; implicit-def: $vgpr1
	v_and_or_b32 v6, 0x80000000, v6, s28
	s_delay_alu instid0(VALU_DEP_4) | instskip(NEXT) | instid1(VALU_DEP_4)
	v_clz_i32_u32_e32 v0, v4
	v_cmp_eq_u32_e64 s11, 0x7c, v36
	s_delay_alu instid0(VALU_DEP_4) | instskip(NEXT) | instid1(VALU_DEP_3)
	v_cmp_eq_u32_e64 s12, 0, v5
	v_min_u32_e32 v14, 32, v0
	v_lshrrev_b16 v0, 8, v12
	v_cndmask_b32_e32 v7, 0xff800000, v51, vcc_lo
	v_cmp_eq_u32_e32 vcc_lo, 0, v4
	s_delay_alu instid0(VALU_DEP_4) | instskip(NEXT) | instid1(VALU_DEP_4)
	v_subrev_nc_u32_e32 v15, 29, v14
	v_and_b32_e32 v33, 0xffff, v0
	v_cmp_ne_u16_e64 s13, 0, v0
	v_dual_cndmask_b32 v7, 0x7f800001, v7 :: v_dual_sub_nc_u32 v14, 30, v14
	s_delay_alu instid0(VALU_DEP_4) | instskip(SKIP_1) | instid1(VALU_DEP_1)
	v_lshlrev_b64_e32 v[34:35], v15, v[24:25]
	s_and_b32 vcc_lo, exec_lo, s45
	v_and_b32_e32 v15, 3, v34
	s_cbranch_vccz .LBB6_4729
; %bb.4712:                             ;   in Loop: Header=BB6_4231 Depth=2
	v_mov_b32_e32 v1, 0
	s_and_saveexec_b32 s14, s13
	s_cbranch_execz .LBB6_4722
; %bb.4713:                             ;   in Loop: Header=BB6_4231 Depth=2
	v_bfrev_b32_e32 v1, 1
	s_mov_b32 s15, exec_lo
	v_cmpx_ne_u16_e32 0x80, v0
	s_cbranch_execz .LBB6_4721
; %bb.4714:                             ;   in Loop: Header=BB6_4231 Depth=2
	v_and_b32_e32 v1, 0x7c, v33
	v_and_b32_e32 v34, 3, v33
	s_delay_alu instid0(VALU_DEP_2) | instskip(SKIP_1) | instid1(SALU_CYCLE_1)
	v_cmp_ne_u32_e32 vcc_lo, 0x7c, v1
                                        ; implicit-def: $vgpr1
	s_and_saveexec_b32 s46, vcc_lo
	s_xor_b32 s46, exec_lo, s46
	s_cbranch_execz .LBB6_4718
; %bb.4715:                             ;   in Loop: Header=BB6_4231 Depth=2
	v_bfe_u32 v1, v33, 2, 5
	s_mov_b32 s47, exec_lo
	s_delay_alu instid0(VALU_DEP_1)
	v_cmpx_eq_u32_e32 0, v1
; %bb.4716:                             ;   in Loop: Header=BB6_4231 Depth=2
	v_clz_i32_u32_e32 v1, v34
	s_delay_alu instid0(VALU_DEP_1) | instskip(SKIP_1) | instid1(VALU_DEP_2)
	v_min_u32_e32 v36, 32, v1
	v_mov_b32_e32 v1, v25
	v_subrev_nc_u32_e32 v34, 29, v36
	s_delay_alu instid0(VALU_DEP_1) | instskip(NEXT) | instid1(VALU_DEP_1)
	v_lshlrev_b64_e32 v[34:35], v34, v[0:1]
	v_dual_sub_nc_u32 v1, 30, v36 :: v_dual_bitop2_b32 v34, 3, v34 bitop3:0x40
; %bb.4717:                             ;   in Loop: Header=BB6_4231 Depth=2
	s_or_b32 exec_lo, exec_lo, s47
	v_lshlrev_b32_e32 v35, 16, v12
	s_delay_alu instid0(VALU_DEP_1) | instskip(NEXT) | instid1(VALU_DEP_1)
	v_and_b32_e32 v35, 0x80000000, v35
	v_lshl_add_u32 v1, v1, 23, v35
	s_delay_alu instid0(VALU_DEP_1) | instskip(NEXT) | instid1(VALU_DEP_1)
	v_lshl_or_b32 v1, v34, 21, v1
                                        ; implicit-def: $vgpr34
	v_add_nc_u32_e32 v1, 0x38000000, v1
.LBB6_4718:                             ;   in Loop: Header=BB6_4231 Depth=2
	s_and_not1_saveexec_b32 s46, s46
; %bb.4719:                             ;   in Loop: Header=BB6_4231 Depth=2
	v_cmp_lt_i16_e32 vcc_lo, -1, v12
	v_cndmask_b32_e32 v1, 0xff800000, v51, vcc_lo
	v_cmp_eq_u32_e32 vcc_lo, 0, v34
	s_delay_alu instid0(VALU_DEP_2)
	v_cndmask_b32_e32 v1, 0x7f800001, v1, vcc_lo
; %bb.4720:                             ;   in Loop: Header=BB6_4231 Depth=2
	s_or_b32 exec_lo, exec_lo, s46
.LBB6_4721:                             ;   in Loop: Header=BB6_4231 Depth=2
	s_delay_alu instid0(SALU_CYCLE_1)
	s_or_b32 exec_lo, exec_lo, s15
.LBB6_4722:                             ;   in Loop: Header=BB6_4231 Depth=2
	s_delay_alu instid0(SALU_CYCLE_1)
	s_or_b32 exec_lo, exec_lo, s14
	s_mov_b32 s14, 0
	s_mov_b32 s15, exec_lo
	v_cmpx_lt_i16_e32 0x7f, v24
	s_xor_b32 s15, exec_lo, s15
	s_cbranch_execz .LBB6_5106
; %bb.4723:                             ;   in Loop: Header=BB6_4231 Depth=2
	s_mov_b32 s14, -1
	s_mov_b32 s46, exec_lo
	v_cmpx_eq_u16_e32 0x80, v24
; %bb.4724:                             ;   in Loop: Header=BB6_4231 Depth=2
	s_xor_b32 s14, exec_lo, -1
; %bb.4725:                             ;   in Loop: Header=BB6_4231 Depth=2
	s_or_b32 exec_lo, exec_lo, s46
	s_delay_alu instid0(SALU_CYCLE_1)
	s_and_b32 s14, s14, exec_lo
	s_or_saveexec_b32 s15, s15
	v_bfrev_b32_e32 v34, 1
	s_xor_b32 exec_lo, exec_lo, s15
	s_cbranch_execnz .LBB6_5107
.LBB6_4726:                             ;   in Loop: Header=BB6_4231 Depth=2
	s_or_b32 exec_lo, exec_lo, s15
	s_and_saveexec_b32 s15, s14
.LBB6_4727:                             ;   in Loop: Header=BB6_4231 Depth=2
	v_dual_cndmask_b32 v34, v5, v14, s12 :: v_dual_cndmask_b32 v35, v4, v15, s12
	s_delay_alu instid0(VALU_DEP_1) | instskip(NEXT) | instid1(VALU_DEP_1)
	v_lshl_add_u32 v34, v34, 23, v6
	v_lshl_or_b32 v34, v35, 21, v34
	s_delay_alu instid0(VALU_DEP_1)
	v_cndmask_b32_e64 v34, v34, v7, s11
.LBB6_4728:                             ;   in Loop: Header=BB6_4231 Depth=2
	s_or_b32 exec_lo, exec_lo, s15
	s_delay_alu instid0(VALU_DEP_1) | instskip(SKIP_1) | instid1(VALU_DEP_1)
	v_dual_max_num_f32 v34, v34, v34 :: v_dual_max_num_f32 v1, v1, v1
	s_mov_b32 s14, 0
	v_max_num_f32_e32 v1, v1, v34
.LBB6_4729:                             ;   in Loop: Header=BB6_4231 Depth=2
	s_and_b32 vcc_lo, exec_lo, s14
	s_cbranch_vccz .LBB6_4747
; %bb.4730:                             ;   in Loop: Header=BB6_4231 Depth=2
	v_mov_b32_e32 v1, 0
	s_and_saveexec_b32 s14, s13
	s_cbranch_execz .LBB6_4740
; %bb.4731:                             ;   in Loop: Header=BB6_4231 Depth=2
	v_bfrev_b32_e32 v1, 1
	s_mov_b32 s13, exec_lo
	v_cmpx_ne_u16_e32 0x80, v0
	s_cbranch_execz .LBB6_4739
; %bb.4732:                             ;   in Loop: Header=BB6_4231 Depth=2
	v_and_b32_e32 v1, 0x7c, v33
	v_and_b32_e32 v34, 3, v33
	s_delay_alu instid0(VALU_DEP_2) | instskip(SKIP_1) | instid1(SALU_CYCLE_1)
	v_cmp_ne_u32_e32 vcc_lo, 0x7c, v1
                                        ; implicit-def: $vgpr1
	s_and_saveexec_b32 s15, vcc_lo
	s_xor_b32 s15, exec_lo, s15
	s_cbranch_execz .LBB6_4736
; %bb.4733:                             ;   in Loop: Header=BB6_4231 Depth=2
	v_bfe_u32 v1, v33, 2, 5
	s_mov_b32 s46, exec_lo
	s_delay_alu instid0(VALU_DEP_1)
	v_cmpx_eq_u32_e32 0, v1
; %bb.4734:                             ;   in Loop: Header=BB6_4231 Depth=2
	v_clz_i32_u32_e32 v1, v34
	s_delay_alu instid0(VALU_DEP_1) | instskip(SKIP_1) | instid1(VALU_DEP_2)
	v_min_u32_e32 v33, 32, v1
	v_mov_b32_e32 v1, v25
	v_subrev_nc_u32_e32 v34, 29, v33
	s_delay_alu instid0(VALU_DEP_1) | instskip(NEXT) | instid1(VALU_DEP_1)
	v_lshlrev_b64_e32 v[0:1], v34, v[0:1]
	v_dual_sub_nc_u32 v1, 30, v33 :: v_dual_bitop2_b32 v34, 3, v0 bitop3:0x40
; %bb.4735:                             ;   in Loop: Header=BB6_4231 Depth=2
	s_or_b32 exec_lo, exec_lo, s46
	v_lshlrev_b32_e32 v0, 16, v12
	s_delay_alu instid0(VALU_DEP_1) | instskip(NEXT) | instid1(VALU_DEP_1)
	v_and_b32_e32 v0, 0x80000000, v0
	v_lshl_add_u32 v0, v1, 23, v0
	s_delay_alu instid0(VALU_DEP_1) | instskip(NEXT) | instid1(VALU_DEP_1)
	v_lshl_or_b32 v0, v34, 21, v0
                                        ; implicit-def: $vgpr34
	v_add_nc_u32_e32 v1, 0x38000000, v0
.LBB6_4736:                             ;   in Loop: Header=BB6_4231 Depth=2
	s_and_not1_saveexec_b32 s15, s15
; %bb.4737:                             ;   in Loop: Header=BB6_4231 Depth=2
	v_cmp_lt_i16_e32 vcc_lo, -1, v12
	v_cndmask_b32_e32 v0, 0xff800000, v51, vcc_lo
	v_cmp_eq_u32_e32 vcc_lo, 0, v34
	s_delay_alu instid0(VALU_DEP_2)
	v_cndmask_b32_e32 v1, 0x7f800001, v0, vcc_lo
; %bb.4738:                             ;   in Loop: Header=BB6_4231 Depth=2
	s_or_b32 exec_lo, exec_lo, s15
.LBB6_4739:                             ;   in Loop: Header=BB6_4231 Depth=2
	s_delay_alu instid0(SALU_CYCLE_1)
	s_or_b32 exec_lo, exec_lo, s13
.LBB6_4740:                             ;   in Loop: Header=BB6_4231 Depth=2
	s_delay_alu instid0(SALU_CYCLE_1)
	s_or_b32 exec_lo, exec_lo, s14
	s_mov_b32 s13, 0
	s_mov_b32 s14, exec_lo
	v_cmpx_lt_i16_e32 0x7f, v24
	s_xor_b32 s14, exec_lo, s14
	s_cbranch_execz .LBB6_5108
; %bb.4741:                             ;   in Loop: Header=BB6_4231 Depth=2
	s_mov_b32 s13, -1
	s_mov_b32 s15, exec_lo
	v_cmpx_eq_u16_e32 0x80, v24
; %bb.4742:                             ;   in Loop: Header=BB6_4231 Depth=2
	s_xor_b32 s13, exec_lo, -1
; %bb.4743:                             ;   in Loop: Header=BB6_4231 Depth=2
	s_or_b32 exec_lo, exec_lo, s15
	s_delay_alu instid0(SALU_CYCLE_1)
	s_and_b32 s13, s13, exec_lo
	s_or_saveexec_b32 s14, s14
	v_bfrev_b32_e32 v0, 1
	s_xor_b32 exec_lo, exec_lo, s14
	s_cbranch_execnz .LBB6_5109
.LBB6_4744:                             ;   in Loop: Header=BB6_4231 Depth=2
	s_or_b32 exec_lo, exec_lo, s14
	s_and_saveexec_b32 s14, s13
.LBB6_4745:                             ;   in Loop: Header=BB6_4231 Depth=2
	v_dual_cndmask_b32 v0, v5, v14, s12 :: v_dual_cndmask_b32 v4, v4, v15, s12
	s_delay_alu instid0(VALU_DEP_1) | instskip(NEXT) | instid1(VALU_DEP_1)
	v_lshl_add_u32 v0, v0, 23, v6
	v_lshl_or_b32 v0, v4, 21, v0
	s_delay_alu instid0(VALU_DEP_1)
	v_cndmask_b32_e64 v0, v0, v7, s11
.LBB6_4746:                             ;   in Loop: Header=BB6_4231 Depth=2
	s_or_b32 exec_lo, exec_lo, s14
	s_delay_alu instid0(VALU_DEP_1) | instskip(NEXT) | instid1(VALU_DEP_1)
	v_dual_max_num_f32 v0, v0, v0 :: v_dual_max_num_f32 v1, v1, v1
	v_min_num_f32_e32 v1, v1, v0
.LBB6_4747:                             ;   in Loop: Header=BB6_4231 Depth=2
	s_delay_alu instid0(VALU_DEP_1) | instskip(SKIP_3) | instid1(VALU_DEP_2)
	v_and_b32_e32 v4, 0x7f800000, v1
	v_dual_mov_b32 v5, v25 :: v_dual_lshrrev_b32 v0, 24, v1
	v_and_b32_e32 v24, 0x7fffff, v1
                                        ; implicit-def: $vgpr14
	s_mov_b32 s11, exec_lo
	v_cmpx_ne_u64_e32 0x7f800000, v[4:5]
	s_xor_b32 s12, exec_lo, s11
	s_cbranch_execz .LBB6_4761
; %bb.4748:                             ;   in Loop: Header=BB6_4231 Depth=2
	v_and_b32_e32 v4, 0x7fffffff, v1
	v_mov_b32_e32 v5, v25
	v_and_b32_e32 v6, 0x80, v0
                                        ; implicit-def: $vgpr14
	s_mov_b32 s11, exec_lo
	s_delay_alu instid0(VALU_DEP_2)
	v_cmpx_gt_u64_e32 0x47600001, v[4:5]
	s_xor_b32 s13, exec_lo, s11
	s_cbranch_execz .LBB6_4758
; %bb.4749:                             ;   in Loop: Header=BB6_4231 Depth=2
	v_mov_b32_e32 v14, 0
	s_mov_b32 s14, exec_lo
	v_cmpx_ne_u32_e32 0, v1
	s_cbranch_execz .LBB6_4757
; %bb.4750:                             ;   in Loop: Header=BB6_4231 Depth=2
	v_bfe_u32 v7, v1, 23, 8
	v_or_b32_e32 v4, 0x800000, v24
	s_delay_alu instid0(VALU_DEP_2) | instskip(SKIP_1) | instid1(VALU_DEP_2)
	v_sub_nc_u32_e32 v0, 0x71, v7
	v_cmp_gt_u32_e32 vcc_lo, 0x72, v7
	v_cndmask_b32_e32 v0, 0, v0, vcc_lo
	v_cmp_eq_u32_e32 vcc_lo, 0, v7
	s_delay_alu instid0(VALU_DEP_2) | instskip(NEXT) | instid1(VALU_DEP_1)
	v_cndmask_b32_e64 v14, v0, 0x70, vcc_lo
	v_dual_cndmask_b32 v24, v4, v24, vcc_lo :: v_dual_add_nc_u32 v0, 21, v14
	v_add_nc_u32_e32 v5, 20, v14
	s_delay_alu instid0(VALU_DEP_2) | instskip(NEXT) | instid1(VALU_DEP_2)
	v_lshlrev_b64_e64 v[0:1], v0, -1
	v_lshlrev_b64_e64 v[4:5], v5, 1
	s_delay_alu instid0(VALU_DEP_2) | instskip(NEXT) | instid1(VALU_DEP_3)
	v_bfi_b32 v35, v1, 0, 0
	v_bfi_b32 v34, v0, 0, v24
	v_lshrrev_b64 v[0:1], v14, v[24:25]
	s_delay_alu instid0(VALU_DEP_2) | instskip(NEXT) | instid1(VALU_DEP_2)
	v_cmp_eq_u64_e64 s11, v[34:35], v[4:5]
	v_mov_b64_e32 v[4:5], v[0:1]
	s_and_saveexec_b32 s15, s11
; %bb.4751:                             ;   in Loop: Header=BB6_4231 Depth=2
	v_bfe_u32 v24, v0, 21, 1
	s_delay_alu instid0(VALU_DEP_1) | instskip(NEXT) | instid1(VALU_DEP_1)
	v_add_nc_u64_e32 v[4:5], v[0:1], v[24:25]
	v_add_nc_u64_e32 v[4:5], -1, v[4:5]
; %bb.4752:                             ;   in Loop: Header=BB6_4231 Depth=2
	s_or_b32 exec_lo, exec_lo, s15
	v_add_nc_u32_e32 v1, 0xffffff81, v7
	v_lshrrev_b32_e32 v5, 23, v0
	s_mov_b32 s11, exec_lo
	s_delay_alu instid0(VALU_DEP_2) | instskip(NEXT) | instid1(VALU_DEP_1)
	v_cndmask_b32_e64 v1, v1, 0xffffff82, vcc_lo
	v_add3_u32 v5, v14, v1, v5
	v_and_b32_e32 v1, 0x1fffff, v4
                                        ; implicit-def: $vgpr4
	s_delay_alu instid0(VALU_DEP_1) | instskip(NEXT) | instid1(VALU_DEP_1)
	v_dual_add_nc_u32 v7, 14, v5 :: v_dual_add_nc_u32 v24, v1, v0
                                        ; implicit-def: $vgpr0_vgpr1
	v_cmpx_ne_u32_e32 0, v7
	s_xor_b32 s11, exec_lo, s11
; %bb.4753:                             ;   in Loop: Header=BB6_4231 Depth=2
	s_delay_alu instid0(VALU_DEP_2) | instskip(SKIP_1) | instid1(VALU_DEP_1)
	v_cmp_lt_u64_e32 vcc_lo, 0xffffff, v[24:25]
	v_add_nc_u32_e32 v0, 15, v5
	v_cndmask_b32_e32 v4, v7, v0, vcc_lo
	v_cndmask_b32_e64 v0, 0, 1, vcc_lo
	s_delay_alu instid0(VALU_DEP_1)
	v_lshrrev_b64 v[0:1], v0, v[24:25]
; %bb.4754:                             ;   in Loop: Header=BB6_4231 Depth=2
	s_and_not1_saveexec_b32 s11, s11
; %bb.4755:                             ;   in Loop: Header=BB6_4231 Depth=2
	v_mov_b64_e32 v[0:1], v[24:25]
	v_bfe_u32 v4, v24, 23, 1
; %bb.4756:                             ;   in Loop: Header=BB6_4231 Depth=2
	s_or_b32 exec_lo, exec_lo, s11
	s_delay_alu instid0(VALU_DEP_2) | instskip(NEXT) | instid1(VALU_DEP_2)
	v_lshrrev_b64 v[0:1], 21, v[0:1]
	v_cmp_gt_i32_e32 vcc_lo, 32, v4
	v_min_i32_e32 v5, 31, v4
	v_cmp_eq_u32_e64 s11, 0, v4
	s_delay_alu instid0(VALU_DEP_4) | instskip(NEXT) | instid1(VALU_DEP_3)
	v_cndmask_b32_e32 v1, 0, v1, vcc_lo
	v_dual_cndmask_b32 v0, 3, v0 :: v_dual_lshlrev_b32 v5, 2, v5
	s_delay_alu instid0(VALU_DEP_1) | instskip(NEXT) | instid1(VALU_DEP_2)
	v_and_b32_e32 v5, 0xfc, v5
	v_cmp_eq_u64_e32 vcc_lo, 0, v[0:1]
	s_delay_alu instid0(VALU_DEP_2)
	v_and_or_b32 v0, v0, 3, v5
	s_and_b32 s11, s11, vcc_lo
	s_delay_alu instid0(VALU_DEP_1) | instid1(SALU_CYCLE_1)
	v_cndmask_b32_e64 v0, v0, 0, s11
	s_delay_alu instid0(VALU_DEP_1)
	v_or_b32_e32 v14, v0, v6
.LBB6_4757:                             ;   in Loop: Header=BB6_4231 Depth=2
	s_or_b32 exec_lo, exec_lo, s14
                                        ; implicit-def: $vgpr6
.LBB6_4758:                             ;   in Loop: Header=BB6_4231 Depth=2
	s_and_not1_saveexec_b32 s11, s13
; %bb.4759:                             ;   in Loop: Header=BB6_4231 Depth=2
	v_or_b32_e32 v14, 0x7b, v6
; %bb.4760:                             ;   in Loop: Header=BB6_4231 Depth=2
	s_or_b32 exec_lo, exec_lo, s11
                                        ; implicit-def: $vgpr1
                                        ; implicit-def: $vgpr0
.LBB6_4761:                             ;   in Loop: Header=BB6_4231 Depth=2
	s_and_not1_saveexec_b32 s11, s12
	s_cbranch_execz .LBB6_4767
; %bb.4762:                             ;   in Loop: Header=BB6_4231 Depth=2
	s_mov_b32 s12, exec_lo
                                        ; implicit-def: $vgpr14
	v_cmpx_ne_u64_e32 0, v[24:25]
	s_xor_b32 s12, exec_lo, s12
; %bb.4763:                             ;   in Loop: Header=BB6_4231 Depth=2
	v_or_b32_e32 v14, 0x7f, v0
                                        ; implicit-def: $vgpr1
; %bb.4764:                             ;   in Loop: Header=BB6_4231 Depth=2
	s_and_not1_saveexec_b32 s12, s12
; %bb.4765:                             ;   in Loop: Header=BB6_4231 Depth=2
	v_cmp_lt_i32_e32 vcc_lo, -1, v1
	v_cndmask_b32_e32 v14, 0xfc, v93, vcc_lo
; %bb.4766:                             ;   in Loop: Header=BB6_4231 Depth=2
	s_or_b32 exec_lo, exec_lo, s12
.LBB6_4767:                             ;   in Loop: Header=BB6_4231 Depth=2
	s_delay_alu instid0(SALU_CYCLE_1) | instskip(SKIP_4) | instid1(VALU_DEP_3)
	s_or_b32 exec_lo, exec_lo, s11
	v_bfe_u32 v1, v16, 16, 2
	v_dual_lshrrev_b32 v6, 16, v16 :: v_dual_lshlrev_b32 v15, 8, v16
	v_and_b32_e32 v5, 0x7c0000, v16
	s_mov_b32 s14, -1
	v_clz_i32_u32_e32 v4, v1
	s_delay_alu instid0(VALU_DEP_3) | instskip(NEXT) | instid1(VALU_DEP_3)
	v_bfe_i32 v24, v6, 0, 8
	v_cmp_eq_u32_e64 s11, 0x7c0000, v5
	v_and_or_b32 v5, 0x80000000, v15, s28
	s_delay_alu instid0(VALU_DEP_4) | instskip(SKIP_3) | instid1(VALU_DEP_4)
	v_min_u32_e32 v7, 32, v4
	v_lshrrev_b32_e32 v0, 16, v12
	v_cmp_lt_i16_e32 vcc_lo, -1, v24
	v_bfe_u32 v4, v16, 18, 5
	v_subrev_nc_u32_e32 v34, 29, v7
	s_delay_alu instid0(VALU_DEP_2) | instskip(NEXT) | instid1(VALU_DEP_2)
	v_cmp_eq_u32_e64 s12, 0, v4
	v_lshlrev_b64_e32 v[34:35], v34, v[6:7]
	v_cndmask_b32_e32 v6, 0xff800000, v51, vcc_lo
	v_sub_nc_u32_e32 v7, 30, v7
	v_and_b32_e32 v33, 0xff, v0
	v_cmp_eq_u32_e32 vcc_lo, 0, v1
	v_and_b32_e32 v15, 3, v34
	s_delay_alu instid0(VALU_DEP_3)
	v_cmp_ne_u16_e64 s13, 0, v33
	v_cndmask_b32_e32 v6, 0x7f800001, v6, vcc_lo
	s_and_b32 vcc_lo, exec_lo, s45
                                        ; implicit-def: $vgpr34
	s_cbranch_vccz .LBB6_4785
; %bb.4768:                             ;   in Loop: Header=BB6_4231 Depth=2
	v_mov_b32_e32 v34, 0
	s_and_saveexec_b32 s14, s13
	s_cbranch_execz .LBB6_4778
; %bb.4769:                             ;   in Loop: Header=BB6_4231 Depth=2
	v_bfrev_b32_e32 v34, 1
	s_mov_b32 s15, exec_lo
	v_cmpx_ne_u16_e32 0x80, v33
	s_cbranch_execz .LBB6_4777
; %bb.4770:                             ;   in Loop: Header=BB6_4231 Depth=2
	v_and_b32_e32 v34, 0x7c0000, v12
	v_bfe_u32 v35, v12, 16, 2
	s_delay_alu instid0(VALU_DEP_2) | instskip(SKIP_1) | instid1(SALU_CYCLE_1)
	v_cmp_ne_u32_e32 vcc_lo, 0x7c0000, v34
                                        ; implicit-def: $vgpr34
	s_and_saveexec_b32 s46, vcc_lo
	s_xor_b32 s46, exec_lo, s46
	s_cbranch_execz .LBB6_4774
; %bb.4771:                             ;   in Loop: Header=BB6_4231 Depth=2
	v_bfe_u32 v34, v12, 18, 5
	s_mov_b32 s47, exec_lo
	s_delay_alu instid0(VALU_DEP_1)
	v_cmpx_eq_u32_e32 0, v34
; %bb.4772:                             ;   in Loop: Header=BB6_4231 Depth=2
	v_clz_i32_u32_e32 v34, v35
	s_delay_alu instid0(VALU_DEP_1) | instskip(NEXT) | instid1(VALU_DEP_1)
	v_min_u32_e32 v34, 32, v34
	v_subrev_nc_u32_e32 v35, 29, v34
	s_delay_alu instid0(VALU_DEP_1) | instskip(NEXT) | instid1(VALU_DEP_1)
	v_lshlrev_b64_e32 v[36:37], v35, v[0:1]
	v_dual_sub_nc_u32 v34, 30, v34 :: v_dual_bitop2_b32 v35, 3, v36 bitop3:0x40
; %bb.4773:                             ;   in Loop: Header=BB6_4231 Depth=2
	s_or_b32 exec_lo, exec_lo, s47
	v_lshlrev_b32_e32 v36, 24, v0
	s_delay_alu instid0(VALU_DEP_1) | instskip(NEXT) | instid1(VALU_DEP_1)
	v_and_b32_e32 v36, 0x80000000, v36
	v_lshl_add_u32 v34, v34, 23, v36
	s_delay_alu instid0(VALU_DEP_1) | instskip(NEXT) | instid1(VALU_DEP_1)
	v_lshl_or_b32 v34, v35, 21, v34
                                        ; implicit-def: $vgpr35
	v_add_nc_u32_e32 v34, 0x38000000, v34
.LBB6_4774:                             ;   in Loop: Header=BB6_4231 Depth=2
	s_and_not1_saveexec_b32 s46, s46
; %bb.4775:                             ;   in Loop: Header=BB6_4231 Depth=2
	v_bfe_i32 v34, v0, 0, 8
	s_delay_alu instid0(VALU_DEP_1) | instskip(SKIP_2) | instid1(VALU_DEP_2)
	v_cmp_lt_i16_e32 vcc_lo, -1, v34
	v_cndmask_b32_e32 v34, 0xff800000, v51, vcc_lo
	v_cmp_eq_u32_e32 vcc_lo, 0, v35
	v_cndmask_b32_e32 v34, 0x7f800001, v34, vcc_lo
; %bb.4776:                             ;   in Loop: Header=BB6_4231 Depth=2
	s_or_b32 exec_lo, exec_lo, s46
.LBB6_4777:                             ;   in Loop: Header=BB6_4231 Depth=2
	s_delay_alu instid0(SALU_CYCLE_1)
	s_or_b32 exec_lo, exec_lo, s15
.LBB6_4778:                             ;   in Loop: Header=BB6_4231 Depth=2
	s_delay_alu instid0(SALU_CYCLE_1) | instskip(SKIP_3) | instid1(VALU_DEP_1)
	s_or_b32 exec_lo, exec_lo, s14
	v_and_b32_e32 v36, 0xff, v24
	s_mov_b32 s14, 0
	s_mov_b32 s15, exec_lo
	v_cmpx_lt_i16_e32 0x7f, v36
	s_xor_b32 s15, exec_lo, s15
	s_cbranch_execz .LBB6_5110
; %bb.4779:                             ;   in Loop: Header=BB6_4231 Depth=2
	s_mov_b32 s14, -1
	s_mov_b32 s46, exec_lo
	v_cmpx_eq_u16_e32 0x80, v36
; %bb.4780:                             ;   in Loop: Header=BB6_4231 Depth=2
	s_xor_b32 s14, exec_lo, -1
; %bb.4781:                             ;   in Loop: Header=BB6_4231 Depth=2
	s_or_b32 exec_lo, exec_lo, s46
	s_delay_alu instid0(SALU_CYCLE_1)
	s_and_b32 s14, s14, exec_lo
                                        ; implicit-def: $vgpr36
	s_or_saveexec_b32 s15, s15
	v_bfrev_b32_e32 v35, 1
	s_xor_b32 exec_lo, exec_lo, s15
	s_cbranch_execnz .LBB6_5111
.LBB6_4782:                             ;   in Loop: Header=BB6_4231 Depth=2
	s_or_b32 exec_lo, exec_lo, s15
	s_and_saveexec_b32 s15, s14
.LBB6_4783:                             ;   in Loop: Header=BB6_4231 Depth=2
	v_cndmask_b32_e64 v35, v4, v7, s12
	v_cndmask_b32_e64 v36, v1, v15, s12
	s_delay_alu instid0(VALU_DEP_2) | instskip(NEXT) | instid1(VALU_DEP_1)
	v_lshl_add_u32 v35, v35, 23, v5
	v_lshl_or_b32 v35, v36, 21, v35
	s_delay_alu instid0(VALU_DEP_1)
	v_cndmask_b32_e64 v35, v35, v6, s11
.LBB6_4784:                             ;   in Loop: Header=BB6_4231 Depth=2
	s_or_b32 exec_lo, exec_lo, s15
	s_delay_alu instid0(VALU_DEP_1) | instskip(SKIP_1) | instid1(VALU_DEP_1)
	v_dual_max_num_f32 v35, v35, v35 :: v_dual_max_num_f32 v34, v34, v34
	s_mov_b32 s14, 0
	v_max_num_f32_e32 v34, v34, v35
.LBB6_4785:                             ;   in Loop: Header=BB6_4231 Depth=2
	s_and_b32 vcc_lo, exec_lo, s14
	s_cbranch_vccz .LBB6_4803
; %bb.4786:                             ;   in Loop: Header=BB6_4231 Depth=2
	v_mov_b32_e32 v34, 0
	s_and_saveexec_b32 s14, s13
	s_cbranch_execz .LBB6_4796
; %bb.4787:                             ;   in Loop: Header=BB6_4231 Depth=2
	v_bfrev_b32_e32 v34, 1
	s_mov_b32 s13, exec_lo
	v_cmpx_ne_u16_e32 0x80, v33
	s_cbranch_execz .LBB6_4795
; %bb.4788:                             ;   in Loop: Header=BB6_4231 Depth=2
	v_and_b32_e32 v34, 0x7c0000, v12
	v_bfe_u32 v33, v12, 16, 2
	s_delay_alu instid0(VALU_DEP_2) | instskip(SKIP_1) | instid1(SALU_CYCLE_1)
	v_cmp_ne_u32_e32 vcc_lo, 0x7c0000, v34
                                        ; implicit-def: $vgpr34
	s_and_saveexec_b32 s15, vcc_lo
	s_xor_b32 s15, exec_lo, s15
	s_cbranch_execz .LBB6_4792
; %bb.4789:                             ;   in Loop: Header=BB6_4231 Depth=2
	v_bfe_u32 v34, v12, 18, 5
	s_mov_b32 s46, exec_lo
	s_delay_alu instid0(VALU_DEP_1)
	v_cmpx_eq_u32_e32 0, v34
; %bb.4790:                             ;   in Loop: Header=BB6_4231 Depth=2
	v_clz_i32_u32_e32 v33, v33
	s_delay_alu instid0(VALU_DEP_1) | instskip(NEXT) | instid1(VALU_DEP_1)
	v_min_u32_e32 v33, 32, v33
	v_subrev_nc_u32_e32 v34, 29, v33
	s_delay_alu instid0(VALU_DEP_1) | instskip(NEXT) | instid1(VALU_DEP_1)
	v_lshlrev_b64_e32 v[36:37], v34, v[0:1]
	v_dual_sub_nc_u32 v34, 30, v33 :: v_dual_bitop2_b32 v33, 3, v36 bitop3:0x40
; %bb.4791:                             ;   in Loop: Header=BB6_4231 Depth=2
	s_or_b32 exec_lo, exec_lo, s46
	v_lshlrev_b32_e32 v0, 24, v0
	s_delay_alu instid0(VALU_DEP_1) | instskip(NEXT) | instid1(VALU_DEP_1)
	v_and_b32_e32 v0, 0x80000000, v0
	v_lshl_add_u32 v0, v34, 23, v0
	s_delay_alu instid0(VALU_DEP_1) | instskip(NEXT) | instid1(VALU_DEP_1)
	v_lshl_or_b32 v0, v33, 21, v0
                                        ; implicit-def: $vgpr33
	v_add_nc_u32_e32 v34, 0x38000000, v0
                                        ; implicit-def: $vgpr0
.LBB6_4792:                             ;   in Loop: Header=BB6_4231 Depth=2
	s_and_not1_saveexec_b32 s15, s15
; %bb.4793:                             ;   in Loop: Header=BB6_4231 Depth=2
	v_bfe_i32 v0, v0, 0, 8
	s_delay_alu instid0(VALU_DEP_1) | instskip(SKIP_2) | instid1(VALU_DEP_2)
	v_cmp_lt_i16_e32 vcc_lo, -1, v0
	v_cndmask_b32_e32 v0, 0xff800000, v51, vcc_lo
	v_cmp_eq_u32_e32 vcc_lo, 0, v33
	v_cndmask_b32_e32 v34, 0x7f800001, v0, vcc_lo
; %bb.4794:                             ;   in Loop: Header=BB6_4231 Depth=2
	s_or_b32 exec_lo, exec_lo, s15
.LBB6_4795:                             ;   in Loop: Header=BB6_4231 Depth=2
	s_delay_alu instid0(SALU_CYCLE_1)
	s_or_b32 exec_lo, exec_lo, s13
.LBB6_4796:                             ;   in Loop: Header=BB6_4231 Depth=2
	s_delay_alu instid0(SALU_CYCLE_1) | instskip(SKIP_3) | instid1(VALU_DEP_1)
	s_or_b32 exec_lo, exec_lo, s14
	v_and_b32_e32 v24, 0xff, v24
	s_mov_b32 s13, 0
	s_mov_b32 s14, exec_lo
	v_cmpx_lt_i16_e32 0x7f, v24
	s_xor_b32 s14, exec_lo, s14
	s_cbranch_execz .LBB6_5112
; %bb.4797:                             ;   in Loop: Header=BB6_4231 Depth=2
	s_mov_b32 s13, -1
	s_mov_b32 s15, exec_lo
	v_cmpx_eq_u16_e32 0x80, v24
; %bb.4798:                             ;   in Loop: Header=BB6_4231 Depth=2
	s_xor_b32 s13, exec_lo, -1
; %bb.4799:                             ;   in Loop: Header=BB6_4231 Depth=2
	s_or_b32 exec_lo, exec_lo, s15
	s_delay_alu instid0(SALU_CYCLE_1)
	s_and_b32 s13, s13, exec_lo
                                        ; implicit-def: $vgpr24
	s_or_saveexec_b32 s14, s14
	v_bfrev_b32_e32 v0, 1
	s_xor_b32 exec_lo, exec_lo, s14
	s_cbranch_execnz .LBB6_5113
.LBB6_4800:                             ;   in Loop: Header=BB6_4231 Depth=2
	s_or_b32 exec_lo, exec_lo, s14
	s_and_saveexec_b32 s14, s13
.LBB6_4801:                             ;   in Loop: Header=BB6_4231 Depth=2
	v_cndmask_b32_e64 v0, v4, v7, s12
	v_cndmask_b32_e64 v1, v1, v15, s12
	s_delay_alu instid0(VALU_DEP_2) | instskip(NEXT) | instid1(VALU_DEP_1)
	v_lshl_add_u32 v0, v0, 23, v5
	v_lshl_or_b32 v0, v1, 21, v0
	s_delay_alu instid0(VALU_DEP_1)
	v_cndmask_b32_e64 v0, v0, v6, s11
.LBB6_4802:                             ;   in Loop: Header=BB6_4231 Depth=2
	s_or_b32 exec_lo, exec_lo, s14
	s_delay_alu instid0(VALU_DEP_1) | instskip(NEXT) | instid1(VALU_DEP_1)
	v_dual_max_num_f32 v0, v0, v0 :: v_dual_max_num_f32 v1, v34, v34
	v_min_num_f32_e32 v34, v1, v0
.LBB6_4803:                             ;   in Loop: Header=BB6_4231 Depth=2
	s_delay_alu instid0(VALU_DEP_1) | instskip(SKIP_2) | instid1(VALU_DEP_2)
	v_and_b32_e32 v0, 0x7f800000, v34
	v_mov_b32_e32 v1, v25
	v_and_b32_e32 v24, 0x7fffff, v34
                                        ; implicit-def: $vgpr15
	v_cmp_ne_u64_e32 vcc_lo, 0x7f800000, v[0:1]
	v_lshrrev_b32_e32 v0, 24, v34
	s_and_saveexec_b32 s11, vcc_lo
	s_delay_alu instid0(SALU_CYCLE_1)
	s_xor_b32 s12, exec_lo, s11
	s_cbranch_execz .LBB6_4817
; %bb.4804:                             ;   in Loop: Header=BB6_4231 Depth=2
	v_and_b32_e32 v4, 0x7fffffff, v34
	v_mov_b32_e32 v5, v25
	v_and_b32_e32 v6, 0x80, v0
                                        ; implicit-def: $vgpr15
	s_mov_b32 s11, exec_lo
	s_delay_alu instid0(VALU_DEP_2)
	v_cmpx_gt_u64_e32 0x47600001, v[4:5]
	s_xor_b32 s13, exec_lo, s11
	s_cbranch_execz .LBB6_4814
; %bb.4805:                             ;   in Loop: Header=BB6_4231 Depth=2
	v_mov_b32_e32 v15, 0
	s_mov_b32 s14, exec_lo
	v_cmpx_ne_u32_e32 0, v34
	s_cbranch_execz .LBB6_4813
; %bb.4806:                             ;   in Loop: Header=BB6_4231 Depth=2
	v_bfe_u32 v7, v34, 23, 8
	v_or_b32_e32 v4, 0x800000, v24
	s_delay_alu instid0(VALU_DEP_2) | instskip(SKIP_1) | instid1(VALU_DEP_2)
	v_sub_nc_u32_e32 v0, 0x71, v7
	v_cmp_gt_u32_e32 vcc_lo, 0x72, v7
	v_cndmask_b32_e32 v0, 0, v0, vcc_lo
	v_cmp_eq_u32_e32 vcc_lo, 0, v7
	s_delay_alu instid0(VALU_DEP_2) | instskip(NEXT) | instid1(VALU_DEP_1)
	v_cndmask_b32_e64 v15, v0, 0x70, vcc_lo
	v_dual_cndmask_b32 v24, v4, v24, vcc_lo :: v_dual_add_nc_u32 v0, 21, v15
	v_add_nc_u32_e32 v5, 20, v15
	s_delay_alu instid0(VALU_DEP_2) | instskip(NEXT) | instid1(VALU_DEP_2)
	v_lshlrev_b64_e64 v[0:1], v0, -1
	v_lshlrev_b64_e64 v[4:5], v5, 1
	s_delay_alu instid0(VALU_DEP_2) | instskip(NEXT) | instid1(VALU_DEP_3)
	v_bfi_b32 v35, v1, 0, 0
	v_bfi_b32 v34, v0, 0, v24
	v_lshrrev_b64 v[0:1], v15, v[24:25]
	s_delay_alu instid0(VALU_DEP_2) | instskip(NEXT) | instid1(VALU_DEP_2)
	v_cmp_eq_u64_e64 s11, v[34:35], v[4:5]
	v_mov_b64_e32 v[4:5], v[0:1]
	s_and_saveexec_b32 s15, s11
; %bb.4807:                             ;   in Loop: Header=BB6_4231 Depth=2
	v_bfe_u32 v24, v0, 21, 1
	s_delay_alu instid0(VALU_DEP_1) | instskip(NEXT) | instid1(VALU_DEP_1)
	v_add_nc_u64_e32 v[4:5], v[0:1], v[24:25]
	v_add_nc_u64_e32 v[4:5], -1, v[4:5]
; %bb.4808:                             ;   in Loop: Header=BB6_4231 Depth=2
	s_or_b32 exec_lo, exec_lo, s15
	v_add_nc_u32_e32 v1, 0xffffff81, v7
	v_lshrrev_b32_e32 v5, 23, v0
	s_mov_b32 s11, exec_lo
	s_delay_alu instid0(VALU_DEP_2) | instskip(NEXT) | instid1(VALU_DEP_1)
	v_cndmask_b32_e64 v1, v1, 0xffffff82, vcc_lo
	v_add3_u32 v5, v15, v1, v5
	v_and_b32_e32 v1, 0x1fffff, v4
                                        ; implicit-def: $vgpr4
	s_delay_alu instid0(VALU_DEP_1) | instskip(NEXT) | instid1(VALU_DEP_1)
	v_dual_add_nc_u32 v7, 14, v5 :: v_dual_add_nc_u32 v24, v1, v0
                                        ; implicit-def: $vgpr0_vgpr1
	v_cmpx_ne_u32_e32 0, v7
	s_xor_b32 s11, exec_lo, s11
; %bb.4809:                             ;   in Loop: Header=BB6_4231 Depth=2
	s_delay_alu instid0(VALU_DEP_2) | instskip(SKIP_1) | instid1(VALU_DEP_1)
	v_cmp_lt_u64_e32 vcc_lo, 0xffffff, v[24:25]
	v_add_nc_u32_e32 v0, 15, v5
	v_cndmask_b32_e32 v4, v7, v0, vcc_lo
	v_cndmask_b32_e64 v0, 0, 1, vcc_lo
	s_delay_alu instid0(VALU_DEP_1)
	v_lshrrev_b64 v[0:1], v0, v[24:25]
; %bb.4810:                             ;   in Loop: Header=BB6_4231 Depth=2
	s_and_not1_saveexec_b32 s11, s11
; %bb.4811:                             ;   in Loop: Header=BB6_4231 Depth=2
	v_mov_b64_e32 v[0:1], v[24:25]
	v_bfe_u32 v4, v24, 23, 1
; %bb.4812:                             ;   in Loop: Header=BB6_4231 Depth=2
	s_or_b32 exec_lo, exec_lo, s11
	s_delay_alu instid0(VALU_DEP_2) | instskip(NEXT) | instid1(VALU_DEP_2)
	v_lshrrev_b64 v[0:1], 21, v[0:1]
	v_cmp_gt_i32_e32 vcc_lo, 32, v4
	v_min_i32_e32 v5, 31, v4
	v_cmp_eq_u32_e64 s11, 0, v4
	s_delay_alu instid0(VALU_DEP_4) | instskip(NEXT) | instid1(VALU_DEP_3)
	v_cndmask_b32_e32 v1, 0, v1, vcc_lo
	v_dual_cndmask_b32 v0, 3, v0 :: v_dual_lshlrev_b32 v5, 2, v5
	s_delay_alu instid0(VALU_DEP_1) | instskip(NEXT) | instid1(VALU_DEP_2)
	v_and_b32_e32 v5, 0xfc, v5
	v_cmp_eq_u64_e32 vcc_lo, 0, v[0:1]
	s_delay_alu instid0(VALU_DEP_2)
	v_and_or_b32 v0, v0, 3, v5
	s_and_b32 s11, s11, vcc_lo
	s_delay_alu instid0(VALU_DEP_1) | instid1(SALU_CYCLE_1)
	v_cndmask_b32_e64 v0, v0, 0, s11
	s_delay_alu instid0(VALU_DEP_1)
	v_or_b32_e32 v15, v0, v6
.LBB6_4813:                             ;   in Loop: Header=BB6_4231 Depth=2
	s_or_b32 exec_lo, exec_lo, s14
                                        ; implicit-def: $vgpr6
.LBB6_4814:                             ;   in Loop: Header=BB6_4231 Depth=2
	s_and_not1_saveexec_b32 s11, s13
; %bb.4815:                             ;   in Loop: Header=BB6_4231 Depth=2
	v_or_b32_e32 v15, 0x7b, v6
; %bb.4816:                             ;   in Loop: Header=BB6_4231 Depth=2
	s_or_b32 exec_lo, exec_lo, s11
                                        ; implicit-def: $vgpr34
                                        ; implicit-def: $vgpr0
.LBB6_4817:                             ;   in Loop: Header=BB6_4231 Depth=2
	s_and_not1_saveexec_b32 s11, s12
	s_cbranch_execz .LBB6_4823
; %bb.4818:                             ;   in Loop: Header=BB6_4231 Depth=2
	s_mov_b32 s12, exec_lo
                                        ; implicit-def: $vgpr15
	v_cmpx_ne_u64_e32 0, v[24:25]
	s_xor_b32 s12, exec_lo, s12
; %bb.4819:                             ;   in Loop: Header=BB6_4231 Depth=2
	v_or_b32_e32 v15, 0x7f, v0
                                        ; implicit-def: $vgpr34
; %bb.4820:                             ;   in Loop: Header=BB6_4231 Depth=2
	s_and_not1_saveexec_b32 s12, s12
; %bb.4821:                             ;   in Loop: Header=BB6_4231 Depth=2
	v_cmp_lt_i32_e32 vcc_lo, -1, v34
	v_cndmask_b32_e32 v15, 0xfc, v93, vcc_lo
; %bb.4822:                             ;   in Loop: Header=BB6_4231 Depth=2
	s_or_b32 exec_lo, exec_lo, s12
.LBB6_4823:                             ;   in Loop: Header=BB6_4231 Depth=2
	s_delay_alu instid0(SALU_CYCLE_1)
	s_or_b32 exec_lo, exec_lo, s11
	v_bfe_u32 v1, v16, 24, 2
	v_lshrrev_b32_e32 v6, 24, v16
	v_cmp_lt_i32_e32 vcc_lo, -1, v16
	v_and_b32_e32 v24, 0x7c000000, v16
	v_cmp_gt_u32_e64 s11, 0x1000000, v16
	v_clz_i32_u32_e32 v4, v1
	v_and_or_b32 v5, 0x80000000, v16, s28
	v_cndmask_b32_e32 v36, 0xff800000, v51, vcc_lo
	v_cmp_eq_u32_e32 vcc_lo, 0, v1
	v_cmp_lt_u32_e64 s15, 0xffffff, v12
	v_min_u32_e32 v7, 32, v4
	v_bfe_u32 v4, v16, 26, 5
	v_lshrrev_b32_e32 v0, 24, v12
	v_cmp_eq_u32_e64 s13, 0x7c000000, v24
	s_mov_b32 s46, -1
	v_subrev_nc_u32_e32 v33, 29, v7
	v_cmp_eq_u32_e64 s14, 0, v4
	s_delay_alu instid0(VALU_DEP_2) | instskip(NEXT) | instid1(VALU_DEP_1)
	v_lshlrev_b64_e32 v[34:35], v33, v[6:7]
	v_dual_sub_nc_u32 v7, 30, v7 :: v_dual_bitop2_b32 v24, 3, v34 bitop3:0x40
	v_cmp_eq_u32_e64 s12, 0x80, v6
	v_cndmask_b32_e32 v6, 0x7f800001, v36, vcc_lo
	s_and_b32 vcc_lo, exec_lo, s45
                                        ; implicit-def: $vgpr34
	s_cbranch_vccz .LBB6_4835
; %bb.4824:                             ;   in Loop: Header=BB6_4231 Depth=2
	v_mov_b32_e32 v33, 0
	s_and_saveexec_b32 s46, s15
	s_cbranch_execz .LBB6_4834
; %bb.4825:                             ;   in Loop: Header=BB6_4231 Depth=2
	v_bfrev_b32_e32 v33, 1
	s_mov_b32 s47, exec_lo
	v_cmpx_ne_u32_e32 0x80, v0
	s_cbranch_execz .LBB6_4833
; %bb.4826:                             ;   in Loop: Header=BB6_4231 Depth=2
	v_and_b32_e32 v33, 0x7c000000, v12
	v_bfe_u32 v34, v12, 24, 2
	s_delay_alu instid0(VALU_DEP_2) | instskip(SKIP_1) | instid1(SALU_CYCLE_1)
	v_cmp_ne_u32_e32 vcc_lo, 0x7c000000, v33
                                        ; implicit-def: $vgpr33
	s_and_saveexec_b32 s56, vcc_lo
	s_xor_b32 s56, exec_lo, s56
	s_cbranch_execz .LBB6_4830
; %bb.4827:                             ;   in Loop: Header=BB6_4231 Depth=2
	v_bfe_u32 v33, v12, 26, 5
	s_mov_b32 s57, exec_lo
	s_delay_alu instid0(VALU_DEP_1)
	v_cmpx_eq_u32_e32 0, v33
; %bb.4828:                             ;   in Loop: Header=BB6_4231 Depth=2
	v_clz_i32_u32_e32 v33, v34
	s_delay_alu instid0(VALU_DEP_1) | instskip(NEXT) | instid1(VALU_DEP_1)
	v_min_u32_e32 v33, 32, v33
	v_subrev_nc_u32_e32 v34, 29, v33
	s_delay_alu instid0(VALU_DEP_1) | instskip(NEXT) | instid1(VALU_DEP_1)
	v_lshlrev_b64_e32 v[34:35], v34, v[0:1]
	v_dual_sub_nc_u32 v33, 30, v33 :: v_dual_bitop2_b32 v34, 3, v34 bitop3:0x40
; %bb.4829:                             ;   in Loop: Header=BB6_4231 Depth=2
	s_or_b32 exec_lo, exec_lo, s57
	v_and_b32_e32 v35, 0x80000000, v12
	s_delay_alu instid0(VALU_DEP_1) | instskip(NEXT) | instid1(VALU_DEP_1)
	v_lshl_add_u32 v33, v33, 23, v35
	v_lshl_or_b32 v33, v34, 21, v33
                                        ; implicit-def: $vgpr34
	s_delay_alu instid0(VALU_DEP_1)
	v_add_nc_u32_e32 v33, 0x38000000, v33
.LBB6_4830:                             ;   in Loop: Header=BB6_4231 Depth=2
	s_and_not1_saveexec_b32 s56, s56
; %bb.4831:                             ;   in Loop: Header=BB6_4231 Depth=2
	v_cmp_lt_i32_e32 vcc_lo, -1, v12
	v_cndmask_b32_e32 v33, 0xff800000, v51, vcc_lo
	v_cmp_eq_u32_e32 vcc_lo, 0, v34
	s_delay_alu instid0(VALU_DEP_2)
	v_cndmask_b32_e32 v33, 0x7f800001, v33, vcc_lo
; %bb.4832:                             ;   in Loop: Header=BB6_4231 Depth=2
	s_or_b32 exec_lo, exec_lo, s56
.LBB6_4833:                             ;   in Loop: Header=BB6_4231 Depth=2
	s_delay_alu instid0(SALU_CYCLE_1)
	s_or_b32 exec_lo, exec_lo, s47
.LBB6_4834:                             ;   in Loop: Header=BB6_4231 Depth=2
	s_delay_alu instid0(SALU_CYCLE_1) | instskip(SKIP_3) | instid1(VALU_DEP_2)
	s_or_b32 exec_lo, exec_lo, s46
	v_dual_cndmask_b32 v34, v4, v7, s14 :: v_dual_cndmask_b32 v35, v1, v24, s14
	s_mov_b32 s46, 0
	v_max_num_f32_e32 v33, v33, v33
	v_lshl_add_u32 v34, v34, 23, v5
	s_delay_alu instid0(VALU_DEP_1) | instskip(NEXT) | instid1(VALU_DEP_1)
	v_lshl_or_b32 v34, v35, 21, v34
	v_cndmask_b32_e64 v34, v34, v6, s13
	s_delay_alu instid0(VALU_DEP_1) | instskip(NEXT) | instid1(VALU_DEP_1)
	v_cndmask_b32_e64 v34, v34, 0x80000000, s12
	v_cndmask_b32_e64 v34, v34, 0, s11
	s_delay_alu instid0(VALU_DEP_1) | instskip(NEXT) | instid1(VALU_DEP_1)
	v_max_num_f32_e32 v34, v34, v34
	v_max_num_f32_e32 v34, v33, v34
.LBB6_4835:                             ;   in Loop: Header=BB6_4231 Depth=2
	s_and_b32 vcc_lo, exec_lo, s46
	s_cbranch_vccz .LBB6_4847
; %bb.4836:                             ;   in Loop: Header=BB6_4231 Depth=2
	v_mov_b32_e32 v33, 0
	s_and_saveexec_b32 s46, s15
	s_cbranch_execz .LBB6_4846
; %bb.4837:                             ;   in Loop: Header=BB6_4231 Depth=2
	v_bfrev_b32_e32 v33, 1
	s_mov_b32 s15, exec_lo
	v_cmpx_ne_u32_e32 0x80, v0
	s_cbranch_execz .LBB6_4845
; %bb.4838:                             ;   in Loop: Header=BB6_4231 Depth=2
	v_and_b32_e32 v33, 0x7c000000, v12
	v_bfe_u32 v34, v12, 24, 2
	s_delay_alu instid0(VALU_DEP_2) | instskip(SKIP_1) | instid1(SALU_CYCLE_1)
	v_cmp_ne_u32_e32 vcc_lo, 0x7c000000, v33
                                        ; implicit-def: $vgpr33
	s_and_saveexec_b32 s47, vcc_lo
	s_xor_b32 s47, exec_lo, s47
	s_cbranch_execz .LBB6_4842
; %bb.4839:                             ;   in Loop: Header=BB6_4231 Depth=2
	v_bfe_u32 v33, v12, 26, 5
	s_mov_b32 s56, exec_lo
	s_delay_alu instid0(VALU_DEP_1)
	v_cmpx_eq_u32_e32 0, v33
; %bb.4840:                             ;   in Loop: Header=BB6_4231 Depth=2
	v_clz_i32_u32_e32 v33, v34
	s_delay_alu instid0(VALU_DEP_1) | instskip(NEXT) | instid1(VALU_DEP_1)
	v_min_u32_e32 v33, 32, v33
	v_subrev_nc_u32_e32 v34, 29, v33
	s_delay_alu instid0(VALU_DEP_1) | instskip(NEXT) | instid1(VALU_DEP_1)
	v_lshlrev_b64_e32 v[34:35], v34, v[0:1]
	v_dual_sub_nc_u32 v33, 30, v33 :: v_dual_bitop2_b32 v34, 3, v34 bitop3:0x40
; %bb.4841:                             ;   in Loop: Header=BB6_4231 Depth=2
	s_or_b32 exec_lo, exec_lo, s56
	v_and_b32_e32 v0, 0x80000000, v12
	s_delay_alu instid0(VALU_DEP_1) | instskip(NEXT) | instid1(VALU_DEP_1)
	v_lshl_add_u32 v0, v33, 23, v0
	v_lshl_or_b32 v0, v34, 21, v0
                                        ; implicit-def: $vgpr34
	s_delay_alu instid0(VALU_DEP_1)
	v_add_nc_u32_e32 v33, 0x38000000, v0
.LBB6_4842:                             ;   in Loop: Header=BB6_4231 Depth=2
	s_and_not1_saveexec_b32 s47, s47
; %bb.4843:                             ;   in Loop: Header=BB6_4231 Depth=2
	v_cmp_lt_i32_e32 vcc_lo, -1, v12
	v_cndmask_b32_e32 v0, 0xff800000, v51, vcc_lo
	v_cmp_eq_u32_e32 vcc_lo, 0, v34
	s_delay_alu instid0(VALU_DEP_2)
	v_cndmask_b32_e32 v33, 0x7f800001, v0, vcc_lo
; %bb.4844:                             ;   in Loop: Header=BB6_4231 Depth=2
	s_or_b32 exec_lo, exec_lo, s47
.LBB6_4845:                             ;   in Loop: Header=BB6_4231 Depth=2
	s_delay_alu instid0(SALU_CYCLE_1)
	s_or_b32 exec_lo, exec_lo, s15
.LBB6_4846:                             ;   in Loop: Header=BB6_4231 Depth=2
	s_delay_alu instid0(SALU_CYCLE_1) | instskip(SKIP_1) | instid1(VALU_DEP_1)
	s_or_b32 exec_lo, exec_lo, s46
	v_dual_cndmask_b32 v0, v4, v7, s14 :: v_dual_cndmask_b32 v1, v1, v24, s14
	v_lshl_add_u32 v0, v0, 23, v5
	s_delay_alu instid0(VALU_DEP_1) | instskip(NEXT) | instid1(VALU_DEP_1)
	v_lshl_or_b32 v0, v1, 21, v0
	v_dual_max_num_f32 v1, v33, v33 :: v_dual_cndmask_b32 v0, v0, v6, s13
	s_delay_alu instid0(VALU_DEP_1) | instskip(NEXT) | instid1(VALU_DEP_1)
	v_cndmask_b32_e64 v0, v0, 0x80000000, s12
	v_cndmask_b32_e64 v0, v0, 0, s11
	s_delay_alu instid0(VALU_DEP_1) | instskip(NEXT) | instid1(VALU_DEP_1)
	v_max_num_f32_e32 v0, v0, v0
	v_min_num_f32_e32 v34, v1, v0
.LBB6_4847:                             ;   in Loop: Header=BB6_4231 Depth=2
	s_delay_alu instid0(VALU_DEP_1) | instskip(SKIP_2) | instid1(VALU_DEP_2)
	v_and_b32_e32 v0, 0x7f800000, v34
	v_mov_b32_e32 v1, v25
	v_and_b32_e32 v24, 0x7fffff, v34
                                        ; implicit-def: $vgpr33
	v_cmp_ne_u64_e32 vcc_lo, 0x7f800000, v[0:1]
	v_lshrrev_b32_e32 v0, 24, v34
	s_and_saveexec_b32 s11, vcc_lo
	s_delay_alu instid0(SALU_CYCLE_1)
	s_xor_b32 s12, exec_lo, s11
	s_cbranch_execz .LBB6_4861
; %bb.4848:                             ;   in Loop: Header=BB6_4231 Depth=2
	v_and_b32_e32 v4, 0x7fffffff, v34
	v_mov_b32_e32 v5, v25
	v_and_b32_e32 v6, 0x80, v0
                                        ; implicit-def: $vgpr33
	s_mov_b32 s11, exec_lo
	s_delay_alu instid0(VALU_DEP_2)
	v_cmpx_gt_u64_e32 0x47600001, v[4:5]
	s_xor_b32 s13, exec_lo, s11
	s_cbranch_execz .LBB6_4858
; %bb.4849:                             ;   in Loop: Header=BB6_4231 Depth=2
	v_mov_b32_e32 v33, 0
	s_mov_b32 s14, exec_lo
	v_cmpx_ne_u32_e32 0, v34
	s_cbranch_execz .LBB6_4857
; %bb.4850:                             ;   in Loop: Header=BB6_4231 Depth=2
	v_bfe_u32 v7, v34, 23, 8
	v_or_b32_e32 v4, 0x800000, v24
	s_delay_alu instid0(VALU_DEP_2) | instskip(SKIP_1) | instid1(VALU_DEP_2)
	v_sub_nc_u32_e32 v0, 0x71, v7
	v_cmp_gt_u32_e32 vcc_lo, 0x72, v7
	v_cndmask_b32_e32 v0, 0, v0, vcc_lo
	v_cmp_eq_u32_e32 vcc_lo, 0, v7
	s_delay_alu instid0(VALU_DEP_2) | instskip(NEXT) | instid1(VALU_DEP_1)
	v_cndmask_b32_e64 v33, v0, 0x70, vcc_lo
	v_dual_cndmask_b32 v24, v4, v24, vcc_lo :: v_dual_add_nc_u32 v0, 21, v33
	v_add_nc_u32_e32 v5, 20, v33
	s_delay_alu instid0(VALU_DEP_2) | instskip(NEXT) | instid1(VALU_DEP_2)
	v_lshlrev_b64_e64 v[0:1], v0, -1
	v_lshlrev_b64_e64 v[4:5], v5, 1
	s_delay_alu instid0(VALU_DEP_2) | instskip(NEXT) | instid1(VALU_DEP_3)
	v_bfi_b32 v35, v1, 0, 0
	v_bfi_b32 v34, v0, 0, v24
	v_lshrrev_b64 v[0:1], v33, v[24:25]
	s_delay_alu instid0(VALU_DEP_2) | instskip(NEXT) | instid1(VALU_DEP_2)
	v_cmp_eq_u64_e64 s11, v[34:35], v[4:5]
	v_mov_b64_e32 v[4:5], v[0:1]
	s_and_saveexec_b32 s15, s11
; %bb.4851:                             ;   in Loop: Header=BB6_4231 Depth=2
	v_bfe_u32 v24, v0, 21, 1
	s_delay_alu instid0(VALU_DEP_1) | instskip(NEXT) | instid1(VALU_DEP_1)
	v_add_nc_u64_e32 v[4:5], v[0:1], v[24:25]
	v_add_nc_u64_e32 v[4:5], -1, v[4:5]
; %bb.4852:                             ;   in Loop: Header=BB6_4231 Depth=2
	s_or_b32 exec_lo, exec_lo, s15
	v_add_nc_u32_e32 v1, 0xffffff81, v7
	v_lshrrev_b32_e32 v5, 23, v0
	s_mov_b32 s11, exec_lo
	s_delay_alu instid0(VALU_DEP_2) | instskip(NEXT) | instid1(VALU_DEP_1)
	v_cndmask_b32_e64 v1, v1, 0xffffff82, vcc_lo
	v_add3_u32 v5, v33, v1, v5
	v_and_b32_e32 v1, 0x1fffff, v4
                                        ; implicit-def: $vgpr4
	s_delay_alu instid0(VALU_DEP_1) | instskip(NEXT) | instid1(VALU_DEP_1)
	v_dual_add_nc_u32 v7, 14, v5 :: v_dual_add_nc_u32 v24, v1, v0
                                        ; implicit-def: $vgpr0_vgpr1
	v_cmpx_ne_u32_e32 0, v7
	s_xor_b32 s11, exec_lo, s11
; %bb.4853:                             ;   in Loop: Header=BB6_4231 Depth=2
	s_delay_alu instid0(VALU_DEP_2) | instskip(SKIP_1) | instid1(VALU_DEP_1)
	v_cmp_lt_u64_e32 vcc_lo, 0xffffff, v[24:25]
	v_add_nc_u32_e32 v0, 15, v5
	v_cndmask_b32_e32 v4, v7, v0, vcc_lo
	v_cndmask_b32_e64 v0, 0, 1, vcc_lo
	s_delay_alu instid0(VALU_DEP_1)
	v_lshrrev_b64 v[0:1], v0, v[24:25]
; %bb.4854:                             ;   in Loop: Header=BB6_4231 Depth=2
	s_and_not1_saveexec_b32 s11, s11
; %bb.4855:                             ;   in Loop: Header=BB6_4231 Depth=2
	v_mov_b64_e32 v[0:1], v[24:25]
	v_bfe_u32 v4, v24, 23, 1
; %bb.4856:                             ;   in Loop: Header=BB6_4231 Depth=2
	s_or_b32 exec_lo, exec_lo, s11
	s_delay_alu instid0(VALU_DEP_2) | instskip(NEXT) | instid1(VALU_DEP_2)
	v_lshrrev_b64 v[0:1], 21, v[0:1]
	v_cmp_gt_i32_e32 vcc_lo, 32, v4
	v_min_i32_e32 v5, 31, v4
	v_cmp_eq_u32_e64 s11, 0, v4
	s_delay_alu instid0(VALU_DEP_4) | instskip(NEXT) | instid1(VALU_DEP_3)
	v_cndmask_b32_e32 v1, 0, v1, vcc_lo
	v_dual_cndmask_b32 v0, 3, v0 :: v_dual_lshlrev_b32 v5, 2, v5
	s_delay_alu instid0(VALU_DEP_1) | instskip(NEXT) | instid1(VALU_DEP_2)
	v_and_b32_e32 v5, 0xfc, v5
	v_cmp_eq_u64_e32 vcc_lo, 0, v[0:1]
	s_delay_alu instid0(VALU_DEP_2)
	v_and_or_b32 v0, v0, 3, v5
	s_and_b32 s11, s11, vcc_lo
	s_delay_alu instid0(VALU_DEP_1) | instid1(SALU_CYCLE_1)
	v_cndmask_b32_e64 v0, v0, 0, s11
	s_delay_alu instid0(VALU_DEP_1)
	v_or_b32_e32 v33, v0, v6
.LBB6_4857:                             ;   in Loop: Header=BB6_4231 Depth=2
	s_or_b32 exec_lo, exec_lo, s14
                                        ; implicit-def: $vgpr6
.LBB6_4858:                             ;   in Loop: Header=BB6_4231 Depth=2
	s_and_not1_saveexec_b32 s11, s13
; %bb.4859:                             ;   in Loop: Header=BB6_4231 Depth=2
	v_or_b32_e32 v33, 0x7b, v6
; %bb.4860:                             ;   in Loop: Header=BB6_4231 Depth=2
	s_or_b32 exec_lo, exec_lo, s11
                                        ; implicit-def: $vgpr34
                                        ; implicit-def: $vgpr0
.LBB6_4861:                             ;   in Loop: Header=BB6_4231 Depth=2
	s_and_not1_saveexec_b32 s11, s12
	s_cbranch_execz .LBB6_4867
; %bb.4862:                             ;   in Loop: Header=BB6_4231 Depth=2
	s_mov_b32 s12, exec_lo
                                        ; implicit-def: $vgpr33
	v_cmpx_ne_u64_e32 0, v[24:25]
	s_xor_b32 s12, exec_lo, s12
; %bb.4863:                             ;   in Loop: Header=BB6_4231 Depth=2
	v_or_b32_e32 v33, 0x7f, v0
                                        ; implicit-def: $vgpr34
; %bb.4864:                             ;   in Loop: Header=BB6_4231 Depth=2
	s_and_not1_saveexec_b32 s12, s12
; %bb.4865:                             ;   in Loop: Header=BB6_4231 Depth=2
	v_cmp_lt_i32_e32 vcc_lo, -1, v34
	v_cndmask_b32_e32 v33, 0xfc, v93, vcc_lo
; %bb.4866:                             ;   in Loop: Header=BB6_4231 Depth=2
	s_or_b32 exec_lo, exec_lo, s12
.LBB6_4867:                             ;   in Loop: Header=BB6_4231 Depth=2
	s_delay_alu instid0(SALU_CYCLE_1) | instskip(SKIP_3) | instid1(VALU_DEP_3)
	s_or_b32 exec_lo, exec_lo, s11
	v_dual_mov_b32 v24, v13 :: v_dual_bitop2_b32 v4, 3, v17 bitop3:0x40
	v_bfe_i32 v35, v17, 0, 8
	v_dual_mov_b32 v0, v17 :: v_dual_mov_b32 v1, v25
	v_clz_i32_u32_e32 v5, v4
	v_and_b32_e32 v6, 0x7c, v17
	s_delay_alu instid0(VALU_DEP_4)
	v_cmp_lt_i16_e32 vcc_lo, -1, v35
	v_and_b32_e32 v36, 0xff, v13
	s_mov_b32 s14, -1
	v_min_u32_e32 v7, 32, v5
	v_bfe_u32 v5, v17, 2, 5
	v_lshlrev_b32_e32 v34, 24, v17
	v_cmp_eq_u32_e64 s11, 0x7c, v6
	v_cndmask_b32_e32 v6, 0xff800000, v51, vcc_lo
	v_subrev_nc_u32_e32 v37, 29, v7
	v_cmp_eq_u32_e32 vcc_lo, 0, v4
	v_cmp_eq_u32_e64 s12, 0, v5
	v_cmp_ne_u16_e64 s13, 0, v36
	v_sub_nc_u32_e32 v7, 30, v7
	v_lshlrev_b64_e32 v[38:39], v37, v[0:1]
	v_and_or_b32 v1, 0x80000000, v34, s28
	v_cndmask_b32_e32 v6, 0x7f800001, v6, vcc_lo
	s_and_b32 vcc_lo, exec_lo, s45
                                        ; implicit-def: $vgpr37
	s_delay_alu instid0(VALU_DEP_3)
	v_and_b32_e32 v34, 3, v38
	s_cbranch_vccz .LBB6_4885
; %bb.4868:                             ;   in Loop: Header=BB6_4231 Depth=2
	v_mov_b32_e32 v37, 0
	s_and_saveexec_b32 s14, s13
	s_cbranch_execz .LBB6_4878
; %bb.4869:                             ;   in Loop: Header=BB6_4231 Depth=2
	v_bfrev_b32_e32 v37, 1
	s_mov_b32 s15, exec_lo
	v_cmpx_ne_u16_e32 0x80, v36
	s_cbranch_execz .LBB6_4877
; %bb.4870:                             ;   in Loop: Header=BB6_4231 Depth=2
	v_and_b32_e32 v37, 0x7c, v13
	v_and_b32_e32 v38, 3, v13
	s_delay_alu instid0(VALU_DEP_2) | instskip(SKIP_1) | instid1(SALU_CYCLE_1)
	v_cmp_ne_u32_e32 vcc_lo, 0x7c, v37
                                        ; implicit-def: $vgpr37
	s_and_saveexec_b32 s46, vcc_lo
	s_xor_b32 s46, exec_lo, s46
	s_cbranch_execz .LBB6_4874
; %bb.4871:                             ;   in Loop: Header=BB6_4231 Depth=2
	v_bfe_u32 v37, v13, 2, 5
	s_mov_b32 s47, exec_lo
	s_delay_alu instid0(VALU_DEP_1)
	v_cmpx_eq_u32_e32 0, v37
; %bb.4872:                             ;   in Loop: Header=BB6_4231 Depth=2
	v_clz_i32_u32_e32 v37, v38
	s_delay_alu instid0(VALU_DEP_1) | instskip(NEXT) | instid1(VALU_DEP_1)
	v_min_u32_e32 v37, 32, v37
	v_subrev_nc_u32_e32 v38, 29, v37
	s_delay_alu instid0(VALU_DEP_1) | instskip(NEXT) | instid1(VALU_DEP_1)
	v_lshlrev_b64_e32 v[38:39], v38, v[24:25]
	v_dual_sub_nc_u32 v37, 30, v37 :: v_dual_bitop2_b32 v38, 3, v38 bitop3:0x40
; %bb.4873:                             ;   in Loop: Header=BB6_4231 Depth=2
	s_or_b32 exec_lo, exec_lo, s47
	v_lshlrev_b32_e32 v39, 24, v13
	s_delay_alu instid0(VALU_DEP_1) | instskip(NEXT) | instid1(VALU_DEP_1)
	v_and_b32_e32 v39, 0x80000000, v39
	v_lshl_add_u32 v37, v37, 23, v39
	s_delay_alu instid0(VALU_DEP_1) | instskip(NEXT) | instid1(VALU_DEP_1)
	v_lshl_or_b32 v37, v38, 21, v37
                                        ; implicit-def: $vgpr38
	v_add_nc_u32_e32 v37, 0x38000000, v37
.LBB6_4874:                             ;   in Loop: Header=BB6_4231 Depth=2
	s_and_not1_saveexec_b32 s46, s46
; %bb.4875:                             ;   in Loop: Header=BB6_4231 Depth=2
	v_bfe_i32 v37, v13, 0, 8
	s_delay_alu instid0(VALU_DEP_1) | instskip(SKIP_2) | instid1(VALU_DEP_2)
	v_cmp_lt_i16_e32 vcc_lo, -1, v37
	v_cndmask_b32_e32 v37, 0xff800000, v51, vcc_lo
	v_cmp_eq_u32_e32 vcc_lo, 0, v38
	v_cndmask_b32_e32 v37, 0x7f800001, v37, vcc_lo
; %bb.4876:                             ;   in Loop: Header=BB6_4231 Depth=2
	s_or_b32 exec_lo, exec_lo, s46
.LBB6_4877:                             ;   in Loop: Header=BB6_4231 Depth=2
	s_delay_alu instid0(SALU_CYCLE_1)
	s_or_b32 exec_lo, exec_lo, s15
.LBB6_4878:                             ;   in Loop: Header=BB6_4231 Depth=2
	s_delay_alu instid0(SALU_CYCLE_1) | instskip(SKIP_3) | instid1(VALU_DEP_1)
	s_or_b32 exec_lo, exec_lo, s14
	v_and_b32_e32 v39, 0xff, v35
	s_mov_b32 s14, 0
	s_mov_b32 s15, exec_lo
	v_cmpx_lt_i16_e32 0x7f, v39
	s_xor_b32 s15, exec_lo, s15
	s_cbranch_execz .LBB6_5114
; %bb.4879:                             ;   in Loop: Header=BB6_4231 Depth=2
	s_mov_b32 s14, -1
	s_mov_b32 s46, exec_lo
	v_cmpx_eq_u16_e32 0x80, v39
; %bb.4880:                             ;   in Loop: Header=BB6_4231 Depth=2
	s_xor_b32 s14, exec_lo, -1
; %bb.4881:                             ;   in Loop: Header=BB6_4231 Depth=2
	s_or_b32 exec_lo, exec_lo, s46
	s_delay_alu instid0(SALU_CYCLE_1)
	s_and_b32 s14, s14, exec_lo
                                        ; implicit-def: $vgpr39
	s_or_saveexec_b32 s15, s15
	v_bfrev_b32_e32 v38, 1
	s_xor_b32 exec_lo, exec_lo, s15
	s_cbranch_execnz .LBB6_5115
.LBB6_4882:                             ;   in Loop: Header=BB6_4231 Depth=2
	s_or_b32 exec_lo, exec_lo, s15
	s_and_saveexec_b32 s15, s14
.LBB6_4883:                             ;   in Loop: Header=BB6_4231 Depth=2
	v_dual_cndmask_b32 v38, v5, v7, s12 :: v_dual_cndmask_b32 v39, v4, v34, s12
	s_delay_alu instid0(VALU_DEP_1) | instskip(NEXT) | instid1(VALU_DEP_1)
	v_lshl_add_u32 v38, v38, 23, v1
	v_lshl_or_b32 v38, v39, 21, v38
	s_delay_alu instid0(VALU_DEP_1)
	v_cndmask_b32_e64 v38, v38, v6, s11
.LBB6_4884:                             ;   in Loop: Header=BB6_4231 Depth=2
	s_or_b32 exec_lo, exec_lo, s15
	s_delay_alu instid0(VALU_DEP_1) | instskip(SKIP_1) | instid1(VALU_DEP_1)
	v_dual_max_num_f32 v38, v38, v38 :: v_dual_max_num_f32 v37, v37, v37
	s_mov_b32 s14, 0
	v_max_num_f32_e32 v37, v37, v38
.LBB6_4885:                             ;   in Loop: Header=BB6_4231 Depth=2
	s_and_b32 vcc_lo, exec_lo, s14
	s_cbranch_vccz .LBB6_4903
; %bb.4886:                             ;   in Loop: Header=BB6_4231 Depth=2
	v_mov_b32_e32 v37, 0
	s_and_saveexec_b32 s14, s13
	s_cbranch_execz .LBB6_4896
; %bb.4887:                             ;   in Loop: Header=BB6_4231 Depth=2
	v_bfrev_b32_e32 v37, 1
	s_mov_b32 s13, exec_lo
	v_cmpx_ne_u16_e32 0x80, v36
	s_cbranch_execz .LBB6_4895
; %bb.4888:                             ;   in Loop: Header=BB6_4231 Depth=2
	v_and_b32_e32 v37, 0x7c, v13
	v_and_b32_e32 v36, 3, v13
	s_delay_alu instid0(VALU_DEP_2) | instskip(SKIP_1) | instid1(SALU_CYCLE_1)
	v_cmp_ne_u32_e32 vcc_lo, 0x7c, v37
                                        ; implicit-def: $vgpr37
	s_and_saveexec_b32 s15, vcc_lo
	s_xor_b32 s15, exec_lo, s15
	s_cbranch_execz .LBB6_4892
; %bb.4889:                             ;   in Loop: Header=BB6_4231 Depth=2
	v_bfe_u32 v37, v13, 2, 5
	s_mov_b32 s46, exec_lo
	s_delay_alu instid0(VALU_DEP_1)
	v_cmpx_eq_u32_e32 0, v37
; %bb.4890:                             ;   in Loop: Header=BB6_4231 Depth=2
	v_clz_i32_u32_e32 v36, v36
	s_delay_alu instid0(VALU_DEP_1) | instskip(NEXT) | instid1(VALU_DEP_1)
	v_min_u32_e32 v38, 32, v36
	v_subrev_nc_u32_e32 v36, 29, v38
	s_delay_alu instid0(VALU_DEP_1) | instskip(NEXT) | instid1(VALU_DEP_1)
	v_lshlrev_b64_e32 v[36:37], v36, v[24:25]
	v_dual_sub_nc_u32 v37, 30, v38 :: v_dual_bitop2_b32 v36, 3, v36 bitop3:0x40
; %bb.4891:                             ;   in Loop: Header=BB6_4231 Depth=2
	s_or_b32 exec_lo, exec_lo, s46
	v_lshlrev_b32_e32 v38, 24, v13
	s_delay_alu instid0(VALU_DEP_1) | instskip(NEXT) | instid1(VALU_DEP_1)
	v_and_b32_e32 v38, 0x80000000, v38
	v_lshl_add_u32 v37, v37, 23, v38
	s_delay_alu instid0(VALU_DEP_1) | instskip(NEXT) | instid1(VALU_DEP_1)
	v_lshl_or_b32 v36, v36, 21, v37
	v_add_nc_u32_e32 v37, 0x38000000, v36
                                        ; implicit-def: $vgpr36
.LBB6_4892:                             ;   in Loop: Header=BB6_4231 Depth=2
	s_and_not1_saveexec_b32 s15, s15
; %bb.4893:                             ;   in Loop: Header=BB6_4231 Depth=2
	v_bfe_i32 v37, v13, 0, 8
	s_delay_alu instid0(VALU_DEP_1) | instskip(SKIP_2) | instid1(VALU_DEP_2)
	v_cmp_lt_i16_e32 vcc_lo, -1, v37
	v_cndmask_b32_e32 v37, 0xff800000, v51, vcc_lo
	v_cmp_eq_u32_e32 vcc_lo, 0, v36
	v_cndmask_b32_e32 v37, 0x7f800001, v37, vcc_lo
; %bb.4894:                             ;   in Loop: Header=BB6_4231 Depth=2
	s_or_b32 exec_lo, exec_lo, s15
.LBB6_4895:                             ;   in Loop: Header=BB6_4231 Depth=2
	s_delay_alu instid0(SALU_CYCLE_1)
	s_or_b32 exec_lo, exec_lo, s13
.LBB6_4896:                             ;   in Loop: Header=BB6_4231 Depth=2
	s_delay_alu instid0(SALU_CYCLE_1) | instskip(SKIP_3) | instid1(VALU_DEP_1)
	s_or_b32 exec_lo, exec_lo, s14
	v_and_b32_e32 v36, 0xff, v35
	s_mov_b32 s13, 0
	s_mov_b32 s14, exec_lo
	v_cmpx_lt_i16_e32 0x7f, v36
	s_xor_b32 s14, exec_lo, s14
	s_cbranch_execz .LBB6_5116
; %bb.4897:                             ;   in Loop: Header=BB6_4231 Depth=2
	s_mov_b32 s13, -1
	s_mov_b32 s15, exec_lo
	v_cmpx_eq_u16_e32 0x80, v36
; %bb.4898:                             ;   in Loop: Header=BB6_4231 Depth=2
	s_xor_b32 s13, exec_lo, -1
; %bb.4899:                             ;   in Loop: Header=BB6_4231 Depth=2
	s_or_b32 exec_lo, exec_lo, s15
	s_delay_alu instid0(SALU_CYCLE_1)
	s_and_b32 s13, s13, exec_lo
                                        ; implicit-def: $vgpr36
	s_or_saveexec_b32 s14, s14
	v_bfrev_b32_e32 v35, 1
	s_xor_b32 exec_lo, exec_lo, s14
	s_cbranch_execnz .LBB6_5117
.LBB6_4900:                             ;   in Loop: Header=BB6_4231 Depth=2
	s_or_b32 exec_lo, exec_lo, s14
	s_and_saveexec_b32 s14, s13
.LBB6_4901:                             ;   in Loop: Header=BB6_4231 Depth=2
	v_dual_cndmask_b32 v5, v5, v7, s12 :: v_dual_cndmask_b32 v4, v4, v34, s12
	s_delay_alu instid0(VALU_DEP_1) | instskip(NEXT) | instid1(VALU_DEP_1)
	v_lshl_add_u32 v1, v5, 23, v1
	v_lshl_or_b32 v1, v4, 21, v1
	s_delay_alu instid0(VALU_DEP_1)
	v_cndmask_b32_e64 v35, v1, v6, s11
.LBB6_4902:                             ;   in Loop: Header=BB6_4231 Depth=2
	s_or_b32 exec_lo, exec_lo, s14
	s_delay_alu instid0(VALU_DEP_1) | instskip(NEXT) | instid1(VALU_DEP_1)
	v_dual_max_num_f32 v1, v35, v35 :: v_dual_max_num_f32 v4, v37, v37
	v_min_num_f32_e32 v37, v4, v1
.LBB6_4903:                             ;   in Loop: Header=BB6_4231 Depth=2
	s_delay_alu instid0(VALU_DEP_1) | instskip(SKIP_4) | instid1(VALU_DEP_3)
	v_and_b32_e32 v6, 0x7f800000, v37
	v_dual_mov_b32 v7, v25 :: v_dual_mov_b32 v5, v25
	v_and_b32_e32 v4, 0x7fffff, v37
	v_lshrrev_b32_e32 v1, 24, v37
                                        ; implicit-def: $vgpr34
	s_mov_b32 s11, exec_lo
	v_cmpx_ne_u64_e32 0x7f800000, v[6:7]
	s_xor_b32 s12, exec_lo, s11
	s_cbranch_execz .LBB6_4917
; %bb.4904:                             ;   in Loop: Header=BB6_4231 Depth=2
	v_and_b32_e32 v6, 0x7fffffff, v37
	v_mov_b32_e32 v7, v25
	v_and_b32_e32 v1, 0x80, v1
                                        ; implicit-def: $vgpr34
	s_mov_b32 s11, exec_lo
	s_delay_alu instid0(VALU_DEP_2)
	v_cmpx_gt_u64_e32 0x47600001, v[6:7]
	s_xor_b32 s13, exec_lo, s11
	s_cbranch_execz .LBB6_4914
; %bb.4905:                             ;   in Loop: Header=BB6_4231 Depth=2
	v_mov_b32_e32 v34, 0
	s_mov_b32 s14, exec_lo
	v_cmpx_ne_u32_e32 0, v37
	s_cbranch_execz .LBB6_4913
; %bb.4906:                             ;   in Loop: Header=BB6_4231 Depth=2
	v_bfe_u32 v34, v37, 23, 8
	v_or_b32_e32 v36, 0x800000, v4
	s_delay_alu instid0(VALU_DEP_2) | instskip(SKIP_1) | instid1(VALU_DEP_2)
	v_sub_nc_u32_e32 v6, 0x71, v34
	v_cmp_gt_u32_e32 vcc_lo, 0x72, v34
	v_cndmask_b32_e32 v6, 0, v6, vcc_lo
	v_cmp_eq_u32_e32 vcc_lo, 0, v34
	s_delay_alu instid0(VALU_DEP_2) | instskip(NEXT) | instid1(VALU_DEP_1)
	v_cndmask_b32_e64 v35, v6, 0x70, vcc_lo
	v_dual_cndmask_b32 v4, v36, v4, vcc_lo :: v_dual_add_nc_u32 v6, 21, v35
	v_add_nc_u32_e32 v37, 20, v35
	s_delay_alu instid0(VALU_DEP_2) | instskip(NEXT) | instid1(VALU_DEP_2)
	v_lshlrev_b64_e64 v[6:7], v6, -1
	v_lshlrev_b64_e64 v[36:37], v37, 1
	s_delay_alu instid0(VALU_DEP_2) | instskip(SKIP_1) | instid1(VALU_DEP_4)
	v_bfi_b32 v6, v6, 0, v4
	v_lshrrev_b64 v[4:5], v35, v[4:5]
	v_bfi_b32 v7, v7, 0, 0
	s_delay_alu instid0(VALU_DEP_1) | instskip(NEXT) | instid1(VALU_DEP_3)
	v_cmp_eq_u64_e64 s11, v[6:7], v[36:37]
	v_mov_b64_e32 v[6:7], v[4:5]
	s_and_saveexec_b32 s15, s11
; %bb.4907:                             ;   in Loop: Header=BB6_4231 Depth=2
	v_bfe_u32 v6, v4, 21, 1
	v_mov_b32_e32 v7, v25
	s_delay_alu instid0(VALU_DEP_1) | instskip(NEXT) | instid1(VALU_DEP_1)
	v_add_nc_u64_e32 v[6:7], v[4:5], v[6:7]
	v_add_nc_u64_e32 v[6:7], -1, v[6:7]
; %bb.4908:                             ;   in Loop: Header=BB6_4231 Depth=2
	s_or_b32 exec_lo, exec_lo, s15
	v_add_nc_u32_e32 v5, 0xffffff81, v34
	v_lshrrev_b32_e32 v7, 23, v4
	s_mov_b32 s11, exec_lo
	s_delay_alu instid0(VALU_DEP_2) | instskip(NEXT) | instid1(VALU_DEP_1)
	v_cndmask_b32_e64 v5, v5, 0xffffff82, vcc_lo
	v_add3_u32 v7, v35, v5, v7
	v_and_b32_e32 v5, 0x1fffff, v6
                                        ; implicit-def: $vgpr6
	s_delay_alu instid0(VALU_DEP_1) | instskip(SKIP_1) | instid1(VALU_DEP_2)
	v_dual_add_nc_u32 v34, 14, v7 :: v_dual_add_nc_u32 v4, v5, v4
	v_mov_b32_e32 v5, v25
	v_cmpx_ne_u32_e32 0, v34
	s_xor_b32 s11, exec_lo, s11
; %bb.4909:                             ;   in Loop: Header=BB6_4231 Depth=2
	s_delay_alu instid0(VALU_DEP_2) | instskip(SKIP_2) | instid1(VALU_DEP_2)
	v_cmp_lt_u64_e32 vcc_lo, 0xffffff, v[4:5]
	v_add_nc_u32_e32 v6, 15, v7
	v_cndmask_b32_e64 v7, 0, 1, vcc_lo
	v_cndmask_b32_e32 v6, v34, v6, vcc_lo
	s_delay_alu instid0(VALU_DEP_2)
	v_lshrrev_b64 v[4:5], v7, v[4:5]
; %bb.4910:                             ;   in Loop: Header=BB6_4231 Depth=2
	s_and_not1_saveexec_b32 s11, s11
; %bb.4911:                             ;   in Loop: Header=BB6_4231 Depth=2
	s_delay_alu instid0(VALU_DEP_1)
	v_bfe_u32 v6, v4, 23, 1
; %bb.4912:                             ;   in Loop: Header=BB6_4231 Depth=2
	s_or_b32 exec_lo, exec_lo, s11
	s_delay_alu instid0(VALU_DEP_2) | instskip(NEXT) | instid1(VALU_DEP_2)
	v_lshrrev_b64 v[4:5], 21, v[4:5]
	v_cmp_gt_i32_e32 vcc_lo, 32, v6
	v_min_i32_e32 v7, 31, v6
	v_cmp_eq_u32_e64 s11, 0, v6
	s_delay_alu instid0(VALU_DEP_2) | instskip(SKIP_1) | instid1(VALU_DEP_2)
	v_dual_cndmask_b32 v5, 0, v5, vcc_lo :: v_dual_lshlrev_b32 v7, 2, v7
	v_cndmask_b32_e32 v4, 3, v4, vcc_lo
	v_and_b32_e32 v7, 0xfc, v7
	s_delay_alu instid0(VALU_DEP_2) | instskip(NEXT) | instid1(VALU_DEP_2)
	v_cmp_eq_u64_e32 vcc_lo, 0, v[4:5]
	v_and_or_b32 v4, v4, 3, v7
	s_and_b32 s11, s11, vcc_lo
	s_delay_alu instid0(VALU_DEP_1) | instid1(SALU_CYCLE_1)
	v_cndmask_b32_e64 v4, v4, 0, s11
	s_delay_alu instid0(VALU_DEP_1)
	v_or_b32_e32 v34, v4, v1
.LBB6_4913:                             ;   in Loop: Header=BB6_4231 Depth=2
	s_or_b32 exec_lo, exec_lo, s14
                                        ; implicit-def: $vgpr1
.LBB6_4914:                             ;   in Loop: Header=BB6_4231 Depth=2
	s_and_not1_saveexec_b32 s11, s13
; %bb.4915:                             ;   in Loop: Header=BB6_4231 Depth=2
	v_or_b32_e32 v34, 0x7b, v1
; %bb.4916:                             ;   in Loop: Header=BB6_4231 Depth=2
	s_or_b32 exec_lo, exec_lo, s11
                                        ; implicit-def: $vgpr37
                                        ; implicit-def: $vgpr4_vgpr5
                                        ; implicit-def: $vgpr1
.LBB6_4917:                             ;   in Loop: Header=BB6_4231 Depth=2
	s_and_not1_saveexec_b32 s11, s12
	s_cbranch_execz .LBB6_4923
; %bb.4918:                             ;   in Loop: Header=BB6_4231 Depth=2
	s_mov_b32 s12, exec_lo
                                        ; implicit-def: $vgpr34
	v_cmpx_ne_u64_e32 0, v[4:5]
	s_xor_b32 s12, exec_lo, s12
; %bb.4919:                             ;   in Loop: Header=BB6_4231 Depth=2
	v_or_b32_e32 v34, 0x7f, v1
                                        ; implicit-def: $vgpr37
; %bb.4920:                             ;   in Loop: Header=BB6_4231 Depth=2
	s_and_not1_saveexec_b32 s12, s12
; %bb.4921:                             ;   in Loop: Header=BB6_4231 Depth=2
	v_cmp_lt_i32_e32 vcc_lo, -1, v37
	v_cndmask_b32_e32 v34, 0xfc, v93, vcc_lo
; %bb.4922:                             ;   in Loop: Header=BB6_4231 Depth=2
	s_or_b32 exec_lo, exec_lo, s12
.LBB6_4923:                             ;   in Loop: Header=BB6_4231 Depth=2
	s_delay_alu instid0(SALU_CYCLE_1) | instskip(SKIP_4) | instid1(VALU_DEP_3)
	s_or_b32 exec_lo, exec_lo, s11
	v_lshrrev_b16 v4, 8, v0
	v_cmp_lt_i16_e32 vcc_lo, -1, v0
	v_lshrrev_b16 v6, 8, v24
	s_mov_b32 s14, -1
	v_and_b32_e32 v7, 0xffff, v4
	v_lshlrev_b32_e32 v37, 24, v4
	s_delay_alu instid0(VALU_DEP_3) | instskip(SKIP_1) | instid1(VALU_DEP_4)
	v_and_b32_e32 v38, 0xffff, v6
	v_cmp_ne_u16_e64 s13, 0, v6
	v_and_b32_e32 v1, 3, v7
	v_and_b32_e32 v50, 0x7c, v7
	v_bfe_u32 v0, v7, 2, 5
	s_delay_alu instid0(VALU_DEP_3) | instskip(NEXT) | instid1(VALU_DEP_3)
	v_clz_i32_u32_e32 v5, v1
	v_cmp_eq_u32_e64 s11, 0x7c, v50
	s_delay_alu instid0(VALU_DEP_3) | instskip(NEXT) | instid1(VALU_DEP_3)
	v_cmp_eq_u32_e64 s12, 0, v0
	v_min_u32_e32 v36, 32, v5
	v_mov_b32_e32 v5, v25
	v_cndmask_b32_e32 v35, 0xff800000, v51, vcc_lo
	v_cmp_eq_u32_e32 vcc_lo, 0, v1
	s_delay_alu instid0(VALU_DEP_4) | instskip(NEXT) | instid1(VALU_DEP_3)
	v_subrev_nc_u32_e32 v39, 29, v36
	v_dual_cndmask_b32 v35, 0x7f800001, v35 :: v_dual_sub_nc_u32 v36, 30, v36
	s_and_b32 vcc_lo, exec_lo, s45
	s_delay_alu instid0(VALU_DEP_2) | instskip(SKIP_1) | instid1(VALU_DEP_2)
	v_lshlrev_b64_e32 v[48:49], v39, v[4:5]
	v_and_or_b32 v5, 0x80000000, v37, s28
                                        ; implicit-def: $vgpr39
	v_and_b32_e32 v37, 3, v48
	s_cbranch_vccz .LBB6_4941
; %bb.4924:                             ;   in Loop: Header=BB6_4231 Depth=2
	v_mov_b32_e32 v7, 0
	s_and_saveexec_b32 s14, s13
	s_cbranch_execz .LBB6_4934
; %bb.4925:                             ;   in Loop: Header=BB6_4231 Depth=2
	v_bfrev_b32_e32 v7, 1
	s_mov_b32 s15, exec_lo
	v_cmpx_ne_u16_e32 0x80, v6
	s_cbranch_execz .LBB6_4933
; %bb.4926:                             ;   in Loop: Header=BB6_4231 Depth=2
	v_and_b32_e32 v7, 0x7c, v38
	v_and_b32_e32 v39, 3, v38
	s_delay_alu instid0(VALU_DEP_2) | instskip(SKIP_1) | instid1(SALU_CYCLE_1)
	v_cmp_ne_u32_e32 vcc_lo, 0x7c, v7
                                        ; implicit-def: $vgpr7
	s_and_saveexec_b32 s46, vcc_lo
	s_xor_b32 s46, exec_lo, s46
	s_cbranch_execz .LBB6_4930
; %bb.4927:                             ;   in Loop: Header=BB6_4231 Depth=2
	v_bfe_u32 v7, v38, 2, 5
	s_mov_b32 s47, exec_lo
	s_delay_alu instid0(VALU_DEP_1)
	v_cmpx_eq_u32_e32 0, v7
; %bb.4928:                             ;   in Loop: Header=BB6_4231 Depth=2
	v_clz_i32_u32_e32 v7, v39
	s_delay_alu instid0(VALU_DEP_1) | instskip(SKIP_1) | instid1(VALU_DEP_2)
	v_min_u32_e32 v39, 32, v7
	v_mov_b32_e32 v7, v25
	v_subrev_nc_u32_e32 v48, 29, v39
	s_delay_alu instid0(VALU_DEP_1) | instskip(NEXT) | instid1(VALU_DEP_1)
	v_lshlrev_b64_e32 v[48:49], v48, v[6:7]
	v_dual_sub_nc_u32 v7, 30, v39 :: v_dual_bitop2_b32 v39, 3, v48 bitop3:0x40
; %bb.4929:                             ;   in Loop: Header=BB6_4231 Depth=2
	s_or_b32 exec_lo, exec_lo, s47
	v_lshlrev_b32_e32 v48, 16, v24
	s_delay_alu instid0(VALU_DEP_1) | instskip(NEXT) | instid1(VALU_DEP_1)
	v_and_b32_e32 v48, 0x80000000, v48
	v_lshl_add_u32 v7, v7, 23, v48
	s_delay_alu instid0(VALU_DEP_1) | instskip(NEXT) | instid1(VALU_DEP_1)
	v_lshl_or_b32 v7, v39, 21, v7
                                        ; implicit-def: $vgpr39
	v_add_nc_u32_e32 v7, 0x38000000, v7
.LBB6_4930:                             ;   in Loop: Header=BB6_4231 Depth=2
	s_and_not1_saveexec_b32 s46, s46
; %bb.4931:                             ;   in Loop: Header=BB6_4231 Depth=2
	v_cmp_lt_i16_e32 vcc_lo, -1, v24
	v_cndmask_b32_e32 v7, 0xff800000, v51, vcc_lo
	v_cmp_eq_u32_e32 vcc_lo, 0, v39
	s_delay_alu instid0(VALU_DEP_2)
	v_cndmask_b32_e32 v7, 0x7f800001, v7, vcc_lo
; %bb.4932:                             ;   in Loop: Header=BB6_4231 Depth=2
	s_or_b32 exec_lo, exec_lo, s46
.LBB6_4933:                             ;   in Loop: Header=BB6_4231 Depth=2
	s_delay_alu instid0(SALU_CYCLE_1)
	s_or_b32 exec_lo, exec_lo, s15
.LBB6_4934:                             ;   in Loop: Header=BB6_4231 Depth=2
	s_delay_alu instid0(SALU_CYCLE_1)
	s_or_b32 exec_lo, exec_lo, s14
	s_mov_b32 s14, 0
	s_mov_b32 s15, exec_lo
	v_cmpx_lt_i16_e32 0x7f, v4
	s_xor_b32 s15, exec_lo, s15
	s_cbranch_execz .LBB6_5118
; %bb.4935:                             ;   in Loop: Header=BB6_4231 Depth=2
	s_mov_b32 s14, -1
	s_mov_b32 s46, exec_lo
	v_cmpx_eq_u16_e32 0x80, v4
; %bb.4936:                             ;   in Loop: Header=BB6_4231 Depth=2
	s_xor_b32 s14, exec_lo, -1
; %bb.4937:                             ;   in Loop: Header=BB6_4231 Depth=2
	s_or_b32 exec_lo, exec_lo, s46
	s_delay_alu instid0(SALU_CYCLE_1)
	s_and_b32 s14, s14, exec_lo
	s_or_saveexec_b32 s15, s15
	v_bfrev_b32_e32 v39, 1
	s_xor_b32 exec_lo, exec_lo, s15
	s_cbranch_execnz .LBB6_5119
.LBB6_4938:                             ;   in Loop: Header=BB6_4231 Depth=2
	s_or_b32 exec_lo, exec_lo, s15
	s_and_saveexec_b32 s15, s14
.LBB6_4939:                             ;   in Loop: Header=BB6_4231 Depth=2
	v_dual_cndmask_b32 v39, v0, v36, s12 :: v_dual_cndmask_b32 v48, v1, v37, s12
	s_delay_alu instid0(VALU_DEP_1) | instskip(NEXT) | instid1(VALU_DEP_1)
	v_lshl_add_u32 v39, v39, 23, v5
	v_lshl_or_b32 v39, v48, 21, v39
	s_delay_alu instid0(VALU_DEP_1)
	v_cndmask_b32_e64 v39, v39, v35, s11
.LBB6_4940:                             ;   in Loop: Header=BB6_4231 Depth=2
	s_or_b32 exec_lo, exec_lo, s15
	s_delay_alu instid0(VALU_DEP_1) | instskip(SKIP_2) | instid1(VALU_DEP_1)
	v_max_num_f32_e32 v39, v39, v39
	v_max_num_f32_e32 v7, v7, v7
	s_mov_b32 s14, 0
	v_max_num_f32_e32 v39, v7, v39
.LBB6_4941:                             ;   in Loop: Header=BB6_4231 Depth=2
	s_and_b32 vcc_lo, exec_lo, s14
	s_cbranch_vccz .LBB6_4959
; %bb.4942:                             ;   in Loop: Header=BB6_4231 Depth=2
	v_mov_b32_e32 v7, 0
	s_and_saveexec_b32 s14, s13
	s_cbranch_execz .LBB6_4952
; %bb.4943:                             ;   in Loop: Header=BB6_4231 Depth=2
	v_bfrev_b32_e32 v7, 1
	s_mov_b32 s13, exec_lo
	v_cmpx_ne_u16_e32 0x80, v6
	s_cbranch_execz .LBB6_4951
; %bb.4944:                             ;   in Loop: Header=BB6_4231 Depth=2
	v_and_b32_e32 v7, 0x7c, v38
	v_and_b32_e32 v39, 3, v38
	s_delay_alu instid0(VALU_DEP_2) | instskip(SKIP_1) | instid1(SALU_CYCLE_1)
	v_cmp_ne_u32_e32 vcc_lo, 0x7c, v7
                                        ; implicit-def: $vgpr7
	s_and_saveexec_b32 s15, vcc_lo
	s_xor_b32 s15, exec_lo, s15
	s_cbranch_execz .LBB6_4948
; %bb.4945:                             ;   in Loop: Header=BB6_4231 Depth=2
	v_bfe_u32 v7, v38, 2, 5
	s_mov_b32 s46, exec_lo
	s_delay_alu instid0(VALU_DEP_1)
	v_cmpx_eq_u32_e32 0, v7
	s_cbranch_execz .LBB6_4947
; %bb.4946:                             ;   in Loop: Header=BB6_4231 Depth=2
	v_clz_i32_u32_e32 v7, v39
	s_delay_alu instid0(VALU_DEP_1) | instskip(SKIP_1) | instid1(VALU_DEP_2)
	v_min_u32_e32 v38, 32, v7
	v_mov_b32_e32 v7, v25
	v_subrev_nc_u32_e32 v39, 29, v38
	s_delay_alu instid0(VALU_DEP_1) | instskip(SKIP_1) | instid1(VALU_DEP_2)
	v_lshlrev_b64_e32 v[6:7], v39, v[6:7]
	v_sub_nc_u32_e32 v7, 30, v38
	v_and_b32_e32 v39, 3, v6
.LBB6_4947:                             ;   in Loop: Header=BB6_4231 Depth=2
	s_or_b32 exec_lo, exec_lo, s46
	v_lshlrev_b32_e32 v6, 16, v24
	s_delay_alu instid0(VALU_DEP_1) | instskip(NEXT) | instid1(VALU_DEP_1)
	v_and_b32_e32 v6, 0x80000000, v6
	v_lshl_add_u32 v6, v7, 23, v6
	s_delay_alu instid0(VALU_DEP_1) | instskip(NEXT) | instid1(VALU_DEP_1)
	v_lshl_or_b32 v6, v39, 21, v6
                                        ; implicit-def: $vgpr39
	v_add_nc_u32_e32 v7, 0x38000000, v6
.LBB6_4948:                             ;   in Loop: Header=BB6_4231 Depth=2
	s_and_not1_saveexec_b32 s15, s15
; %bb.4949:                             ;   in Loop: Header=BB6_4231 Depth=2
	v_cmp_lt_i16_e32 vcc_lo, -1, v24
	v_cndmask_b32_e32 v6, 0xff800000, v51, vcc_lo
	v_cmp_eq_u32_e32 vcc_lo, 0, v39
	s_delay_alu instid0(VALU_DEP_2)
	v_cndmask_b32_e32 v7, 0x7f800001, v6, vcc_lo
; %bb.4950:                             ;   in Loop: Header=BB6_4231 Depth=2
	s_or_b32 exec_lo, exec_lo, s15
.LBB6_4951:                             ;   in Loop: Header=BB6_4231 Depth=2
	s_delay_alu instid0(SALU_CYCLE_1)
	s_or_b32 exec_lo, exec_lo, s13
.LBB6_4952:                             ;   in Loop: Header=BB6_4231 Depth=2
	s_delay_alu instid0(SALU_CYCLE_1)
	s_or_b32 exec_lo, exec_lo, s14
	s_mov_b32 s13, 0
	s_mov_b32 s14, exec_lo
	v_cmpx_lt_i16_e32 0x7f, v4
	s_xor_b32 s14, exec_lo, s14
	s_cbranch_execz .LBB6_5120
; %bb.4953:                             ;   in Loop: Header=BB6_4231 Depth=2
	s_mov_b32 s13, -1
	s_mov_b32 s15, exec_lo
	v_cmpx_eq_u16_e32 0x80, v4
; %bb.4954:                             ;   in Loop: Header=BB6_4231 Depth=2
	s_xor_b32 s13, exec_lo, -1
; %bb.4955:                             ;   in Loop: Header=BB6_4231 Depth=2
	s_or_b32 exec_lo, exec_lo, s15
	s_delay_alu instid0(SALU_CYCLE_1)
	s_and_b32 s13, s13, exec_lo
                                        ; implicit-def: $vgpr4
	s_or_saveexec_b32 s14, s14
	v_bfrev_b32_e32 v6, 1
	s_xor_b32 exec_lo, exec_lo, s14
	s_cbranch_execnz .LBB6_5121
.LBB6_4956:                             ;   in Loop: Header=BB6_4231 Depth=2
	s_or_b32 exec_lo, exec_lo, s14
	s_and_saveexec_b32 s14, s13
.LBB6_4957:                             ;   in Loop: Header=BB6_4231 Depth=2
	v_dual_cndmask_b32 v0, v0, v36, s12 :: v_dual_cndmask_b32 v1, v1, v37, s12
	s_delay_alu instid0(VALU_DEP_1) | instskip(NEXT) | instid1(VALU_DEP_1)
	v_lshl_add_u32 v0, v0, 23, v5
	v_lshl_or_b32 v0, v1, 21, v0
	s_delay_alu instid0(VALU_DEP_1)
	v_cndmask_b32_e64 v6, v0, v35, s11
.LBB6_4958:                             ;   in Loop: Header=BB6_4231 Depth=2
	s_or_b32 exec_lo, exec_lo, s14
	s_delay_alu instid0(VALU_DEP_1) | instskip(NEXT) | instid1(VALU_DEP_1)
	v_dual_max_num_f32 v0, v6, v6 :: v_dual_max_num_f32 v1, v7, v7
	v_min_num_f32_e32 v39, v1, v0
.LBB6_4959:                             ;   in Loop: Header=BB6_4231 Depth=2
	s_delay_alu instid0(VALU_DEP_1) | instskip(SKIP_2) | instid1(VALU_DEP_2)
	v_and_b32_e32 v0, 0x7f800000, v39
	v_mov_b32_e32 v1, v25
	v_and_b32_e32 v24, 0x7fffff, v39
                                        ; implicit-def: $vgpr6
	v_cmp_ne_u64_e32 vcc_lo, 0x7f800000, v[0:1]
	v_lshrrev_b32_e32 v0, 24, v39
	s_and_saveexec_b32 s11, vcc_lo
	s_delay_alu instid0(SALU_CYCLE_1)
	s_xor_b32 s12, exec_lo, s11
	s_cbranch_execz .LBB6_4973
; %bb.4960:                             ;   in Loop: Header=BB6_4231 Depth=2
	v_and_b32_e32 v4, 0x7fffffff, v39
	v_mov_b32_e32 v5, v25
	v_and_b32_e32 v7, 0x80, v0
                                        ; implicit-def: $vgpr6
	s_mov_b32 s11, exec_lo
	s_delay_alu instid0(VALU_DEP_2)
	v_cmpx_gt_u64_e32 0x47600001, v[4:5]
	s_xor_b32 s13, exec_lo, s11
	s_cbranch_execz .LBB6_4970
; %bb.4961:                             ;   in Loop: Header=BB6_4231 Depth=2
	v_mov_b32_e32 v6, 0
	s_mov_b32 s14, exec_lo
	v_cmpx_ne_u32_e32 0, v39
	s_cbranch_execz .LBB6_4969
; %bb.4962:                             ;   in Loop: Header=BB6_4231 Depth=2
	v_bfe_u32 v6, v39, 23, 8
	v_or_b32_e32 v4, 0x800000, v24
	s_delay_alu instid0(VALU_DEP_2) | instskip(SKIP_1) | instid1(VALU_DEP_2)
	v_sub_nc_u32_e32 v0, 0x71, v6
	v_cmp_gt_u32_e32 vcc_lo, 0x72, v6
	v_cndmask_b32_e32 v0, 0, v0, vcc_lo
	v_cmp_eq_u32_e32 vcc_lo, 0, v6
	s_delay_alu instid0(VALU_DEP_2) | instskip(NEXT) | instid1(VALU_DEP_1)
	v_cndmask_b32_e64 v35, v0, 0x70, vcc_lo
	v_dual_cndmask_b32 v24, v4, v24, vcc_lo :: v_dual_add_nc_u32 v0, 21, v35
	v_add_nc_u32_e32 v5, 20, v35
	s_delay_alu instid0(VALU_DEP_2) | instskip(NEXT) | instid1(VALU_DEP_2)
	v_lshlrev_b64_e64 v[0:1], v0, -1
	v_lshlrev_b64_e64 v[4:5], v5, 1
	s_delay_alu instid0(VALU_DEP_2) | instskip(NEXT) | instid1(VALU_DEP_3)
	v_bfi_b32 v37, v1, 0, 0
	v_bfi_b32 v36, v0, 0, v24
	v_lshrrev_b64 v[0:1], v35, v[24:25]
	s_delay_alu instid0(VALU_DEP_2) | instskip(NEXT) | instid1(VALU_DEP_2)
	v_cmp_eq_u64_e64 s11, v[36:37], v[4:5]
	v_mov_b64_e32 v[4:5], v[0:1]
	s_and_saveexec_b32 s15, s11
; %bb.4963:                             ;   in Loop: Header=BB6_4231 Depth=2
	v_bfe_u32 v24, v0, 21, 1
	s_delay_alu instid0(VALU_DEP_1) | instskip(NEXT) | instid1(VALU_DEP_1)
	v_add_nc_u64_e32 v[4:5], v[0:1], v[24:25]
	v_add_nc_u64_e32 v[4:5], -1, v[4:5]
; %bb.4964:                             ;   in Loop: Header=BB6_4231 Depth=2
	s_or_b32 exec_lo, exec_lo, s15
	v_add_nc_u32_e32 v1, 0xffffff81, v6
	v_lshrrev_b32_e32 v5, 23, v0
	s_mov_b32 s11, exec_lo
	s_delay_alu instid0(VALU_DEP_2) | instskip(NEXT) | instid1(VALU_DEP_1)
	v_cndmask_b32_e64 v1, v1, 0xffffff82, vcc_lo
	v_add3_u32 v5, v35, v1, v5
	v_and_b32_e32 v1, 0x1fffff, v4
                                        ; implicit-def: $vgpr4
	s_delay_alu instid0(VALU_DEP_1) | instskip(NEXT) | instid1(VALU_DEP_1)
	v_dual_add_nc_u32 v6, 14, v5 :: v_dual_add_nc_u32 v24, v1, v0
                                        ; implicit-def: $vgpr0_vgpr1
	v_cmpx_ne_u32_e32 0, v6
	s_xor_b32 s11, exec_lo, s11
; %bb.4965:                             ;   in Loop: Header=BB6_4231 Depth=2
	s_delay_alu instid0(VALU_DEP_2) | instskip(SKIP_1) | instid1(VALU_DEP_1)
	v_cmp_lt_u64_e32 vcc_lo, 0xffffff, v[24:25]
	v_add_nc_u32_e32 v0, 15, v5
	v_cndmask_b32_e32 v4, v6, v0, vcc_lo
	v_cndmask_b32_e64 v0, 0, 1, vcc_lo
	s_delay_alu instid0(VALU_DEP_1)
	v_lshrrev_b64 v[0:1], v0, v[24:25]
; %bb.4966:                             ;   in Loop: Header=BB6_4231 Depth=2
	s_and_not1_saveexec_b32 s11, s11
; %bb.4967:                             ;   in Loop: Header=BB6_4231 Depth=2
	v_mov_b64_e32 v[0:1], v[24:25]
	v_bfe_u32 v4, v24, 23, 1
; %bb.4968:                             ;   in Loop: Header=BB6_4231 Depth=2
	s_or_b32 exec_lo, exec_lo, s11
	s_delay_alu instid0(VALU_DEP_2) | instskip(NEXT) | instid1(VALU_DEP_2)
	v_lshrrev_b64 v[0:1], 21, v[0:1]
	v_cmp_gt_i32_e32 vcc_lo, 32, v4
	v_min_i32_e32 v5, 31, v4
	v_cmp_eq_u32_e64 s11, 0, v4
	s_delay_alu instid0(VALU_DEP_4) | instskip(NEXT) | instid1(VALU_DEP_3)
	v_cndmask_b32_e32 v1, 0, v1, vcc_lo
	v_dual_cndmask_b32 v0, 3, v0 :: v_dual_lshlrev_b32 v5, 2, v5
	s_delay_alu instid0(VALU_DEP_1) | instskip(NEXT) | instid1(VALU_DEP_2)
	v_and_b32_e32 v5, 0xfc, v5
	v_cmp_eq_u64_e32 vcc_lo, 0, v[0:1]
	s_delay_alu instid0(VALU_DEP_2)
	v_and_or_b32 v0, v0, 3, v5
	s_and_b32 s11, s11, vcc_lo
	s_delay_alu instid0(VALU_DEP_1) | instid1(SALU_CYCLE_1)
	v_cndmask_b32_e64 v0, v0, 0, s11
	s_delay_alu instid0(VALU_DEP_1)
	v_or_b32_e32 v6, v0, v7
.LBB6_4969:                             ;   in Loop: Header=BB6_4231 Depth=2
	s_or_b32 exec_lo, exec_lo, s14
                                        ; implicit-def: $vgpr7
.LBB6_4970:                             ;   in Loop: Header=BB6_4231 Depth=2
	s_and_not1_saveexec_b32 s11, s13
; %bb.4971:                             ;   in Loop: Header=BB6_4231 Depth=2
	v_or_b32_e32 v6, 0x7b, v7
; %bb.4972:                             ;   in Loop: Header=BB6_4231 Depth=2
	s_or_b32 exec_lo, exec_lo, s11
                                        ; implicit-def: $vgpr39
                                        ; implicit-def: $vgpr0
.LBB6_4973:                             ;   in Loop: Header=BB6_4231 Depth=2
	s_and_not1_saveexec_b32 s11, s12
	s_cbranch_execz .LBB6_4979
; %bb.4974:                             ;   in Loop: Header=BB6_4231 Depth=2
	s_mov_b32 s12, exec_lo
                                        ; implicit-def: $vgpr6
	v_cmpx_ne_u64_e32 0, v[24:25]
	s_xor_b32 s12, exec_lo, s12
; %bb.4975:                             ;   in Loop: Header=BB6_4231 Depth=2
	v_or_b32_e32 v6, 0x7f, v0
                                        ; implicit-def: $vgpr39
; %bb.4976:                             ;   in Loop: Header=BB6_4231 Depth=2
	s_and_not1_saveexec_b32 s12, s12
; %bb.4977:                             ;   in Loop: Header=BB6_4231 Depth=2
	v_cmp_lt_i32_e32 vcc_lo, -1, v39
	v_cndmask_b32_e32 v6, 0xfc, v93, vcc_lo
; %bb.4978:                             ;   in Loop: Header=BB6_4231 Depth=2
	s_or_b32 exec_lo, exec_lo, s12
.LBB6_4979:                             ;   in Loop: Header=BB6_4231 Depth=2
	s_delay_alu instid0(SALU_CYCLE_1) | instskip(SKIP_4) | instid1(VALU_DEP_3)
	s_or_b32 exec_lo, exec_lo, s11
	v_bfe_u32 v1, v17, 16, 2
	v_dual_lshrrev_b32 v24, 16, v17 :: v_dual_lshlrev_b32 v35, 8, v17
	v_and_b32_e32 v5, 0x7c0000, v17
	s_mov_b32 s14, -1
	v_clz_i32_u32_e32 v4, v1
	s_delay_alu instid0(VALU_DEP_3) | instskip(NEXT) | instid1(VALU_DEP_3)
	v_bfe_i32 v36, v24, 0, 8
	v_cmp_eq_u32_e64 s11, 0x7c0000, v5
	v_and_or_b32 v5, 0x80000000, v35, s28
	s_delay_alu instid0(VALU_DEP_4) | instskip(NEXT) | instid1(VALU_DEP_4)
	v_min_u32_e32 v7, 32, v4
	v_cmp_lt_i16_e32 vcc_lo, -1, v36
	v_lshrrev_b32_e32 v0, 16, v13
	v_bfe_u32 v4, v17, 18, 5
	s_delay_alu instid0(VALU_DEP_4) | instskip(NEXT) | instid1(VALU_DEP_2)
	v_subrev_nc_u32_e32 v38, 29, v7
	v_cmp_eq_u32_e64 s12, 0, v4
	s_delay_alu instid0(VALU_DEP_2) | instskip(SKIP_3) | instid1(VALU_DEP_4)
	v_lshlrev_b64_e32 v[38:39], v38, v[24:25]
	v_cndmask_b32_e32 v39, 0xff800000, v51, vcc_lo
	v_and_b32_e32 v37, 0xff, v0
	v_cmp_eq_u32_e32 vcc_lo, 0, v1
	v_dual_sub_nc_u32 v24, 30, v7 :: v_dual_bitop2_b32 v35, 3, v38 bitop3:0x40
	s_delay_alu instid0(VALU_DEP_3)
	v_cmp_ne_u16_e64 s13, 0, v37
	v_cndmask_b32_e32 v7, 0x7f800001, v39, vcc_lo
	s_and_b32 vcc_lo, exec_lo, s45
                                        ; implicit-def: $vgpr38
	s_cbranch_vccz .LBB6_4997
; %bb.4980:                             ;   in Loop: Header=BB6_4231 Depth=2
	v_mov_b32_e32 v38, 0
	s_and_saveexec_b32 s14, s13
	s_cbranch_execz .LBB6_4990
; %bb.4981:                             ;   in Loop: Header=BB6_4231 Depth=2
	v_bfrev_b32_e32 v38, 1
	s_mov_b32 s15, exec_lo
	v_cmpx_ne_u16_e32 0x80, v37
	s_cbranch_execz .LBB6_4989
; %bb.4982:                             ;   in Loop: Header=BB6_4231 Depth=2
	v_and_b32_e32 v38, 0x7c0000, v13
	v_bfe_u32 v39, v13, 16, 2
	s_delay_alu instid0(VALU_DEP_2) | instskip(SKIP_1) | instid1(SALU_CYCLE_1)
	v_cmp_ne_u32_e32 vcc_lo, 0x7c0000, v38
                                        ; implicit-def: $vgpr38
	s_and_saveexec_b32 s46, vcc_lo
	s_xor_b32 s46, exec_lo, s46
	s_cbranch_execz .LBB6_4986
; %bb.4983:                             ;   in Loop: Header=BB6_4231 Depth=2
	v_bfe_u32 v38, v13, 18, 5
	s_mov_b32 s47, exec_lo
	s_delay_alu instid0(VALU_DEP_1)
	v_cmpx_eq_u32_e32 0, v38
; %bb.4984:                             ;   in Loop: Header=BB6_4231 Depth=2
	v_clz_i32_u32_e32 v38, v39
	s_delay_alu instid0(VALU_DEP_1) | instskip(NEXT) | instid1(VALU_DEP_1)
	v_min_u32_e32 v38, 32, v38
	v_subrev_nc_u32_e32 v39, 29, v38
	s_delay_alu instid0(VALU_DEP_1) | instskip(NEXT) | instid1(VALU_DEP_1)
	v_lshlrev_b64_e32 v[48:49], v39, v[0:1]
	v_dual_sub_nc_u32 v38, 30, v38 :: v_dual_bitop2_b32 v39, 3, v48 bitop3:0x40
; %bb.4985:                             ;   in Loop: Header=BB6_4231 Depth=2
	s_or_b32 exec_lo, exec_lo, s47
	v_lshlrev_b32_e32 v48, 24, v0
	s_delay_alu instid0(VALU_DEP_1) | instskip(NEXT) | instid1(VALU_DEP_1)
	v_and_b32_e32 v48, 0x80000000, v48
	v_lshl_add_u32 v38, v38, 23, v48
	s_delay_alu instid0(VALU_DEP_1) | instskip(NEXT) | instid1(VALU_DEP_1)
	v_lshl_or_b32 v38, v39, 21, v38
                                        ; implicit-def: $vgpr39
	v_add_nc_u32_e32 v38, 0x38000000, v38
.LBB6_4986:                             ;   in Loop: Header=BB6_4231 Depth=2
	s_and_not1_saveexec_b32 s46, s46
; %bb.4987:                             ;   in Loop: Header=BB6_4231 Depth=2
	v_bfe_i32 v38, v0, 0, 8
	s_delay_alu instid0(VALU_DEP_1) | instskip(SKIP_2) | instid1(VALU_DEP_2)
	v_cmp_lt_i16_e32 vcc_lo, -1, v38
	v_cndmask_b32_e32 v38, 0xff800000, v51, vcc_lo
	v_cmp_eq_u32_e32 vcc_lo, 0, v39
	v_cndmask_b32_e32 v38, 0x7f800001, v38, vcc_lo
; %bb.4988:                             ;   in Loop: Header=BB6_4231 Depth=2
	s_or_b32 exec_lo, exec_lo, s46
.LBB6_4989:                             ;   in Loop: Header=BB6_4231 Depth=2
	s_delay_alu instid0(SALU_CYCLE_1)
	s_or_b32 exec_lo, exec_lo, s15
.LBB6_4990:                             ;   in Loop: Header=BB6_4231 Depth=2
	s_delay_alu instid0(SALU_CYCLE_1) | instskip(SKIP_3) | instid1(VALU_DEP_1)
	s_or_b32 exec_lo, exec_lo, s14
	v_and_b32_e32 v48, 0xff, v36
	s_mov_b32 s14, 0
	s_mov_b32 s15, exec_lo
	v_cmpx_lt_i16_e32 0x7f, v48
	s_xor_b32 s15, exec_lo, s15
	s_cbranch_execz .LBB6_5122
; %bb.4991:                             ;   in Loop: Header=BB6_4231 Depth=2
	s_mov_b32 s14, -1
	s_mov_b32 s46, exec_lo
	v_cmpx_eq_u16_e32 0x80, v48
; %bb.4992:                             ;   in Loop: Header=BB6_4231 Depth=2
	s_xor_b32 s14, exec_lo, -1
; %bb.4993:                             ;   in Loop: Header=BB6_4231 Depth=2
	s_or_b32 exec_lo, exec_lo, s46
	s_delay_alu instid0(SALU_CYCLE_1)
	s_and_b32 s14, s14, exec_lo
                                        ; implicit-def: $vgpr48
	s_or_saveexec_b32 s15, s15
	v_bfrev_b32_e32 v39, 1
	s_xor_b32 exec_lo, exec_lo, s15
	s_cbranch_execnz .LBB6_5123
.LBB6_4994:                             ;   in Loop: Header=BB6_4231 Depth=2
	s_or_b32 exec_lo, exec_lo, s15
	s_and_saveexec_b32 s15, s14
.LBB6_4995:                             ;   in Loop: Header=BB6_4231 Depth=2
	v_dual_cndmask_b32 v39, v4, v24, s12 :: v_dual_cndmask_b32 v48, v1, v35, s12
	s_delay_alu instid0(VALU_DEP_1) | instskip(NEXT) | instid1(VALU_DEP_1)
	v_lshl_add_u32 v39, v39, 23, v5
	v_lshl_or_b32 v39, v48, 21, v39
	s_delay_alu instid0(VALU_DEP_1)
	v_cndmask_b32_e64 v39, v39, v7, s11
.LBB6_4996:                             ;   in Loop: Header=BB6_4231 Depth=2
	s_or_b32 exec_lo, exec_lo, s15
	s_delay_alu instid0(VALU_DEP_1) | instskip(SKIP_1) | instid1(VALU_DEP_1)
	v_dual_max_num_f32 v39, v39, v39 :: v_dual_max_num_f32 v38, v38, v38
	s_mov_b32 s14, 0
	v_max_num_f32_e32 v38, v38, v39
.LBB6_4997:                             ;   in Loop: Header=BB6_4231 Depth=2
	s_and_b32 vcc_lo, exec_lo, s14
	s_cbranch_vccz .LBB6_5015
; %bb.4998:                             ;   in Loop: Header=BB6_4231 Depth=2
	v_mov_b32_e32 v38, 0
	s_and_saveexec_b32 s14, s13
	s_cbranch_execz .LBB6_5008
; %bb.4999:                             ;   in Loop: Header=BB6_4231 Depth=2
	v_bfrev_b32_e32 v38, 1
	s_mov_b32 s13, exec_lo
	v_cmpx_ne_u16_e32 0x80, v37
	s_cbranch_execz .LBB6_5007
; %bb.5000:                             ;   in Loop: Header=BB6_4231 Depth=2
	v_and_b32_e32 v38, 0x7c0000, v13
	v_bfe_u32 v37, v13, 16, 2
	s_delay_alu instid0(VALU_DEP_2) | instskip(SKIP_1) | instid1(SALU_CYCLE_1)
	v_cmp_ne_u32_e32 vcc_lo, 0x7c0000, v38
                                        ; implicit-def: $vgpr38
	s_and_saveexec_b32 s15, vcc_lo
	s_xor_b32 s15, exec_lo, s15
	s_cbranch_execz .LBB6_5004
; %bb.5001:                             ;   in Loop: Header=BB6_4231 Depth=2
	v_bfe_u32 v38, v13, 18, 5
	s_mov_b32 s46, exec_lo
	s_delay_alu instid0(VALU_DEP_1)
	v_cmpx_eq_u32_e32 0, v38
; %bb.5002:                             ;   in Loop: Header=BB6_4231 Depth=2
	v_clz_i32_u32_e32 v37, v37
	s_delay_alu instid0(VALU_DEP_1) | instskip(NEXT) | instid1(VALU_DEP_1)
	v_min_u32_e32 v37, 32, v37
	v_subrev_nc_u32_e32 v38, 29, v37
	s_delay_alu instid0(VALU_DEP_1) | instskip(NEXT) | instid1(VALU_DEP_1)
	v_lshlrev_b64_e32 v[48:49], v38, v[0:1]
	v_dual_sub_nc_u32 v38, 30, v37 :: v_dual_bitop2_b32 v37, 3, v48 bitop3:0x40
; %bb.5003:                             ;   in Loop: Header=BB6_4231 Depth=2
	s_or_b32 exec_lo, exec_lo, s46
	v_lshlrev_b32_e32 v0, 24, v0
	s_delay_alu instid0(VALU_DEP_1) | instskip(NEXT) | instid1(VALU_DEP_1)
	v_and_b32_e32 v0, 0x80000000, v0
	v_lshl_add_u32 v0, v38, 23, v0
	s_delay_alu instid0(VALU_DEP_1) | instskip(NEXT) | instid1(VALU_DEP_1)
	v_lshl_or_b32 v0, v37, 21, v0
                                        ; implicit-def: $vgpr37
	v_add_nc_u32_e32 v38, 0x38000000, v0
                                        ; implicit-def: $vgpr0
.LBB6_5004:                             ;   in Loop: Header=BB6_4231 Depth=2
	s_and_not1_saveexec_b32 s15, s15
; %bb.5005:                             ;   in Loop: Header=BB6_4231 Depth=2
	v_bfe_i32 v0, v0, 0, 8
	s_delay_alu instid0(VALU_DEP_1) | instskip(SKIP_2) | instid1(VALU_DEP_2)
	v_cmp_lt_i16_e32 vcc_lo, -1, v0
	v_cndmask_b32_e32 v0, 0xff800000, v51, vcc_lo
	v_cmp_eq_u32_e32 vcc_lo, 0, v37
	v_cndmask_b32_e32 v38, 0x7f800001, v0, vcc_lo
; %bb.5006:                             ;   in Loop: Header=BB6_4231 Depth=2
	s_or_b32 exec_lo, exec_lo, s15
.LBB6_5007:                             ;   in Loop: Header=BB6_4231 Depth=2
	s_delay_alu instid0(SALU_CYCLE_1)
	s_or_b32 exec_lo, exec_lo, s13
.LBB6_5008:                             ;   in Loop: Header=BB6_4231 Depth=2
	s_delay_alu instid0(SALU_CYCLE_1) | instskip(SKIP_3) | instid1(VALU_DEP_1)
	s_or_b32 exec_lo, exec_lo, s14
	v_and_b32_e32 v36, 0xff, v36
	s_mov_b32 s13, 0
	s_mov_b32 s14, exec_lo
	v_cmpx_lt_i16_e32 0x7f, v36
	s_xor_b32 s14, exec_lo, s14
	s_cbranch_execz .LBB6_5124
; %bb.5009:                             ;   in Loop: Header=BB6_4231 Depth=2
	s_mov_b32 s13, -1
	s_mov_b32 s15, exec_lo
	v_cmpx_eq_u16_e32 0x80, v36
; %bb.5010:                             ;   in Loop: Header=BB6_4231 Depth=2
	s_xor_b32 s13, exec_lo, -1
; %bb.5011:                             ;   in Loop: Header=BB6_4231 Depth=2
	s_or_b32 exec_lo, exec_lo, s15
	s_delay_alu instid0(SALU_CYCLE_1)
	s_and_b32 s13, s13, exec_lo
                                        ; implicit-def: $vgpr36
	s_or_saveexec_b32 s14, s14
	v_bfrev_b32_e32 v0, 1
	s_xor_b32 exec_lo, exec_lo, s14
	s_cbranch_execnz .LBB6_5125
.LBB6_5012:                             ;   in Loop: Header=BB6_4231 Depth=2
	s_or_b32 exec_lo, exec_lo, s14
	s_and_saveexec_b32 s14, s13
.LBB6_5013:                             ;   in Loop: Header=BB6_4231 Depth=2
	v_dual_cndmask_b32 v0, v4, v24, s12 :: v_dual_cndmask_b32 v1, v1, v35, s12
	s_delay_alu instid0(VALU_DEP_1) | instskip(NEXT) | instid1(VALU_DEP_1)
	v_lshl_add_u32 v0, v0, 23, v5
	v_lshl_or_b32 v0, v1, 21, v0
	s_delay_alu instid0(VALU_DEP_1)
	v_cndmask_b32_e64 v0, v0, v7, s11
.LBB6_5014:                             ;   in Loop: Header=BB6_4231 Depth=2
	s_or_b32 exec_lo, exec_lo, s14
	s_delay_alu instid0(VALU_DEP_1) | instskip(NEXT) | instid1(VALU_DEP_1)
	v_dual_max_num_f32 v0, v0, v0 :: v_dual_max_num_f32 v1, v38, v38
	v_min_num_f32_e32 v38, v1, v0
.LBB6_5015:                             ;   in Loop: Header=BB6_4231 Depth=2
	s_delay_alu instid0(VALU_DEP_1) | instskip(SKIP_2) | instid1(VALU_DEP_2)
	v_and_b32_e32 v0, 0x7f800000, v38
	v_mov_b32_e32 v1, v25
	v_and_b32_e32 v24, 0x7fffff, v38
                                        ; implicit-def: $vgpr7
	v_cmp_ne_u64_e32 vcc_lo, 0x7f800000, v[0:1]
	v_lshrrev_b32_e32 v0, 24, v38
	s_and_saveexec_b32 s11, vcc_lo
	s_delay_alu instid0(SALU_CYCLE_1)
	s_xor_b32 s12, exec_lo, s11
	s_cbranch_execz .LBB6_5029
; %bb.5016:                             ;   in Loop: Header=BB6_4231 Depth=2
	v_and_b32_e32 v4, 0x7fffffff, v38
	v_mov_b32_e32 v5, v25
	v_and_b32_e32 v35, 0x80, v0
                                        ; implicit-def: $vgpr7
	s_mov_b32 s11, exec_lo
	s_delay_alu instid0(VALU_DEP_2)
	v_cmpx_gt_u64_e32 0x47600001, v[4:5]
	s_xor_b32 s13, exec_lo, s11
	s_cbranch_execz .LBB6_5026
; %bb.5017:                             ;   in Loop: Header=BB6_4231 Depth=2
	v_mov_b32_e32 v7, 0
	s_mov_b32 s14, exec_lo
	v_cmpx_ne_u32_e32 0, v38
	s_cbranch_execz .LBB6_5025
; %bb.5018:                             ;   in Loop: Header=BB6_4231 Depth=2
	v_bfe_u32 v7, v38, 23, 8
	v_or_b32_e32 v4, 0x800000, v24
	s_delay_alu instid0(VALU_DEP_2) | instskip(SKIP_1) | instid1(VALU_DEP_2)
	v_sub_nc_u32_e32 v0, 0x71, v7
	v_cmp_gt_u32_e32 vcc_lo, 0x72, v7
	v_cndmask_b32_e32 v0, 0, v0, vcc_lo
	v_cmp_eq_u32_e32 vcc_lo, 0, v7
	s_delay_alu instid0(VALU_DEP_2) | instskip(SKIP_1) | instid1(VALU_DEP_2)
	v_cndmask_b32_e64 v36, v0, 0x70, vcc_lo
	v_cndmask_b32_e32 v24, v4, v24, vcc_lo
	v_dual_add_nc_u32 v0, 21, v36 :: v_dual_add_nc_u32 v5, 20, v36
	s_delay_alu instid0(VALU_DEP_1) | instskip(NEXT) | instid1(VALU_DEP_2)
	v_lshlrev_b64_e64 v[0:1], v0, -1
	v_lshlrev_b64_e64 v[4:5], v5, 1
	s_delay_alu instid0(VALU_DEP_2) | instskip(NEXT) | instid1(VALU_DEP_3)
	v_bfi_b32 v39, v1, 0, 0
	v_bfi_b32 v38, v0, 0, v24
	v_lshrrev_b64 v[0:1], v36, v[24:25]
	s_delay_alu instid0(VALU_DEP_2) | instskip(NEXT) | instid1(VALU_DEP_2)
	v_cmp_eq_u64_e64 s11, v[38:39], v[4:5]
	v_mov_b64_e32 v[4:5], v[0:1]
	s_and_saveexec_b32 s15, s11
; %bb.5019:                             ;   in Loop: Header=BB6_4231 Depth=2
	v_bfe_u32 v24, v0, 21, 1
	s_delay_alu instid0(VALU_DEP_1) | instskip(NEXT) | instid1(VALU_DEP_1)
	v_add_nc_u64_e32 v[4:5], v[0:1], v[24:25]
	v_add_nc_u64_e32 v[4:5], -1, v[4:5]
; %bb.5020:                             ;   in Loop: Header=BB6_4231 Depth=2
	s_or_b32 exec_lo, exec_lo, s15
	v_add_nc_u32_e32 v1, 0xffffff81, v7
	v_lshrrev_b32_e32 v5, 23, v0
	s_mov_b32 s11, exec_lo
	s_delay_alu instid0(VALU_DEP_2) | instskip(NEXT) | instid1(VALU_DEP_1)
	v_cndmask_b32_e64 v1, v1, 0xffffff82, vcc_lo
	v_add3_u32 v5, v36, v1, v5
	v_and_b32_e32 v1, 0x1fffff, v4
                                        ; implicit-def: $vgpr4
	s_delay_alu instid0(VALU_DEP_1) | instskip(NEXT) | instid1(VALU_DEP_1)
	v_dual_add_nc_u32 v7, 14, v5 :: v_dual_add_nc_u32 v24, v1, v0
                                        ; implicit-def: $vgpr0_vgpr1
	v_cmpx_ne_u32_e32 0, v7
	s_xor_b32 s11, exec_lo, s11
; %bb.5021:                             ;   in Loop: Header=BB6_4231 Depth=2
	s_delay_alu instid0(VALU_DEP_2) | instskip(SKIP_1) | instid1(VALU_DEP_1)
	v_cmp_lt_u64_e32 vcc_lo, 0xffffff, v[24:25]
	v_add_nc_u32_e32 v0, 15, v5
	v_cndmask_b32_e32 v4, v7, v0, vcc_lo
	v_cndmask_b32_e64 v0, 0, 1, vcc_lo
	s_delay_alu instid0(VALU_DEP_1)
	v_lshrrev_b64 v[0:1], v0, v[24:25]
; %bb.5022:                             ;   in Loop: Header=BB6_4231 Depth=2
	s_and_not1_saveexec_b32 s11, s11
; %bb.5023:                             ;   in Loop: Header=BB6_4231 Depth=2
	v_mov_b64_e32 v[0:1], v[24:25]
	v_bfe_u32 v4, v24, 23, 1
; %bb.5024:                             ;   in Loop: Header=BB6_4231 Depth=2
	s_or_b32 exec_lo, exec_lo, s11
	s_delay_alu instid0(VALU_DEP_2) | instskip(NEXT) | instid1(VALU_DEP_2)
	v_lshrrev_b64 v[0:1], 21, v[0:1]
	v_cmp_gt_i32_e32 vcc_lo, 32, v4
	v_min_i32_e32 v5, 31, v4
	v_cmp_eq_u32_e64 s11, 0, v4
	s_delay_alu instid0(VALU_DEP_4) | instskip(NEXT) | instid1(VALU_DEP_3)
	v_cndmask_b32_e32 v1, 0, v1, vcc_lo
	v_dual_cndmask_b32 v0, 3, v0 :: v_dual_lshlrev_b32 v5, 2, v5
	s_delay_alu instid0(VALU_DEP_1) | instskip(NEXT) | instid1(VALU_DEP_2)
	v_and_b32_e32 v5, 0xfc, v5
	v_cmp_eq_u64_e32 vcc_lo, 0, v[0:1]
	s_delay_alu instid0(VALU_DEP_2)
	v_and_or_b32 v0, v0, 3, v5
	s_and_b32 s11, s11, vcc_lo
	s_delay_alu instid0(VALU_DEP_1) | instid1(SALU_CYCLE_1)
	v_cndmask_b32_e64 v0, v0, 0, s11
	s_delay_alu instid0(VALU_DEP_1)
	v_or_b32_e32 v7, v0, v35
.LBB6_5025:                             ;   in Loop: Header=BB6_4231 Depth=2
	s_or_b32 exec_lo, exec_lo, s14
                                        ; implicit-def: $vgpr35
.LBB6_5026:                             ;   in Loop: Header=BB6_4231 Depth=2
	s_and_not1_saveexec_b32 s11, s13
; %bb.5027:                             ;   in Loop: Header=BB6_4231 Depth=2
	v_or_b32_e32 v7, 0x7b, v35
; %bb.5028:                             ;   in Loop: Header=BB6_4231 Depth=2
	s_or_b32 exec_lo, exec_lo, s11
                                        ; implicit-def: $vgpr38
                                        ; implicit-def: $vgpr0
.LBB6_5029:                             ;   in Loop: Header=BB6_4231 Depth=2
	s_and_not1_saveexec_b32 s11, s12
	s_cbranch_execz .LBB6_5035
; %bb.5030:                             ;   in Loop: Header=BB6_4231 Depth=2
	s_mov_b32 s12, exec_lo
                                        ; implicit-def: $vgpr7
	v_cmpx_ne_u64_e32 0, v[24:25]
	s_xor_b32 s12, exec_lo, s12
; %bb.5031:                             ;   in Loop: Header=BB6_4231 Depth=2
	v_or_b32_e32 v7, 0x7f, v0
                                        ; implicit-def: $vgpr38
; %bb.5032:                             ;   in Loop: Header=BB6_4231 Depth=2
	s_and_not1_saveexec_b32 s12, s12
; %bb.5033:                             ;   in Loop: Header=BB6_4231 Depth=2
	v_cmp_lt_i32_e32 vcc_lo, -1, v38
	v_cndmask_b32_e32 v7, 0xfc, v93, vcc_lo
; %bb.5034:                             ;   in Loop: Header=BB6_4231 Depth=2
	s_or_b32 exec_lo, exec_lo, s12
.LBB6_5035:                             ;   in Loop: Header=BB6_4231 Depth=2
	s_delay_alu instid0(SALU_CYCLE_1)
	s_or_b32 exec_lo, exec_lo, s11
	v_bfe_u32 v1, v17, 24, 2
	v_lshrrev_b32_e32 v24, 24, v17
	v_cmp_lt_i64_e32 vcc_lo, -1, v[16:17]
	v_cmp_gt_u64_e64 s11, s[18:19], v[16:17]
	v_and_b32_e32 v38, 0x7c000000, v17
	v_clz_i32_u32_e32 v4, v1
	v_cmp_lt_u64_e64 s15, s[16:17], v[12:13]
	v_and_or_b32 v5, 0x80000000, v17, s28
	v_cmp_eq_u32_e64 s12, 0x80, v24
	v_cndmask_b32_e32 v16, 0xff800000, v51, vcc_lo
	v_min_u32_e32 v35, 32, v4
	v_bfe_u32 v4, v17, 26, 5
	v_cmp_eq_u32_e32 vcc_lo, 0, v1
	v_lshrrev_b32_e32 v0, 24, v13
	v_cmp_eq_u32_e64 s13, 0x7c000000, v38
	v_subrev_nc_u32_e32 v36, 29, v35
	v_cmp_eq_u32_e64 s14, 0, v4
	v_dual_cndmask_b32 v16, 0x7f800001, v16 :: v_dual_sub_nc_u32 v17, 30, v35
	s_and_b32 vcc_lo, exec_lo, s45
	v_lshlrev_b64_e32 v[36:37], v36, v[24:25]
	s_mov_b32 s46, -1
                                        ; implicit-def: $vgpr35
	s_delay_alu instid0(VALU_DEP_1)
	v_and_b32_e32 v24, 3, v36
	s_cbranch_vccz .LBB6_5047
; %bb.5036:                             ;   in Loop: Header=BB6_4231 Depth=2
	v_mov_b32_e32 v35, 0
	s_and_saveexec_b32 s46, s15
	s_cbranch_execz .LBB6_5046
; %bb.5037:                             ;   in Loop: Header=BB6_4231 Depth=2
	v_bfrev_b32_e32 v35, 1
	s_mov_b32 s47, exec_lo
	v_cmpx_ne_u32_e32 0x80, v0
	s_cbranch_execz .LBB6_5045
; %bb.5038:                             ;   in Loop: Header=BB6_4231 Depth=2
	v_and_b32_e32 v35, 0x7c000000, v13
	v_bfe_u32 v36, v13, 24, 2
	s_delay_alu instid0(VALU_DEP_2) | instskip(SKIP_1) | instid1(SALU_CYCLE_1)
	v_cmp_ne_u32_e32 vcc_lo, 0x7c000000, v35
                                        ; implicit-def: $vgpr35
	s_and_saveexec_b32 s56, vcc_lo
	s_xor_b32 s56, exec_lo, s56
	s_cbranch_execz .LBB6_5042
; %bb.5039:                             ;   in Loop: Header=BB6_4231 Depth=2
	v_bfe_u32 v35, v13, 26, 5
	s_mov_b32 s57, exec_lo
	s_delay_alu instid0(VALU_DEP_1)
	v_cmpx_eq_u32_e32 0, v35
; %bb.5040:                             ;   in Loop: Header=BB6_4231 Depth=2
	v_clz_i32_u32_e32 v35, v36
	s_delay_alu instid0(VALU_DEP_1) | instskip(NEXT) | instid1(VALU_DEP_1)
	v_min_u32_e32 v35, 32, v35
	v_subrev_nc_u32_e32 v36, 29, v35
	s_delay_alu instid0(VALU_DEP_1) | instskip(NEXT) | instid1(VALU_DEP_1)
	v_lshlrev_b64_e32 v[36:37], v36, v[0:1]
	v_dual_sub_nc_u32 v35, 30, v35 :: v_dual_bitop2_b32 v36, 3, v36 bitop3:0x40
; %bb.5041:                             ;   in Loop: Header=BB6_4231 Depth=2
	s_or_b32 exec_lo, exec_lo, s57
	v_and_b32_e32 v37, 0x80000000, v13
	s_delay_alu instid0(VALU_DEP_1) | instskip(NEXT) | instid1(VALU_DEP_1)
	v_lshl_add_u32 v35, v35, 23, v37
	v_lshl_or_b32 v35, v36, 21, v35
                                        ; implicit-def: $vgpr36
	s_delay_alu instid0(VALU_DEP_1)
	v_add_nc_u32_e32 v35, 0x38000000, v35
.LBB6_5042:                             ;   in Loop: Header=BB6_4231 Depth=2
	s_and_not1_saveexec_b32 s56, s56
; %bb.5043:                             ;   in Loop: Header=BB6_4231 Depth=2
	v_cmp_lt_i64_e32 vcc_lo, -1, v[12:13]
	v_cndmask_b32_e32 v35, 0xff800000, v51, vcc_lo
	v_cmp_eq_u32_e32 vcc_lo, 0, v36
	s_delay_alu instid0(VALU_DEP_2)
	v_cndmask_b32_e32 v35, 0x7f800001, v35, vcc_lo
; %bb.5044:                             ;   in Loop: Header=BB6_4231 Depth=2
	s_or_b32 exec_lo, exec_lo, s56
.LBB6_5045:                             ;   in Loop: Header=BB6_4231 Depth=2
	s_delay_alu instid0(SALU_CYCLE_1)
	s_or_b32 exec_lo, exec_lo, s47
.LBB6_5046:                             ;   in Loop: Header=BB6_4231 Depth=2
	s_delay_alu instid0(SALU_CYCLE_1) | instskip(SKIP_3) | instid1(VALU_DEP_2)
	s_or_b32 exec_lo, exec_lo, s46
	v_dual_cndmask_b32 v36, v4, v17, s14 :: v_dual_cndmask_b32 v37, v1, v24, s14
	s_mov_b32 s46, 0
	v_max_num_f32_e32 v35, v35, v35
	v_lshl_add_u32 v36, v36, 23, v5
	s_delay_alu instid0(VALU_DEP_1) | instskip(NEXT) | instid1(VALU_DEP_1)
	v_lshl_or_b32 v36, v37, 21, v36
	v_cndmask_b32_e64 v36, v36, v16, s13
	s_delay_alu instid0(VALU_DEP_1) | instskip(NEXT) | instid1(VALU_DEP_1)
	v_cndmask_b32_e64 v36, v36, 0x80000000, s12
	v_cndmask_b32_e64 v36, v36, 0, s11
	s_delay_alu instid0(VALU_DEP_1) | instskip(NEXT) | instid1(VALU_DEP_1)
	v_max_num_f32_e32 v36, v36, v36
	v_max_num_f32_e32 v35, v35, v36
.LBB6_5047:                             ;   in Loop: Header=BB6_4231 Depth=2
	s_and_b32 vcc_lo, exec_lo, s46
	s_cbranch_vccz .LBB6_5059
; %bb.5048:                             ;   in Loop: Header=BB6_4231 Depth=2
	v_mov_b32_e32 v35, 0
	s_and_saveexec_b32 s46, s15
	s_cbranch_execz .LBB6_5058
; %bb.5049:                             ;   in Loop: Header=BB6_4231 Depth=2
	v_bfrev_b32_e32 v35, 1
	s_mov_b32 s15, exec_lo
	v_cmpx_ne_u32_e32 0x80, v0
	s_cbranch_execz .LBB6_5057
; %bb.5050:                             ;   in Loop: Header=BB6_4231 Depth=2
	v_and_b32_e32 v35, 0x7c000000, v13
	v_bfe_u32 v36, v13, 24, 2
	s_delay_alu instid0(VALU_DEP_2) | instskip(SKIP_1) | instid1(SALU_CYCLE_1)
	v_cmp_ne_u32_e32 vcc_lo, 0x7c000000, v35
                                        ; implicit-def: $vgpr35
	s_and_saveexec_b32 s47, vcc_lo
	s_xor_b32 s47, exec_lo, s47
	s_cbranch_execz .LBB6_5054
; %bb.5051:                             ;   in Loop: Header=BB6_4231 Depth=2
	v_bfe_u32 v12, v13, 26, 5
	s_mov_b32 s56, exec_lo
	s_delay_alu instid0(VALU_DEP_1)
	v_cmpx_eq_u32_e32 0, v12
; %bb.5052:                             ;   in Loop: Header=BB6_4231 Depth=2
	v_clz_i32_u32_e32 v12, v36
	s_delay_alu instid0(VALU_DEP_1) | instskip(NEXT) | instid1(VALU_DEP_1)
	v_min_u32_e32 v12, 32, v12
	v_subrev_nc_u32_e32 v35, 29, v12
	v_sub_nc_u32_e32 v12, 30, v12
	s_delay_alu instid0(VALU_DEP_2) | instskip(NEXT) | instid1(VALU_DEP_1)
	v_lshlrev_b64_e32 v[36:37], v35, v[0:1]
	v_and_b32_e32 v36, 3, v36
; %bb.5053:                             ;   in Loop: Header=BB6_4231 Depth=2
	s_or_b32 exec_lo, exec_lo, s56
	v_and_b32_e32 v0, 0x80000000, v13
	s_delay_alu instid0(VALU_DEP_1) | instskip(NEXT) | instid1(VALU_DEP_1)
	v_lshl_add_u32 v0, v12, 23, v0
                                        ; implicit-def: $vgpr12_vgpr13
	v_lshl_or_b32 v0, v36, 21, v0
                                        ; implicit-def: $vgpr36
	s_delay_alu instid0(VALU_DEP_1)
	v_add_nc_u32_e32 v35, 0x38000000, v0
.LBB6_5054:                             ;   in Loop: Header=BB6_4231 Depth=2
	s_and_not1_saveexec_b32 s47, s47
; %bb.5055:                             ;   in Loop: Header=BB6_4231 Depth=2
	v_cmp_lt_i64_e32 vcc_lo, -1, v[12:13]
	v_cndmask_b32_e32 v0, 0xff800000, v51, vcc_lo
	v_cmp_eq_u32_e32 vcc_lo, 0, v36
	s_delay_alu instid0(VALU_DEP_2)
	v_cndmask_b32_e32 v35, 0x7f800001, v0, vcc_lo
; %bb.5056:                             ;   in Loop: Header=BB6_4231 Depth=2
	s_or_b32 exec_lo, exec_lo, s47
.LBB6_5057:                             ;   in Loop: Header=BB6_4231 Depth=2
	s_delay_alu instid0(SALU_CYCLE_1)
	s_or_b32 exec_lo, exec_lo, s15
.LBB6_5058:                             ;   in Loop: Header=BB6_4231 Depth=2
	s_delay_alu instid0(SALU_CYCLE_1) | instskip(SKIP_1) | instid1(VALU_DEP_1)
	s_or_b32 exec_lo, exec_lo, s46
	v_dual_cndmask_b32 v0, v4, v17, s14 :: v_dual_cndmask_b32 v1, v1, v24, s14
	v_lshl_add_u32 v0, v0, 23, v5
	s_delay_alu instid0(VALU_DEP_1) | instskip(NEXT) | instid1(VALU_DEP_1)
	v_lshl_or_b32 v0, v1, 21, v0
	v_dual_max_num_f32 v1, v35, v35 :: v_dual_cndmask_b32 v0, v0, v16, s13
	s_delay_alu instid0(VALU_DEP_1) | instskip(NEXT) | instid1(VALU_DEP_1)
	v_cndmask_b32_e64 v0, v0, 0x80000000, s12
	v_cndmask_b32_e64 v0, v0, 0, s11
	s_delay_alu instid0(VALU_DEP_1) | instskip(NEXT) | instid1(VALU_DEP_1)
	v_max_num_f32_e32 v0, v0, v0
	v_min_num_f32_e32 v35, v1, v0
.LBB6_5059:                             ;   in Loop: Header=BB6_4231 Depth=2
	s_delay_alu instid0(VALU_DEP_1) | instskip(SKIP_2) | instid1(VALU_DEP_2)
	v_and_b32_e32 v0, 0x7f800000, v35
	v_mov_b32_e32 v1, v25
	v_and_b32_e32 v24, 0x7fffff, v35
	v_cmp_ne_u64_e32 vcc_lo, 0x7f800000, v[0:1]
	v_lshrrev_b32_e32 v1, 24, v35
                                        ; implicit-def: $vgpr0
	s_and_saveexec_b32 s11, vcc_lo
	s_delay_alu instid0(SALU_CYCLE_1)
	s_xor_b32 s12, exec_lo, s11
	s_cbranch_execz .LBB6_5073
; %bb.5060:                             ;   in Loop: Header=BB6_4231 Depth=2
	v_and_b32_e32 v4, 0x7fffffff, v35
	v_mov_b32_e32 v5, v25
	v_and_b32_e32 v12, 0x80, v1
                                        ; implicit-def: $vgpr0
	s_mov_b32 s11, exec_lo
	s_delay_alu instid0(VALU_DEP_2)
	v_cmpx_gt_u64_e32 0x47600001, v[4:5]
	s_xor_b32 s13, exec_lo, s11
	s_cbranch_execz .LBB6_5070
; %bb.5061:                             ;   in Loop: Header=BB6_4231 Depth=2
	v_mov_b32_e32 v0, 0
	s_mov_b32 s14, exec_lo
	v_cmpx_ne_u32_e32 0, v35
	s_cbranch_execz .LBB6_5069
; %bb.5062:                             ;   in Loop: Header=BB6_4231 Depth=2
	v_bfe_u32 v13, v35, 23, 8
	v_or_b32_e32 v4, 0x800000, v24
	s_delay_alu instid0(VALU_DEP_2) | instskip(SKIP_1) | instid1(VALU_DEP_2)
	v_sub_nc_u32_e32 v0, 0x71, v13
	v_cmp_gt_u32_e32 vcc_lo, 0x72, v13
	v_cndmask_b32_e32 v0, 0, v0, vcc_lo
	v_cmp_eq_u32_e32 vcc_lo, 0, v13
	s_delay_alu instid0(VALU_DEP_2) | instskip(SKIP_1) | instid1(VALU_DEP_2)
	v_cndmask_b32_e64 v16, v0, 0x70, vcc_lo
	v_cndmask_b32_e32 v24, v4, v24, vcc_lo
	v_dual_add_nc_u32 v0, 21, v16 :: v_dual_add_nc_u32 v5, 20, v16
	s_delay_alu instid0(VALU_DEP_1) | instskip(NEXT) | instid1(VALU_DEP_2)
	v_lshlrev_b64_e64 v[0:1], v0, -1
	v_lshlrev_b64_e64 v[4:5], v5, 1
	s_delay_alu instid0(VALU_DEP_2) | instskip(NEXT) | instid1(VALU_DEP_3)
	v_bfi_b32 v37, v1, 0, 0
	v_bfi_b32 v36, v0, 0, v24
	v_lshrrev_b64 v[0:1], v16, v[24:25]
	s_delay_alu instid0(VALU_DEP_2) | instskip(NEXT) | instid1(VALU_DEP_2)
	v_cmp_eq_u64_e64 s11, v[36:37], v[4:5]
	v_mov_b64_e32 v[4:5], v[0:1]
	s_and_saveexec_b32 s15, s11
; %bb.5063:                             ;   in Loop: Header=BB6_4231 Depth=2
	v_bfe_u32 v24, v0, 21, 1
	s_delay_alu instid0(VALU_DEP_1) | instskip(NEXT) | instid1(VALU_DEP_1)
	v_add_nc_u64_e32 v[4:5], v[0:1], v[24:25]
	v_add_nc_u64_e32 v[4:5], -1, v[4:5]
; %bb.5064:                             ;   in Loop: Header=BB6_4231 Depth=2
	s_or_b32 exec_lo, exec_lo, s15
	v_add_nc_u32_e32 v1, 0xffffff81, v13
	v_lshrrev_b32_e32 v5, 23, v0
	s_mov_b32 s11, exec_lo
	s_delay_alu instid0(VALU_DEP_2) | instskip(NEXT) | instid1(VALU_DEP_1)
	v_cndmask_b32_e64 v1, v1, 0xffffff82, vcc_lo
	v_add3_u32 v5, v16, v1, v5
	v_and_b32_e32 v1, 0x1fffff, v4
                                        ; implicit-def: $vgpr4
	s_delay_alu instid0(VALU_DEP_1) | instskip(NEXT) | instid1(VALU_DEP_1)
	v_dual_add_nc_u32 v13, 14, v5 :: v_dual_add_nc_u32 v24, v1, v0
                                        ; implicit-def: $vgpr0_vgpr1
	v_cmpx_ne_u32_e32 0, v13
	s_xor_b32 s11, exec_lo, s11
; %bb.5065:                             ;   in Loop: Header=BB6_4231 Depth=2
	s_delay_alu instid0(VALU_DEP_2) | instskip(SKIP_1) | instid1(VALU_DEP_1)
	v_cmp_lt_u64_e32 vcc_lo, 0xffffff, v[24:25]
	v_add_nc_u32_e32 v0, 15, v5
	v_cndmask_b32_e32 v4, v13, v0, vcc_lo
	v_cndmask_b32_e64 v0, 0, 1, vcc_lo
	s_delay_alu instid0(VALU_DEP_1)
	v_lshrrev_b64 v[0:1], v0, v[24:25]
; %bb.5066:                             ;   in Loop: Header=BB6_4231 Depth=2
	s_and_not1_saveexec_b32 s11, s11
; %bb.5067:                             ;   in Loop: Header=BB6_4231 Depth=2
	v_mov_b64_e32 v[0:1], v[24:25]
	v_bfe_u32 v4, v24, 23, 1
; %bb.5068:                             ;   in Loop: Header=BB6_4231 Depth=2
	s_or_b32 exec_lo, exec_lo, s11
	s_delay_alu instid0(VALU_DEP_2) | instskip(NEXT) | instid1(VALU_DEP_2)
	v_lshrrev_b64 v[0:1], 21, v[0:1]
	v_cmp_gt_i32_e32 vcc_lo, 32, v4
	v_min_i32_e32 v5, 31, v4
	v_cmp_eq_u32_e64 s11, 0, v4
	s_delay_alu instid0(VALU_DEP_4) | instskip(NEXT) | instid1(VALU_DEP_3)
	v_cndmask_b32_e32 v1, 0, v1, vcc_lo
	v_dual_cndmask_b32 v0, 3, v0 :: v_dual_lshlrev_b32 v5, 2, v5
	s_delay_alu instid0(VALU_DEP_1) | instskip(NEXT) | instid1(VALU_DEP_2)
	v_and_b32_e32 v5, 0xfc, v5
	v_cmp_eq_u64_e32 vcc_lo, 0, v[0:1]
	s_delay_alu instid0(VALU_DEP_2)
	v_and_or_b32 v0, v0, 3, v5
	s_and_b32 s11, s11, vcc_lo
	s_delay_alu instid0(VALU_DEP_1) | instid1(SALU_CYCLE_1)
	v_cndmask_b32_e64 v0, v0, 0, s11
	s_delay_alu instid0(VALU_DEP_1)
	v_or_b32_e32 v0, v0, v12
.LBB6_5069:                             ;   in Loop: Header=BB6_4231 Depth=2
	s_or_b32 exec_lo, exec_lo, s14
                                        ; implicit-def: $vgpr12
.LBB6_5070:                             ;   in Loop: Header=BB6_4231 Depth=2
	s_and_not1_saveexec_b32 s11, s13
; %bb.5071:                             ;   in Loop: Header=BB6_4231 Depth=2
	v_or_b32_e32 v0, 0x7b, v12
; %bb.5072:                             ;   in Loop: Header=BB6_4231 Depth=2
	s_or_b32 exec_lo, exec_lo, s11
                                        ; implicit-def: $vgpr35
                                        ; implicit-def: $vgpr1
.LBB6_5073:                             ;   in Loop: Header=BB6_4231 Depth=2
	s_and_not1_saveexec_b32 s11, s12
	s_cbranch_execz .LBB6_4230
; %bb.5074:                             ;   in Loop: Header=BB6_4231 Depth=2
	s_mov_b32 s12, exec_lo
                                        ; implicit-def: $vgpr0
	v_cmpx_ne_u64_e32 0, v[24:25]
	s_xor_b32 s12, exec_lo, s12
; %bb.5075:                             ;   in Loop: Header=BB6_4231 Depth=2
	v_or_b32_e32 v0, 0x7f, v1
                                        ; implicit-def: $vgpr35
; %bb.5076:                             ;   in Loop: Header=BB6_4231 Depth=2
	s_and_not1_saveexec_b32 s12, s12
	s_cbranch_execz .LBB6_4229
; %bb.5077:                             ;   in Loop: Header=BB6_4231 Depth=2
	v_cmp_lt_i32_e32 vcc_lo, -1, v35
	v_cndmask_b32_e32 v0, 0xfc, v93, vcc_lo
	s_branch .LBB6_4229
.LBB6_5078:                             ;   in Loop: Header=BB6_4231 Depth=2
	s_or_saveexec_b32 s15, s15
	v_bfrev_b32_e32 v28, 1
	s_xor_b32 exec_lo, exec_lo, s15
	s_cbranch_execz .LBB6_4246
.LBB6_5079:                             ;   in Loop: Header=BB6_4231 Depth=2
	v_cmp_ne_u16_e32 vcc_lo, 0, v29
	v_mov_b32_e32 v28, 0
	s_and_not1_b32 s14, s14, exec_lo
	s_and_b32 s46, vcc_lo, exec_lo
	s_delay_alu instid0(SALU_CYCLE_1)
	s_or_b32 s14, s14, s46
	s_or_b32 exec_lo, exec_lo, s15
	s_and_saveexec_b32 s15, s14
	s_cbranch_execnz .LBB6_4247
	s_branch .LBB6_4248
.LBB6_5080:                             ;   in Loop: Header=BB6_4231 Depth=2
	s_or_saveexec_b32 s14, s14
	v_bfrev_b32_e32 v24, 1
	s_xor_b32 exec_lo, exec_lo, s14
	s_cbranch_execz .LBB6_4264
.LBB6_5081:                             ;   in Loop: Header=BB6_4231 Depth=2
	v_cmp_ne_u16_e32 vcc_lo, 0, v26
	v_mov_b32_e32 v24, 0
	s_and_not1_b32 s13, s13, exec_lo
	s_and_b32 s15, vcc_lo, exec_lo
	s_delay_alu instid0(SALU_CYCLE_1)
	s_or_b32 s13, s13, s15
	s_or_b32 exec_lo, exec_lo, s14
	s_and_saveexec_b32 s14, s13
	s_cbranch_execnz .LBB6_4265
	s_branch .LBB6_4266
.LBB6_5082:                             ;   in Loop: Header=BB6_4231 Depth=2
	s_or_saveexec_b32 s15, s15
	v_bfrev_b32_e32 v30, 1
	s_xor_b32 exec_lo, exec_lo, s15
	s_cbranch_execz .LBB6_4302
.LBB6_5083:                             ;   in Loop: Header=BB6_4231 Depth=2
	v_cmp_ne_u16_e32 vcc_lo, 0, v24
	v_mov_b32_e32 v30, 0
	s_and_not1_b32 s14, s14, exec_lo
	s_and_b32 s46, vcc_lo, exec_lo
	s_delay_alu instid0(SALU_CYCLE_1)
	s_or_b32 s14, s14, s46
	s_or_b32 exec_lo, exec_lo, s15
	s_and_saveexec_b32 s15, s14
	s_cbranch_execnz .LBB6_4303
	s_branch .LBB6_4304
.LBB6_5084:                             ;   in Loop: Header=BB6_4231 Depth=2
	s_or_saveexec_b32 s14, s14
	v_bfrev_b32_e32 v0, 1
	s_xor_b32 exec_lo, exec_lo, s14
	s_cbranch_execz .LBB6_4320
.LBB6_5085:                             ;   in Loop: Header=BB6_4231 Depth=2
	v_cmp_ne_u16_e32 vcc_lo, 0, v24
	v_mov_b32_e32 v0, 0
	s_and_not1_b32 s13, s13, exec_lo
	s_and_b32 s15, vcc_lo, exec_lo
	s_delay_alu instid0(SALU_CYCLE_1)
	s_or_b32 s13, s13, s15
	s_or_b32 exec_lo, exec_lo, s14
	s_and_saveexec_b32 s14, s13
	s_cbranch_execnz .LBB6_4321
	s_branch .LBB6_4322
.LBB6_5086:                             ;   in Loop: Header=BB6_4231 Depth=2
	s_or_saveexec_b32 s15, s15
	v_bfrev_b32_e32 v31, 1
	s_xor_b32 exec_lo, exec_lo, s15
	s_cbranch_execz .LBB6_4358
.LBB6_5087:                             ;   in Loop: Header=BB6_4231 Depth=2
	v_cmp_ne_u16_e32 vcc_lo, 0, v32
	v_mov_b32_e32 v31, 0
	s_and_not1_b32 s14, s14, exec_lo
	s_and_b32 s46, vcc_lo, exec_lo
	s_delay_alu instid0(SALU_CYCLE_1)
	s_or_b32 s14, s14, s46
	s_or_b32 exec_lo, exec_lo, s15
	s_and_saveexec_b32 s15, s14
	s_cbranch_execnz .LBB6_4359
	s_branch .LBB6_4360
.LBB6_5088:                             ;   in Loop: Header=BB6_4231 Depth=2
	s_or_saveexec_b32 s14, s14
	v_bfrev_b32_e32 v0, 1
	s_xor_b32 exec_lo, exec_lo, s14
	s_cbranch_execz .LBB6_4376
.LBB6_5089:                             ;   in Loop: Header=BB6_4231 Depth=2
	v_cmp_ne_u16_e32 vcc_lo, 0, v28
	v_mov_b32_e32 v0, 0
	s_and_not1_b32 s13, s13, exec_lo
	s_and_b32 s15, vcc_lo, exec_lo
	s_delay_alu instid0(SALU_CYCLE_1)
	s_or_b32 s13, s13, s15
	s_or_b32 exec_lo, exec_lo, s14
	s_and_saveexec_b32 s14, s13
	s_cbranch_execnz .LBB6_4377
	s_branch .LBB6_4378
.LBB6_5090:                             ;   in Loop: Header=BB6_4231 Depth=2
	s_or_saveexec_b32 s15, s15
	v_bfrev_b32_e32 v35, 1
	s_xor_b32 exec_lo, exec_lo, s15
	s_cbranch_execz .LBB6_4458
.LBB6_5091:                             ;   in Loop: Header=BB6_4231 Depth=2
	v_cmp_ne_u16_e32 vcc_lo, 0, v36
	v_mov_b32_e32 v35, 0
	s_and_not1_b32 s14, s14, exec_lo
	s_and_b32 s46, vcc_lo, exec_lo
	s_delay_alu instid0(SALU_CYCLE_1)
	s_or_b32 s14, s14, s46
	s_or_b32 exec_lo, exec_lo, s15
	s_and_saveexec_b32 s15, s14
	s_cbranch_execnz .LBB6_4459
	s_branch .LBB6_4460
.LBB6_5092:                             ;   in Loop: Header=BB6_4231 Depth=2
	s_or_saveexec_b32 s14, s14
	v_bfrev_b32_e32 v1, 1
	s_xor_b32 exec_lo, exec_lo, s14
	s_cbranch_execz .LBB6_4476
.LBB6_5093:                             ;   in Loop: Header=BB6_4231 Depth=2
	v_cmp_ne_u16_e32 vcc_lo, 0, v32
	v_mov_b32_e32 v1, 0
	s_and_not1_b32 s13, s13, exec_lo
	s_and_b32 s15, vcc_lo, exec_lo
	s_delay_alu instid0(SALU_CYCLE_1)
	s_or_b32 s13, s13, s15
	s_or_b32 exec_lo, exec_lo, s14
	s_and_saveexec_b32 s14, s13
	s_cbranch_execnz .LBB6_4477
	s_branch .LBB6_4478
.LBB6_5094:                             ;   in Loop: Header=BB6_4231 Depth=2
	s_or_saveexec_b32 s15, s15
	v_bfrev_b32_e32 v35, 1
	s_xor_b32 exec_lo, exec_lo, s15
	s_cbranch_execz .LBB6_4514
.LBB6_5095:                             ;   in Loop: Header=BB6_4231 Depth=2
	v_cmp_ne_u16_e32 vcc_lo, 0, v4
	v_mov_b32_e32 v35, 0
	s_and_not1_b32 s14, s14, exec_lo
	s_and_b32 s46, vcc_lo, exec_lo
	s_delay_alu instid0(SALU_CYCLE_1)
	s_or_b32 s14, s14, s46
	s_or_b32 exec_lo, exec_lo, s15
	s_and_saveexec_b32 s15, s14
	s_cbranch_execnz .LBB6_4515
	s_branch .LBB6_4516
.LBB6_5096:                             ;   in Loop: Header=BB6_4231 Depth=2
	s_or_saveexec_b32 s14, s14
	v_bfrev_b32_e32 v0, 1
	s_xor_b32 exec_lo, exec_lo, s14
	s_cbranch_execz .LBB6_4532
.LBB6_5097:                             ;   in Loop: Header=BB6_4231 Depth=2
	v_cmp_ne_u16_e32 vcc_lo, 0, v4
	v_mov_b32_e32 v0, 0
	s_and_not1_b32 s13, s13, exec_lo
	s_and_b32 s15, vcc_lo, exec_lo
	s_delay_alu instid0(SALU_CYCLE_1)
	s_or_b32 s13, s13, s15
	s_or_b32 exec_lo, exec_lo, s14
	s_and_saveexec_b32 s14, s13
	s_cbranch_execnz .LBB6_4533
	s_branch .LBB6_4534
.LBB6_5098:                             ;   in Loop: Header=BB6_4231 Depth=2
	s_or_saveexec_b32 s15, s15
	v_bfrev_b32_e32 v35, 1
	s_xor_b32 exec_lo, exec_lo, s15
	s_cbranch_execz .LBB6_4570
.LBB6_5099:                             ;   in Loop: Header=BB6_4231 Depth=2
	v_cmp_ne_u16_e32 vcc_lo, 0, v36
	v_mov_b32_e32 v35, 0
	s_and_not1_b32 s14, s14, exec_lo
	s_and_b32 s46, vcc_lo, exec_lo
	s_delay_alu instid0(SALU_CYCLE_1)
	s_or_b32 s14, s14, s46
	s_or_b32 exec_lo, exec_lo, s15
	s_and_saveexec_b32 s15, s14
	s_cbranch_execnz .LBB6_4571
	s_branch .LBB6_4572
.LBB6_5100:                             ;   in Loop: Header=BB6_4231 Depth=2
	s_or_saveexec_b32 s14, s14
	v_bfrev_b32_e32 v0, 1
	s_xor_b32 exec_lo, exec_lo, s14
	s_cbranch_execz .LBB6_4588
.LBB6_5101:                             ;   in Loop: Header=BB6_4231 Depth=2
	v_cmp_ne_u16_e32 vcc_lo, 0, v32
	v_mov_b32_e32 v0, 0
	s_and_not1_b32 s13, s13, exec_lo
	s_and_b32 s15, vcc_lo, exec_lo
	s_delay_alu instid0(SALU_CYCLE_1)
	s_or_b32 s13, s13, s15
	s_or_b32 exec_lo, exec_lo, s14
	s_and_saveexec_b32 s14, s13
	s_cbranch_execnz .LBB6_4589
	s_branch .LBB6_4590
.LBB6_5102:                             ;   in Loop: Header=BB6_4231 Depth=2
	s_or_saveexec_b32 s15, s15
	v_bfrev_b32_e32 v24, 1
	s_xor_b32 exec_lo, exec_lo, s15
	s_cbranch_execz .LBB6_4670
.LBB6_5103:                             ;   in Loop: Header=BB6_4231 Depth=2
	v_cmp_ne_u16_e32 vcc_lo, 0, v33
	v_mov_b32_e32 v24, 0
	s_and_not1_b32 s14, s14, exec_lo
	s_and_b32 s46, vcc_lo, exec_lo
	s_delay_alu instid0(SALU_CYCLE_1)
	s_or_b32 s14, s14, s46
	s_or_b32 exec_lo, exec_lo, s15
	s_and_saveexec_b32 s15, s14
	s_cbranch_execnz .LBB6_4671
	s_branch .LBB6_4672
.LBB6_5104:                             ;   in Loop: Header=BB6_4231 Depth=2
	s_or_saveexec_b32 s14, s14
	v_bfrev_b32_e32 v11, 1
	s_xor_b32 exec_lo, exec_lo, s14
	s_cbranch_execz .LBB6_4688
.LBB6_5105:                             ;   in Loop: Header=BB6_4231 Depth=2
	v_cmp_ne_u16_e32 vcc_lo, 0, v14
	v_mov_b32_e32 v11, 0
	s_and_not1_b32 s13, s13, exec_lo
	s_and_b32 s15, vcc_lo, exec_lo
	s_delay_alu instid0(SALU_CYCLE_1)
	s_or_b32 s13, s13, s15
	s_or_b32 exec_lo, exec_lo, s14
	s_and_saveexec_b32 s14, s13
	s_cbranch_execnz .LBB6_4689
	s_branch .LBB6_4690
.LBB6_5106:                             ;   in Loop: Header=BB6_4231 Depth=2
	s_or_saveexec_b32 s15, s15
	v_bfrev_b32_e32 v34, 1
	s_xor_b32 exec_lo, exec_lo, s15
	s_cbranch_execz .LBB6_4726
.LBB6_5107:                             ;   in Loop: Header=BB6_4231 Depth=2
	v_cmp_ne_u16_e32 vcc_lo, 0, v24
	v_mov_b32_e32 v34, 0
	s_and_not1_b32 s14, s14, exec_lo
	s_and_b32 s46, vcc_lo, exec_lo
	s_delay_alu instid0(SALU_CYCLE_1)
	s_or_b32 s14, s14, s46
	s_or_b32 exec_lo, exec_lo, s15
	s_and_saveexec_b32 s15, s14
	s_cbranch_execnz .LBB6_4727
	s_branch .LBB6_4728
.LBB6_5108:                             ;   in Loop: Header=BB6_4231 Depth=2
	s_or_saveexec_b32 s14, s14
	v_bfrev_b32_e32 v0, 1
	s_xor_b32 exec_lo, exec_lo, s14
	s_cbranch_execz .LBB6_4744
.LBB6_5109:                             ;   in Loop: Header=BB6_4231 Depth=2
	v_cmp_ne_u16_e32 vcc_lo, 0, v24
	v_mov_b32_e32 v0, 0
	s_and_not1_b32 s13, s13, exec_lo
	s_and_b32 s15, vcc_lo, exec_lo
	s_delay_alu instid0(SALU_CYCLE_1)
	s_or_b32 s13, s13, s15
	s_or_b32 exec_lo, exec_lo, s14
	s_and_saveexec_b32 s14, s13
	s_cbranch_execnz .LBB6_4745
	s_branch .LBB6_4746
.LBB6_5110:                             ;   in Loop: Header=BB6_4231 Depth=2
	s_or_saveexec_b32 s15, s15
	v_bfrev_b32_e32 v35, 1
	s_xor_b32 exec_lo, exec_lo, s15
	s_cbranch_execz .LBB6_4782
.LBB6_5111:                             ;   in Loop: Header=BB6_4231 Depth=2
	v_cmp_ne_u16_e32 vcc_lo, 0, v36
	v_mov_b32_e32 v35, 0
	s_and_not1_b32 s14, s14, exec_lo
	s_and_b32 s46, vcc_lo, exec_lo
	s_delay_alu instid0(SALU_CYCLE_1)
	s_or_b32 s14, s14, s46
	s_or_b32 exec_lo, exec_lo, s15
	s_and_saveexec_b32 s15, s14
	s_cbranch_execnz .LBB6_4783
	s_branch .LBB6_4784
.LBB6_5112:                             ;   in Loop: Header=BB6_4231 Depth=2
	s_or_saveexec_b32 s14, s14
	v_bfrev_b32_e32 v0, 1
	s_xor_b32 exec_lo, exec_lo, s14
	s_cbranch_execz .LBB6_4800
.LBB6_5113:                             ;   in Loop: Header=BB6_4231 Depth=2
	v_cmp_ne_u16_e32 vcc_lo, 0, v24
	v_mov_b32_e32 v0, 0
	s_and_not1_b32 s13, s13, exec_lo
	s_and_b32 s15, vcc_lo, exec_lo
	s_delay_alu instid0(SALU_CYCLE_1)
	s_or_b32 s13, s13, s15
	s_or_b32 exec_lo, exec_lo, s14
	s_and_saveexec_b32 s14, s13
	s_cbranch_execnz .LBB6_4801
	s_branch .LBB6_4802
.LBB6_5114:                             ;   in Loop: Header=BB6_4231 Depth=2
	s_or_saveexec_b32 s15, s15
	v_bfrev_b32_e32 v38, 1
	s_xor_b32 exec_lo, exec_lo, s15
	s_cbranch_execz .LBB6_4882
.LBB6_5115:                             ;   in Loop: Header=BB6_4231 Depth=2
	v_cmp_ne_u16_e32 vcc_lo, 0, v39
	v_mov_b32_e32 v38, 0
	s_and_not1_b32 s14, s14, exec_lo
	s_and_b32 s46, vcc_lo, exec_lo
	s_delay_alu instid0(SALU_CYCLE_1)
	s_or_b32 s14, s14, s46
	s_or_b32 exec_lo, exec_lo, s15
	s_and_saveexec_b32 s15, s14
	s_cbranch_execnz .LBB6_4883
	s_branch .LBB6_4884
.LBB6_5116:                             ;   in Loop: Header=BB6_4231 Depth=2
	s_or_saveexec_b32 s14, s14
	v_bfrev_b32_e32 v35, 1
	s_xor_b32 exec_lo, exec_lo, s14
	s_cbranch_execz .LBB6_4900
.LBB6_5117:                             ;   in Loop: Header=BB6_4231 Depth=2
	v_cmp_ne_u16_e32 vcc_lo, 0, v36
	v_mov_b32_e32 v35, 0
	s_and_not1_b32 s13, s13, exec_lo
	s_and_b32 s15, vcc_lo, exec_lo
	s_delay_alu instid0(SALU_CYCLE_1)
	s_or_b32 s13, s13, s15
	s_or_b32 exec_lo, exec_lo, s14
	s_and_saveexec_b32 s14, s13
	s_cbranch_execnz .LBB6_4901
	s_branch .LBB6_4902
.LBB6_5118:                             ;   in Loop: Header=BB6_4231 Depth=2
	s_or_saveexec_b32 s15, s15
	v_bfrev_b32_e32 v39, 1
	s_xor_b32 exec_lo, exec_lo, s15
	s_cbranch_execz .LBB6_4938
.LBB6_5119:                             ;   in Loop: Header=BB6_4231 Depth=2
	v_cmp_ne_u16_e32 vcc_lo, 0, v4
	v_mov_b32_e32 v39, 0
	s_and_not1_b32 s14, s14, exec_lo
	s_and_b32 s46, vcc_lo, exec_lo
	s_delay_alu instid0(SALU_CYCLE_1)
	s_or_b32 s14, s14, s46
	s_or_b32 exec_lo, exec_lo, s15
	s_and_saveexec_b32 s15, s14
	s_cbranch_execnz .LBB6_4939
	s_branch .LBB6_4940
.LBB6_5120:                             ;   in Loop: Header=BB6_4231 Depth=2
	s_or_saveexec_b32 s14, s14
	v_bfrev_b32_e32 v6, 1
	s_xor_b32 exec_lo, exec_lo, s14
	s_cbranch_execz .LBB6_4956
.LBB6_5121:                             ;   in Loop: Header=BB6_4231 Depth=2
	v_cmp_ne_u16_e32 vcc_lo, 0, v4
	v_mov_b32_e32 v6, 0
	s_and_not1_b32 s13, s13, exec_lo
	s_and_b32 s15, vcc_lo, exec_lo
	s_delay_alu instid0(SALU_CYCLE_1)
	s_or_b32 s13, s13, s15
	s_or_b32 exec_lo, exec_lo, s14
	s_and_saveexec_b32 s14, s13
	s_cbranch_execnz .LBB6_4957
	s_branch .LBB6_4958
.LBB6_5122:                             ;   in Loop: Header=BB6_4231 Depth=2
	s_or_saveexec_b32 s15, s15
	v_bfrev_b32_e32 v39, 1
	s_xor_b32 exec_lo, exec_lo, s15
	s_cbranch_execz .LBB6_4994
.LBB6_5123:                             ;   in Loop: Header=BB6_4231 Depth=2
	v_cmp_ne_u16_e32 vcc_lo, 0, v48
	v_mov_b32_e32 v39, 0
	s_and_not1_b32 s14, s14, exec_lo
	s_and_b32 s46, vcc_lo, exec_lo
	s_delay_alu instid0(SALU_CYCLE_1)
	s_or_b32 s14, s14, s46
	s_or_b32 exec_lo, exec_lo, s15
	s_and_saveexec_b32 s15, s14
	s_cbranch_execnz .LBB6_4995
	s_branch .LBB6_4996
.LBB6_5124:                             ;   in Loop: Header=BB6_4231 Depth=2
	s_or_saveexec_b32 s14, s14
	v_bfrev_b32_e32 v0, 1
	s_xor_b32 exec_lo, exec_lo, s14
	s_cbranch_execz .LBB6_5012
.LBB6_5125:                             ;   in Loop: Header=BB6_4231 Depth=2
	v_cmp_ne_u16_e32 vcc_lo, 0, v36
	v_mov_b32_e32 v0, 0
	s_and_not1_b32 s13, s13, exec_lo
	s_and_b32 s15, vcc_lo, exec_lo
	s_delay_alu instid0(SALU_CYCLE_1)
	s_or_b32 s13, s13, s15
	s_or_b32 exec_lo, exec_lo, s14
	s_and_saveexec_b32 s14, s13
	s_cbranch_execnz .LBB6_5013
	s_branch .LBB6_5014
.LBB6_5126:                             ;   in Loop: Header=BB6_49 Depth=1
	s_or_b32 exec_lo, exec_lo, s44
.LBB6_5127:                             ;   in Loop: Header=BB6_49 Depth=1
	s_delay_alu instid0(SALU_CYCLE_1)
	s_or_b32 exec_lo, exec_lo, s43
	scratch_load_b64 v[2:3], off, s33 offset:212 ; 8-byte Folded Reload
	v_cmp_lt_i32_e32 vcc_lo, 0, v22
	v_and_b32_e32 v0, 15, v45
	v_and_b32_e32 v1, 0x1f0, v45
	s_wait_loadcnt 0x0
	s_delay_alu instid0(VALU_DEP_2) | instskip(NEXT) | instid1(VALU_DEP_2)
	v_dual_cndmask_b32 v2, 0, v2, vcc_lo :: v_dual_cndmask_b32 v3, v9, v0, s10
	v_cndmask_b32_e64 v0, 0, v1, s10
	s_delay_alu instid0(VALU_DEP_2) | instskip(NEXT) | instid1(VALU_DEP_3)
	v_dual_mov_b32 v44, 0x7f800000 :: v_dual_sub_nc_u32 v1, v2, v22
	v_cmp_ne_u32_e32 vcc_lo, 0, v3
	s_delay_alu instid0(VALU_DEP_3) | instskip(NEXT) | instid1(VALU_DEP_3)
	v_and_or_b32 v9, 0x3ffffe00, v45, v0
	v_lshl_add_u32 v4, v1, 5, v8
	s_and_b32 s10, vcc_lo, exec_lo
.LBB6_5128:                             ;   in Loop: Header=BB6_49 Depth=1
	s_wait_xcnt 0x0
	s_or_b32 exec_lo, exec_lo, s42
	s_and_saveexec_b32 s13, s10
	s_cbranch_execz .LBB6_7381
.LBB6_5129:                             ;   in Loop: Header=BB6_49 Depth=1
	v_dual_ashrrev_i32 v0, 31, v4 :: v_dual_lshrrev_b32 v1, 10, v3
	s_mov_b32 s12, exec_lo
	s_delay_alu instid0(VALU_DEP_1) | instskip(NEXT) | instid1(VALU_DEP_1)
	v_lshrrev_b32_e32 v0, 27, v0
	v_add_nc_u32_e32 v0, v4, v0
	s_delay_alu instid0(VALU_DEP_1) | instskip(NEXT) | instid1(VALU_DEP_1)
	v_ashrrev_i32_e32 v5, 5, v0
	v_sub_nc_u32_e32 v126, v1, v5
	s_delay_alu instid0(VALU_DEP_1)
	v_cmpx_lt_i32_e32 0, v126
	s_cbranch_execz .LBB6_7309
; %bb.5130:                             ;   in Loop: Header=BB6_49 Depth=1
	s_clause 0x4
	scratch_store_b32 off, v3, s33 offset:404
	scratch_store_b64 off, v[108:109], s33 offset:392
	scratch_store_b64 off, v[106:107], s33 offset:384
	;; [unrolled: 1-line block ×3, first 2 shown]
	scratch_store_b32 off, v58, s33 offset:344
	v_and_b32_e32 v2, 0xffffffe0, v0
	s_trap 2
	ds_load_b64 v[0:1], v0
	s_wait_xcnt 0x4
	v_lshlrev_b32_e32 v3, 10, v5
	s_clause 0x2
	scratch_store_b32 off, v5, s33 offset:412
	scratch_store_b32 off, v4, s33 offset:408
	;; [unrolled: 1-line block ×3, first 2 shown]
	v_sub_nc_u32_e32 v2, v4, v2
	s_wait_xcnt 0x1
	v_add_nc_u64_e32 v[4:5], 0x3e0, v[104:105]
	s_bitcmp1_b32 s41, 0
	s_mov_b32 s14, 0
	s_cselect_b32 s15, -1, 0
	v_add3_u32 v2, v9, v2, v3
	s_delay_alu instid0(VALU_DEP_1) | instskip(NEXT) | instid1(VALU_DEP_1)
	v_ashrrev_i32_e32 v3, 31, v2
	v_add_nc_u64_e32 v[10:11], v[2:3], v[42:43]
	s_wait_dscnt 0x0
	v_add_nc_u64_e32 v[12:13], v[0:1], v[2:3]
	v_add_nc_u64_e32 v[14:15], v[4:5], v[2:3]
	s_branch .LBB6_5133
.LBB6_5131:                             ;   in Loop: Header=BB6_5133 Depth=2
	s_or_b32 exec_lo, exec_lo, s11
.LBB6_5132:                             ;   in Loop: Header=BB6_5133 Depth=2
	s_delay_alu instid0(SALU_CYCLE_1)
	s_or_b32 exec_lo, exec_lo, s10
	s_clause 0x16
	flat_store_b8 v[14:15], v87 offset:-992 th:TH_STORE_NT
	flat_store_b8 v[14:15], v29 offset:-960 th:TH_STORE_NT
	;; [unrolled: 1-line block ×23, first 2 shown]
	s_wait_loadcnt 0x0
	flat_store_b8 v[14:15], v66 offset:-256 th:TH_STORE_NT
	scratch_load_b64 v[2:3], off, s33 offset:212 ; 8-byte Folded Reload
	s_clause 0x7
	flat_store_b8 v[14:15], v67 offset:-224 th:TH_STORE_NT
	flat_store_b8 v[14:15], v50 offset:-192 th:TH_STORE_NT
	;; [unrolled: 1-line block ×7, first 2 shown]
	flat_store_b8 v[14:15], v1 th:TH_STORE_NT
	scratch_load_b64 v[0:1], off, s33 offset:276 ; 8-byte Folded Reload
	s_wait_loadcnt 0x1
	v_sub_nc_u32_e32 v126, v126, v2
	s_wait_loadcnt 0x0
	v_add_nc_u64_e32 v[10:11], v[10:11], v[0:1]
	v_add_nc_u64_e32 v[12:13], v[12:13], v[0:1]
	;; [unrolled: 1-line block ×3, first 2 shown]
	v_cmp_gt_i32_e32 vcc_lo, 1, v126
	s_or_b32 s14, vcc_lo, s14
	s_wait_xcnt 0x0
	s_and_not1_b32 exec_lo, exec_lo, s14
	s_cbranch_execz .LBB6_7308
.LBB6_5133:                             ;   Parent Loop BB6_49 Depth=1
                                        ; =>  This Inner Loop Header: Depth=2
	s_clause 0x8
	flat_load_u8 v5, v[10:11] th:TH_LOAD_NT
	flat_load_i8 v28, v[10:11] offset:32 th:TH_LOAD_NT
	flat_load_i8 v20, v[10:11] offset:64 th:TH_LOAD_NT
	;; [unrolled: 1-line block ×8, first 2 shown]
	s_wait_loadcnt 0xa
	s_clause 0xb
	flat_load_i8 v114, v[10:11] offset:288 th:TH_LOAD_NT
	flat_load_i8 v102, v[10:11] offset:320 th:TH_LOAD_NT
	;; [unrolled: 1-line block ×12, first 2 shown]
	s_mov_b32 s11, -1
	s_and_b32 vcc_lo, exec_lo, s15
                                        ; implicit-def: $vgpr3
	s_wait_loadcnt_dscnt 0x1414
	v_bfe_i32 v24, v5, 0, 8
	v_cmp_ne_u16_e64 s10, 0, v5
	s_wait_loadcnt_dscnt 0x0
	scratch_store_b64 off, v[0:1], s33 offset:260 ; 8-byte Folded Spill
	s_clause 0x4
	flat_load_i8 v92, v[10:11] offset:672 th:TH_LOAD_NT
	flat_load_i8 v76, v[10:11] offset:704 th:TH_LOAD_NT
	;; [unrolled: 1-line block ×5, first 2 shown]
	s_wait_loadcnt_dscnt 0x0
	scratch_store_b64 off, v[0:1], s33 offset:220 ; 8-byte Folded Spill
	flat_load_i8 v0, v[10:11] offset:832 th:TH_LOAD_NT
	s_wait_loadcnt_dscnt 0x0
	scratch_store_b64 off, v[0:1], s33 offset:228 ; 8-byte Folded Spill
	s_clause 0x1
	flat_load_i8 v88, v[10:11] offset:864 th:TH_LOAD_NT
	flat_load_i8 v0, v[10:11] offset:896 th:TH_LOAD_NT
	s_wait_loadcnt_dscnt 0x0
	scratch_store_b64 off, v[0:1], s33 offset:236 ; 8-byte Folded Spill
	s_clause 0x2
	flat_load_i8 v36, v[10:11] offset:928 th:TH_LOAD_NT
	flat_load_i8 v32, v[10:11] offset:960 th:TH_LOAD_NT
	;; [unrolled: 1-line block ×3, first 2 shown]
	s_clause 0x15
	flat_load_i8 v86, v[12:13] th:TH_LOAD_NT
	flat_load_i8 v80, v[12:13] offset:32 th:TH_LOAD_NT
	flat_load_i8 v16, v[12:13] offset:64 th:TH_LOAD_NT
	;; [unrolled: 1-line block ×21, first 2 shown]
	v_and_b32_e32 v1, 0xffff, v5
	s_wait_loadcnt_dscnt 0x0
	scratch_store_b64 off, v[18:19], s33 offset:252 ; 8-byte Folded Spill
	s_clause 0x2
	flat_load_i8 v48, v[12:13] offset:704 th:TH_LOAD_NT
	flat_load_i8 v58, v[12:13] offset:736 th:TH_LOAD_NT
	;; [unrolled: 1-line block ×3, first 2 shown]
	s_wait_loadcnt_dscnt 0x0
	scratch_store_b64 off, v[18:19], s33 offset:244 ; 8-byte Folded Spill
	s_clause 0x6
	flat_load_i8 v72, v[12:13] offset:800 th:TH_LOAD_NT
	flat_load_i8 v38, v[12:13] offset:832 th:TH_LOAD_NT
	;; [unrolled: 1-line block ×7, first 2 shown]
	s_cbranch_vccz .LBB6_5155
; %bb.5134:                             ;   in Loop: Header=BB6_5133 Depth=2
	v_dual_mov_b32 v5, 0 :: v_dual_mov_b32 v3, 0
	s_wait_xcnt 0x0
	s_and_saveexec_b32 s42, s10
	s_cbranch_execz .LBB6_5144
; %bb.5135:                             ;   in Loop: Header=BB6_5133 Depth=2
	v_bfrev_b32_e32 v3, 1
	s_mov_b32 s43, exec_lo
	v_cmpx_ne_u16_e32 0xff80, v24
	s_cbranch_execz .LBB6_5143
; %bb.5136:                             ;   in Loop: Header=BB6_5133 Depth=2
	v_and_b32_e32 v3, 0x7c, v1
	v_and_b32_e32 v7, 3, v1
	s_delay_alu instid0(VALU_DEP_2) | instskip(SKIP_1) | instid1(SALU_CYCLE_1)
	v_cmp_ne_u32_e32 vcc_lo, 0x7c, v3
                                        ; implicit-def: $vgpr3
	s_and_saveexec_b32 s11, vcc_lo
	s_xor_b32 s11, exec_lo, s11
	s_cbranch_execz .LBB6_5140
; %bb.5137:                             ;   in Loop: Header=BB6_5133 Depth=2
	v_bfe_u32 v3, v1, 2, 5
	s_mov_b32 s44, exec_lo
	s_delay_alu instid0(VALU_DEP_1)
	v_cmpx_eq_u32_e32 0, v3
; %bb.5138:                             ;   in Loop: Header=BB6_5133 Depth=2
	v_clz_i32_u32_e32 v3, v7
	s_delay_alu instid0(VALU_DEP_1) | instskip(NEXT) | instid1(VALU_DEP_1)
	v_min_u32_e32 v3, 32, v3
	v_subrev_nc_u32_e32 v7, 29, v3
	s_delay_alu instid0(VALU_DEP_1) | instskip(NEXT) | instid1(VALU_DEP_1)
	v_lshlrev_b64_e32 v[18:19], v7, v[24:25]
	v_dual_sub_nc_u32 v3, 30, v3 :: v_dual_bitop2_b32 v7, 3, v18 bitop3:0x40
; %bb.5139:                             ;   in Loop: Header=BB6_5133 Depth=2
	s_or_b32 exec_lo, exec_lo, s44
	v_bfe_i32 v9, v24, 0, 16
	s_delay_alu instid0(VALU_DEP_1) | instskip(NEXT) | instid1(VALU_DEP_1)
	v_and_b32_e32 v9, 0x80000000, v9
	v_lshl_add_u32 v3, v3, 23, v9
	s_delay_alu instid0(VALU_DEP_1) | instskip(NEXT) | instid1(VALU_DEP_1)
	v_lshl_or_b32 v3, v7, 21, v3
                                        ; implicit-def: $vgpr7
	v_add_nc_u32_e32 v3, 0x38000000, v3
.LBB6_5140:                             ;   in Loop: Header=BB6_5133 Depth=2
	s_and_not1_saveexec_b32 s44, s11
; %bb.5141:                             ;   in Loop: Header=BB6_5133 Depth=2
	v_cmp_lt_i16_e64 s11, -1, v24
	v_cmp_eq_u32_e32 vcc_lo, 0, v7
	s_delay_alu instid0(VALU_DEP_2) | instskip(NEXT) | instid1(VALU_DEP_1)
	v_cndmask_b32_e64 v3, 0xff800000, v44, s11
	v_cndmask_b32_e32 v3, 0x7f800001, v3, vcc_lo
; %bb.5142:                             ;   in Loop: Header=BB6_5133 Depth=2
	s_or_b32 exec_lo, exec_lo, s44
.LBB6_5143:                             ;   in Loop: Header=BB6_5133 Depth=2
	s_delay_alu instid0(SALU_CYCLE_1)
	s_or_b32 exec_lo, exec_lo, s43
.LBB6_5144:                             ;   in Loop: Header=BB6_5133 Depth=2
	s_delay_alu instid0(SALU_CYCLE_1) | instskip(NEXT) | instid1(SALU_CYCLE_1)
	s_or_b32 exec_lo, exec_lo, s42
	s_mov_b32 s42, exec_lo
	v_cmpx_ne_u16_e32 0, v86
	s_cbranch_execz .LBB6_5154
; %bb.5145:                             ;   in Loop: Header=BB6_5133 Depth=2
	v_bfrev_b32_e32 v5, 1
	s_mov_b32 s43, exec_lo
	v_cmpx_ne_u16_e32 0xff80, v86
	s_cbranch_execz .LBB6_5153
; %bb.5146:                             ;   in Loop: Header=BB6_5133 Depth=2
	v_and_b32_e32 v5, 0x7c, v86
	v_and_b32_e32 v7, 3, v86
	s_delay_alu instid0(VALU_DEP_2) | instskip(SKIP_1) | instid1(SALU_CYCLE_1)
	v_cmp_ne_u32_e32 vcc_lo, 0x7c, v5
                                        ; implicit-def: $vgpr5
	s_and_saveexec_b32 s11, vcc_lo
	s_xor_b32 s11, exec_lo, s11
	s_cbranch_execz .LBB6_5150
; %bb.5147:                             ;   in Loop: Header=BB6_5133 Depth=2
	v_and_b32_e32 v5, 0xff, v86
	s_mov_b32 s44, exec_lo
	s_delay_alu instid0(VALU_DEP_1) | instskip(NEXT) | instid1(VALU_DEP_1)
	v_bfe_u32 v5, v5, 2, 5
	v_cmpx_eq_u32_e32 0, v5
	s_cbranch_execz .LBB6_5149
; %bb.5148:                             ;   in Loop: Header=BB6_5133 Depth=2
	v_clz_i32_u32_e32 v5, v7
	s_delay_alu instid0(VALU_DEP_1) | instskip(SKIP_1) | instid1(VALU_DEP_2)
	v_min_u32_e32 v5, 32, v5
	v_mov_b32_e32 v87, v25
	v_subrev_nc_u32_e32 v7, 29, v5
	v_sub_nc_u32_e32 v5, 30, v5
	s_delay_alu instid0(VALU_DEP_2) | instskip(NEXT) | instid1(VALU_DEP_1)
	v_lshlrev_b64_e32 v[18:19], v7, v[86:87]
	v_and_b32_e32 v7, 3, v18
.LBB6_5149:                             ;   in Loop: Header=BB6_5133 Depth=2
	s_or_b32 exec_lo, exec_lo, s44
	v_bfe_i32 v9, v86, 0, 16
	s_delay_alu instid0(VALU_DEP_1) | instskip(NEXT) | instid1(VALU_DEP_1)
	v_and_b32_e32 v9, 0x80000000, v9
	v_lshl_add_u32 v5, v5, 23, v9
	s_delay_alu instid0(VALU_DEP_1) | instskip(NEXT) | instid1(VALU_DEP_1)
	v_lshl_or_b32 v5, v7, 21, v5
                                        ; implicit-def: $vgpr7
	v_add_nc_u32_e32 v5, 0x38000000, v5
.LBB6_5150:                             ;   in Loop: Header=BB6_5133 Depth=2
	s_and_not1_saveexec_b32 s44, s11
; %bb.5151:                             ;   in Loop: Header=BB6_5133 Depth=2
	v_cmp_lt_i16_e64 s11, -1, v86
	v_cmp_eq_u32_e32 vcc_lo, 0, v7
	s_delay_alu instid0(VALU_DEP_2) | instskip(NEXT) | instid1(VALU_DEP_1)
	v_cndmask_b32_e64 v5, 0xff800000, v44, s11
	v_cndmask_b32_e32 v5, 0x7f800001, v5, vcc_lo
; %bb.5152:                             ;   in Loop: Header=BB6_5133 Depth=2
	s_or_b32 exec_lo, exec_lo, s44
.LBB6_5153:                             ;   in Loop: Header=BB6_5133 Depth=2
	s_delay_alu instid0(SALU_CYCLE_1)
	s_or_b32 exec_lo, exec_lo, s43
.LBB6_5154:                             ;   in Loop: Header=BB6_5133 Depth=2
	s_delay_alu instid0(SALU_CYCLE_1) | instskip(NEXT) | instid1(VALU_DEP_1)
	s_or_b32 exec_lo, exec_lo, s42
	v_dual_max_num_f32 v5, v5, v5 :: v_dual_max_num_f32 v3, v3, v3
	s_mov_b32 s11, 0
	s_delay_alu instid0(VALU_DEP_1)
	v_max_num_f32_e32 v3, v3, v5
.LBB6_5155:                             ;   in Loop: Header=BB6_5133 Depth=2
	s_and_b32 vcc_lo, exec_lo, s11
	s_cbranch_vccz .LBB6_5177
; %bb.5156:                             ;   in Loop: Header=BB6_5133 Depth=2
	v_dual_mov_b32 v5, 0 :: v_dual_mov_b32 v3, 0
	s_wait_xcnt 0x0
	s_and_saveexec_b32 s11, s10
	s_cbranch_execz .LBB6_5166
; %bb.5157:                             ;   in Loop: Header=BB6_5133 Depth=2
	v_bfrev_b32_e32 v3, 1
	s_mov_b32 s42, exec_lo
	v_cmpx_ne_u16_e32 0xff80, v24
	s_cbranch_execz .LBB6_5165
; %bb.5158:                             ;   in Loop: Header=BB6_5133 Depth=2
	v_and_b32_e32 v3, 0x7c, v1
	v_and_b32_e32 v7, 3, v1
	s_delay_alu instid0(VALU_DEP_2) | instskip(SKIP_1) | instid1(SALU_CYCLE_1)
	v_cmp_ne_u32_e32 vcc_lo, 0x7c, v3
                                        ; implicit-def: $vgpr3
	s_and_saveexec_b32 s10, vcc_lo
	s_xor_b32 s10, exec_lo, s10
	s_cbranch_execz .LBB6_5162
; %bb.5159:                             ;   in Loop: Header=BB6_5133 Depth=2
	v_bfe_u32 v1, v1, 2, 5
	s_mov_b32 s43, exec_lo
	s_delay_alu instid0(VALU_DEP_1)
	v_cmpx_eq_u32_e32 0, v1
; %bb.5160:                             ;   in Loop: Header=BB6_5133 Depth=2
	v_clz_i32_u32_e32 v1, v7
	s_delay_alu instid0(VALU_DEP_1) | instskip(NEXT) | instid1(VALU_DEP_1)
	v_min_u32_e32 v1, 32, v1
	v_subrev_nc_u32_e32 v3, 29, v1
	s_delay_alu instid0(VALU_DEP_1) | instskip(NEXT) | instid1(VALU_DEP_1)
	v_lshlrev_b64_e32 v[18:19], v3, v[24:25]
	v_dual_sub_nc_u32 v1, 30, v1 :: v_dual_bitop2_b32 v7, 3, v18 bitop3:0x40
; %bb.5161:                             ;   in Loop: Header=BB6_5133 Depth=2
	s_or_b32 exec_lo, exec_lo, s43
	v_bfe_i32 v3, v24, 0, 16
	s_delay_alu instid0(VALU_DEP_1) | instskip(NEXT) | instid1(VALU_DEP_1)
	v_and_b32_e32 v3, 0x80000000, v3
	v_lshl_add_u32 v1, v1, 23, v3
	s_delay_alu instid0(VALU_DEP_1) | instskip(NEXT) | instid1(VALU_DEP_1)
	v_lshl_or_b32 v1, v7, 21, v1
                                        ; implicit-def: $vgpr7
	v_add_nc_u32_e32 v3, 0x38000000, v1
.LBB6_5162:                             ;   in Loop: Header=BB6_5133 Depth=2
	s_and_not1_saveexec_b32 s43, s10
; %bb.5163:                             ;   in Loop: Header=BB6_5133 Depth=2
	v_cmp_lt_i16_e64 s10, -1, v24
	v_cmp_eq_u32_e32 vcc_lo, 0, v7
	s_delay_alu instid0(VALU_DEP_2) | instskip(NEXT) | instid1(VALU_DEP_1)
	v_cndmask_b32_e64 v1, 0xff800000, v44, s10
	v_cndmask_b32_e32 v3, 0x7f800001, v1, vcc_lo
; %bb.5164:                             ;   in Loop: Header=BB6_5133 Depth=2
	s_or_b32 exec_lo, exec_lo, s43
.LBB6_5165:                             ;   in Loop: Header=BB6_5133 Depth=2
	s_delay_alu instid0(SALU_CYCLE_1)
	s_or_b32 exec_lo, exec_lo, s42
.LBB6_5166:                             ;   in Loop: Header=BB6_5133 Depth=2
	s_delay_alu instid0(SALU_CYCLE_1) | instskip(NEXT) | instid1(SALU_CYCLE_1)
	s_or_b32 exec_lo, exec_lo, s11
	s_mov_b32 s11, exec_lo
	v_cmpx_ne_u16_e32 0, v86
	s_cbranch_execz .LBB6_5176
; %bb.5167:                             ;   in Loop: Header=BB6_5133 Depth=2
	v_bfrev_b32_e32 v5, 1
	s_mov_b32 s42, exec_lo
	v_cmpx_ne_u16_e32 0xff80, v86
	s_cbranch_execz .LBB6_5175
; %bb.5168:                             ;   in Loop: Header=BB6_5133 Depth=2
	v_and_b32_e32 v5, 0x7c, v86
	v_and_b32_e32 v1, 3, v86
	s_delay_alu instid0(VALU_DEP_2) | instskip(SKIP_1) | instid1(SALU_CYCLE_1)
	v_cmp_ne_u32_e32 vcc_lo, 0x7c, v5
                                        ; implicit-def: $vgpr5
	s_and_saveexec_b32 s10, vcc_lo
	s_xor_b32 s10, exec_lo, s10
	s_cbranch_execz .LBB6_5172
; %bb.5169:                             ;   in Loop: Header=BB6_5133 Depth=2
	v_and_b32_e32 v5, 0xff, v86
	s_mov_b32 s43, exec_lo
	s_delay_alu instid0(VALU_DEP_1) | instskip(NEXT) | instid1(VALU_DEP_1)
	v_bfe_u32 v5, v5, 2, 5
	v_cmpx_eq_u32_e32 0, v5
; %bb.5170:                             ;   in Loop: Header=BB6_5133 Depth=2
	v_clz_i32_u32_e32 v1, v1
	s_delay_alu instid0(VALU_DEP_1) | instskip(SKIP_1) | instid1(VALU_DEP_2)
	v_min_u32_e32 v1, 32, v1
	v_mov_b32_e32 v87, v25
	v_subrev_nc_u32_e32 v5, 29, v1
	s_delay_alu instid0(VALU_DEP_1) | instskip(NEXT) | instid1(VALU_DEP_1)
	v_lshlrev_b64_e32 v[18:19], v5, v[86:87]
	v_dual_sub_nc_u32 v5, 30, v1 :: v_dual_bitop2_b32 v1, 3, v18 bitop3:0x40
; %bb.5171:                             ;   in Loop: Header=BB6_5133 Depth=2
	s_or_b32 exec_lo, exec_lo, s43
	v_bfe_i32 v7, v86, 0, 16
                                        ; implicit-def: $vgpr86
	s_delay_alu instid0(VALU_DEP_1) | instskip(NEXT) | instid1(VALU_DEP_1)
	v_and_b32_e32 v7, 0x80000000, v7
	v_lshl_add_u32 v5, v5, 23, v7
	s_delay_alu instid0(VALU_DEP_1) | instskip(NEXT) | instid1(VALU_DEP_1)
	v_lshl_or_b32 v1, v1, 21, v5
	v_add_nc_u32_e32 v5, 0x38000000, v1
                                        ; implicit-def: $vgpr1
.LBB6_5172:                             ;   in Loop: Header=BB6_5133 Depth=2
	s_and_not1_saveexec_b32 s43, s10
; %bb.5173:                             ;   in Loop: Header=BB6_5133 Depth=2
	v_cmp_lt_i16_e64 s10, -1, v86
	v_cmp_eq_u32_e32 vcc_lo, 0, v1
	s_delay_alu instid0(VALU_DEP_2) | instskip(NEXT) | instid1(VALU_DEP_1)
	v_cndmask_b32_e64 v1, 0xff800000, v44, s10
	v_cndmask_b32_e32 v5, 0x7f800001, v1, vcc_lo
; %bb.5174:                             ;   in Loop: Header=BB6_5133 Depth=2
	s_or_b32 exec_lo, exec_lo, s43
.LBB6_5175:                             ;   in Loop: Header=BB6_5133 Depth=2
	s_delay_alu instid0(SALU_CYCLE_1)
	s_or_b32 exec_lo, exec_lo, s42
.LBB6_5176:                             ;   in Loop: Header=BB6_5133 Depth=2
	s_delay_alu instid0(SALU_CYCLE_1) | instskip(NEXT) | instid1(VALU_DEP_1)
	s_or_b32 exec_lo, exec_lo, s11
	v_dual_max_num_f32 v1, v5, v5 :: v_dual_max_num_f32 v3, v3, v3
	s_delay_alu instid0(VALU_DEP_1)
	v_min_num_f32_e32 v3, v3, v1
.LBB6_5177:                             ;   in Loop: Header=BB6_5133 Depth=2
	s_wait_xcnt 0x7
	s_delay_alu instid0(VALU_DEP_1) | instskip(SKIP_4) | instid1(VALU_DEP_2)
	v_and_b32_e32 v18, 0x7f800000, v3
	v_mov_b32_e32 v19, v25
	v_and_b32_e32 v24, 0x7fffff, v3
                                        ; implicit-def: $vgpr87
	s_mov_b32 s10, exec_lo
	s_wait_xcnt 0x0
	v_cmpx_ne_u64_e32 0x7f800000, v[18:19]
	s_xor_b32 s11, exec_lo, s10
	s_cbranch_execz .LBB6_5195
; %bb.5178:                             ;   in Loop: Header=BB6_5133 Depth=2
	v_dual_mov_b32 v19, v25 :: v_dual_lshrrev_b32 v1, 24, v3
	v_and_b32_e32 v18, 0x7fffffff, v3
                                        ; implicit-def: $vgpr87
	s_mov_b32 s10, exec_lo
	s_delay_alu instid0(VALU_DEP_2) | instskip(NEXT) | instid1(VALU_DEP_2)
	v_and_b32_e32 v1, 0x80, v1
	v_cmpx_gt_u64_e32 0x47600001, v[18:19]
	s_xor_b32 s42, exec_lo, s10
	s_cbranch_execz .LBB6_5192
; %bb.5179:                             ;   in Loop: Header=BB6_5133 Depth=2
	v_mov_b32_e32 v87, 0
	s_mov_b32 s43, exec_lo
	v_cmpx_ne_u32_e32 0, v3
	s_cbranch_execz .LBB6_5191
; %bb.5180:                             ;   in Loop: Header=BB6_5133 Depth=2
	v_bfe_u32 v3, v3, 23, 8
	v_or_b32_e32 v7, 0x800000, v24
	s_delay_alu instid0(VALU_DEP_2) | instskip(SKIP_1) | instid1(VALU_DEP_3)
	v_cmp_eq_u32_e32 vcc_lo, 0, v3
	v_cmp_gt_u32_e64 s10, 0x72, v3
	v_dual_cndmask_b32 v24, v7, v24 :: v_dual_sub_nc_u32 v5, 0x71, v3
	s_delay_alu instid0(VALU_DEP_1) | instskip(NEXT) | instid1(VALU_DEP_1)
	v_cndmask_b32_e64 v5, 0, v5, s10
	v_cndmask_b32_e64 v5, v5, 0x70, vcc_lo
	s_delay_alu instid0(VALU_DEP_1) | instskip(NEXT) | instid1(VALU_DEP_1)
	v_add_nc_u32_e32 v7, 21, v5
	v_lshlrev_b64_e64 v[18:19], v7, -1
	v_add_nc_u32_e32 v7, 20, v5
	s_delay_alu instid0(VALU_DEP_1) | instskip(NEXT) | instid1(VALU_DEP_3)
	v_lshlrev_b64_e64 v[86:87], v7, 1
	v_bfi_b32 v19, v19, 0, 0
	s_delay_alu instid0(VALU_DEP_4) | instskip(NEXT) | instid1(VALU_DEP_1)
	v_bfi_b32 v18, v18, 0, v24
	v_cmp_eq_u64_e64 s10, v[18:19], v[86:87]
	v_lshrrev_b64 v[86:87], v5, v[24:25]
	s_delay_alu instid0(VALU_DEP_1)
	v_mov_b64_e32 v[18:19], v[86:87]
	s_and_saveexec_b32 s44, s10
; %bb.5181:                             ;   in Loop: Header=BB6_5133 Depth=2
	v_bfe_u32 v24, v86, 21, 1
	s_delay_alu instid0(VALU_DEP_1) | instskip(NEXT) | instid1(VALU_DEP_1)
	v_add_nc_u64_e32 v[18:19], v[86:87], v[24:25]
	v_add_nc_u64_e32 v[18:19], -1, v[18:19]
; %bb.5182:                             ;   in Loop: Header=BB6_5133 Depth=2
	s_or_b32 exec_lo, exec_lo, s44
	v_add_nc_u32_e32 v3, 0xffffff81, v3
	v_lshrrev_b32_e32 v7, 23, v86
	s_mov_b32 s10, exec_lo
	s_delay_alu instid0(VALU_DEP_2) | instskip(NEXT) | instid1(VALU_DEP_1)
	v_cndmask_b32_e64 v3, v3, 0xffffff82, vcc_lo
	v_add3_u32 v7, v5, v3, v7
	v_and_b32_e32 v3, 0x1fffff, v18
	s_delay_alu instid0(VALU_DEP_1) | instskip(NEXT) | instid1(VALU_DEP_1)
	v_dual_add_nc_u32 v5, 14, v7 :: v_dual_add_nc_u32 v24, v3, v86
                                        ; implicit-def: $vgpr86_vgpr87
                                        ; implicit-def: $vgpr3
	v_cmpx_ne_u32_e32 0, v5
	s_xor_b32 s10, exec_lo, s10
; %bb.5183:                             ;   in Loop: Header=BB6_5133 Depth=2
	s_delay_alu instid0(VALU_DEP_2) | instskip(SKIP_1) | instid1(VALU_DEP_1)
	v_cmp_lt_u64_e32 vcc_lo, 0xffffff, v[24:25]
	v_add_nc_u32_e32 v3, 15, v7
	v_cndmask_b32_e32 v3, v5, v3, vcc_lo
	v_cndmask_b32_e64 v5, 0, 1, vcc_lo
	s_delay_alu instid0(VALU_DEP_1)
	v_lshrrev_b64 v[86:87], v5, v[24:25]
; %bb.5184:                             ;   in Loop: Header=BB6_5133 Depth=2
	s_and_not1_saveexec_b32 s10, s10
; %bb.5185:                             ;   in Loop: Header=BB6_5133 Depth=2
	v_mov_b64_e32 v[86:87], v[24:25]
	v_bfe_u32 v3, v24, 23, 1
; %bb.5186:                             ;   in Loop: Header=BB6_5133 Depth=2
	s_or_b32 exec_lo, exec_lo, s10
	s_delay_alu instid0(VALU_DEP_2) | instskip(NEXT) | instid1(VALU_DEP_2)
	v_lshrrev_b64 v[18:19], 21, v[86:87]
	v_cmp_gt_i32_e32 vcc_lo, 32, v3
	v_cmp_ne_u32_e64 s10, 0, v3
	s_delay_alu instid0(VALU_DEP_3) | instskip(NEXT) | instid1(VALU_DEP_1)
	v_dual_cndmask_b32 v87, 0, v19 :: v_dual_cndmask_b32 v86, 3, v18
	v_cmp_ne_u64_e32 vcc_lo, 0, v[86:87]
                                        ; implicit-def: $vgpr87
	s_or_b32 s10, s10, vcc_lo
	s_delay_alu instid0(SALU_CYCLE_1) | instskip(NEXT) | instid1(SALU_CYCLE_1)
	s_and_saveexec_b32 s44, s10
	s_xor_b32 s10, exec_lo, s44
; %bb.5187:                             ;   in Loop: Header=BB6_5133 Depth=2
	v_min_i32_e32 v3, 31, v3
	s_delay_alu instid0(VALU_DEP_1) | instskip(NEXT) | instid1(VALU_DEP_1)
	v_lshl_or_b32 v1, v3, 2, v1
	v_and_or_b32 v87, v86, 3, v1
                                        ; implicit-def: $vgpr1
; %bb.5188:                             ;   in Loop: Header=BB6_5133 Depth=2
	s_and_not1_saveexec_b32 s10, s10
; %bb.5189:                             ;   in Loop: Header=BB6_5133 Depth=2
	v_mov_b32_e32 v87, v1
; %bb.5190:                             ;   in Loop: Header=BB6_5133 Depth=2
	s_or_b32 exec_lo, exec_lo, s10
.LBB6_5191:                             ;   in Loop: Header=BB6_5133 Depth=2
	s_delay_alu instid0(SALU_CYCLE_1)
	s_or_b32 exec_lo, exec_lo, s43
                                        ; implicit-def: $vgpr1
.LBB6_5192:                             ;   in Loop: Header=BB6_5133 Depth=2
	s_and_not1_saveexec_b32 s10, s42
; %bb.5193:                             ;   in Loop: Header=BB6_5133 Depth=2
	v_or_b32_e32 v87, 0x7b, v1
; %bb.5194:                             ;   in Loop: Header=BB6_5133 Depth=2
	s_or_b32 exec_lo, exec_lo, s10
                                        ; implicit-def: $vgpr3
.LBB6_5195:                             ;   in Loop: Header=BB6_5133 Depth=2
	s_and_not1_saveexec_b32 s10, s11
	s_cbranch_execz .LBB6_5201
; %bb.5196:                             ;   in Loop: Header=BB6_5133 Depth=2
	s_mov_b32 s11, exec_lo
                                        ; implicit-def: $vgpr87
	v_cmpx_ne_u64_e32 0, v[24:25]
	s_xor_b32 s11, exec_lo, s11
; %bb.5197:                             ;   in Loop: Header=BB6_5133 Depth=2
	v_lshrrev_b32_e32 v1, 24, v3
                                        ; implicit-def: $vgpr3
	s_delay_alu instid0(VALU_DEP_1)
	v_or_b32_e32 v87, 0x7f, v1
; %bb.5198:                             ;   in Loop: Header=BB6_5133 Depth=2
	s_and_not1_saveexec_b32 s11, s11
; %bb.5199:                             ;   in Loop: Header=BB6_5133 Depth=2
	v_cmp_lt_i32_e32 vcc_lo, -1, v3
	v_cndmask_b32_e64 v87, -4, 0x7c, vcc_lo
; %bb.5200:                             ;   in Loop: Header=BB6_5133 Depth=2
	s_or_b32 exec_lo, exec_lo, s11
.LBB6_5201:                             ;   in Loop: Header=BB6_5133 Depth=2
	s_delay_alu instid0(SALU_CYCLE_1)
	s_or_b32 exec_lo, exec_lo, s10
	v_and_b32_e32 v1, 0xff, v28
	v_cmp_ne_u16_e64 s10, 0, v28
	s_mov_b32 s11, -1
	s_and_not1_b32 vcc_lo, exec_lo, s15
                                        ; implicit-def: $vgpr3
	s_cbranch_vccnz .LBB6_5223
; %bb.5202:                             ;   in Loop: Header=BB6_5133 Depth=2
	v_dual_mov_b32 v5, 0 :: v_dual_mov_b32 v3, 0
	s_and_saveexec_b32 s42, s10
	s_cbranch_execz .LBB6_5212
; %bb.5203:                             ;   in Loop: Header=BB6_5133 Depth=2
	v_bfrev_b32_e32 v3, 1
	s_mov_b32 s43, exec_lo
	v_cmpx_ne_u16_e32 0xff80, v28
	s_cbranch_execz .LBB6_5211
; %bb.5204:                             ;   in Loop: Header=BB6_5133 Depth=2
	v_and_b32_e32 v3, 0x7c, v1
	v_and_b32_e32 v7, 3, v1
	s_delay_alu instid0(VALU_DEP_2) | instskip(SKIP_1) | instid1(SALU_CYCLE_1)
	v_cmp_ne_u32_e32 vcc_lo, 0x7c, v3
                                        ; implicit-def: $vgpr3
	s_and_saveexec_b32 s11, vcc_lo
	s_xor_b32 s11, exec_lo, s11
	s_cbranch_execz .LBB6_5208
; %bb.5205:                             ;   in Loop: Header=BB6_5133 Depth=2
	v_bfe_u32 v3, v1, 2, 5
	s_mov_b32 s44, exec_lo
	s_delay_alu instid0(VALU_DEP_1)
	v_cmpx_eq_u32_e32 0, v3
	s_cbranch_execz .LBB6_5207
; %bb.5206:                             ;   in Loop: Header=BB6_5133 Depth=2
	v_clz_i32_u32_e32 v3, v7
	s_delay_alu instid0(VALU_DEP_1) | instskip(SKIP_1) | instid1(VALU_DEP_2)
	v_min_u32_e32 v3, 32, v3
	v_mov_b32_e32 v29, v25
	v_subrev_nc_u32_e32 v7, 29, v3
	v_sub_nc_u32_e32 v3, 30, v3
	s_delay_alu instid0(VALU_DEP_2) | instskip(NEXT) | instid1(VALU_DEP_1)
	v_lshlrev_b64_e32 v[18:19], v7, v[28:29]
	v_and_b32_e32 v7, 3, v18
.LBB6_5207:                             ;   in Loop: Header=BB6_5133 Depth=2
	s_or_b32 exec_lo, exec_lo, s44
	v_bfe_i32 v9, v28, 0, 16
	s_delay_alu instid0(VALU_DEP_1) | instskip(NEXT) | instid1(VALU_DEP_1)
	v_and_b32_e32 v9, 0x80000000, v9
	v_lshl_add_u32 v3, v3, 23, v9
	s_delay_alu instid0(VALU_DEP_1) | instskip(NEXT) | instid1(VALU_DEP_1)
	v_lshl_or_b32 v3, v7, 21, v3
                                        ; implicit-def: $vgpr7
	v_add_nc_u32_e32 v3, 0x38000000, v3
.LBB6_5208:                             ;   in Loop: Header=BB6_5133 Depth=2
	s_and_not1_saveexec_b32 s44, s11
; %bb.5209:                             ;   in Loop: Header=BB6_5133 Depth=2
	v_cmp_lt_i16_e64 s11, -1, v28
	v_cmp_eq_u32_e32 vcc_lo, 0, v7
	s_delay_alu instid0(VALU_DEP_2) | instskip(NEXT) | instid1(VALU_DEP_1)
	v_cndmask_b32_e64 v3, 0xff800000, v44, s11
	v_cndmask_b32_e32 v3, 0x7f800001, v3, vcc_lo
; %bb.5210:                             ;   in Loop: Header=BB6_5133 Depth=2
	s_or_b32 exec_lo, exec_lo, s44
.LBB6_5211:                             ;   in Loop: Header=BB6_5133 Depth=2
	s_delay_alu instid0(SALU_CYCLE_1)
	s_or_b32 exec_lo, exec_lo, s43
.LBB6_5212:                             ;   in Loop: Header=BB6_5133 Depth=2
	s_delay_alu instid0(SALU_CYCLE_1) | instskip(NEXT) | instid1(SALU_CYCLE_1)
	s_or_b32 exec_lo, exec_lo, s42
	s_mov_b32 s42, exec_lo
	v_cmpx_ne_u16_e32 0, v80
	s_cbranch_execz .LBB6_5222
; %bb.5213:                             ;   in Loop: Header=BB6_5133 Depth=2
	v_bfrev_b32_e32 v5, 1
	s_mov_b32 s43, exec_lo
	v_cmpx_ne_u16_e32 0xff80, v80
	s_cbranch_execz .LBB6_5221
; %bb.5214:                             ;   in Loop: Header=BB6_5133 Depth=2
	v_and_b32_e32 v5, 0x7c, v80
	v_and_b32_e32 v7, 3, v80
	s_delay_alu instid0(VALU_DEP_2) | instskip(SKIP_1) | instid1(SALU_CYCLE_1)
	v_cmp_ne_u32_e32 vcc_lo, 0x7c, v5
                                        ; implicit-def: $vgpr5
	s_and_saveexec_b32 s11, vcc_lo
	s_xor_b32 s11, exec_lo, s11
	s_cbranch_execz .LBB6_5218
; %bb.5215:                             ;   in Loop: Header=BB6_5133 Depth=2
	v_and_b32_e32 v5, 0xff, v80
	s_mov_b32 s44, exec_lo
	s_delay_alu instid0(VALU_DEP_1) | instskip(NEXT) | instid1(VALU_DEP_1)
	v_bfe_u32 v5, v5, 2, 5
	v_cmpx_eq_u32_e32 0, v5
	s_cbranch_execz .LBB6_5217
; %bb.5216:                             ;   in Loop: Header=BB6_5133 Depth=2
	v_clz_i32_u32_e32 v5, v7
	s_delay_alu instid0(VALU_DEP_1) | instskip(SKIP_1) | instid1(VALU_DEP_2)
	v_min_u32_e32 v5, 32, v5
	v_mov_b32_e32 v81, v25
	v_subrev_nc_u32_e32 v7, 29, v5
	v_sub_nc_u32_e32 v5, 30, v5
	s_delay_alu instid0(VALU_DEP_2) | instskip(NEXT) | instid1(VALU_DEP_1)
	v_lshlrev_b64_e32 v[18:19], v7, v[80:81]
	v_and_b32_e32 v7, 3, v18
.LBB6_5217:                             ;   in Loop: Header=BB6_5133 Depth=2
	s_or_b32 exec_lo, exec_lo, s44
	v_bfe_i32 v9, v80, 0, 16
	s_delay_alu instid0(VALU_DEP_1) | instskip(NEXT) | instid1(VALU_DEP_1)
	v_and_b32_e32 v9, 0x80000000, v9
	v_lshl_add_u32 v5, v5, 23, v9
	s_delay_alu instid0(VALU_DEP_1) | instskip(NEXT) | instid1(VALU_DEP_1)
	v_lshl_or_b32 v5, v7, 21, v5
                                        ; implicit-def: $vgpr7
	v_add_nc_u32_e32 v5, 0x38000000, v5
.LBB6_5218:                             ;   in Loop: Header=BB6_5133 Depth=2
	s_and_not1_saveexec_b32 s44, s11
; %bb.5219:                             ;   in Loop: Header=BB6_5133 Depth=2
	v_cmp_lt_i16_e64 s11, -1, v80
	v_cmp_eq_u32_e32 vcc_lo, 0, v7
	s_delay_alu instid0(VALU_DEP_2) | instskip(NEXT) | instid1(VALU_DEP_1)
	v_cndmask_b32_e64 v5, 0xff800000, v44, s11
	v_cndmask_b32_e32 v5, 0x7f800001, v5, vcc_lo
; %bb.5220:                             ;   in Loop: Header=BB6_5133 Depth=2
	s_or_b32 exec_lo, exec_lo, s44
.LBB6_5221:                             ;   in Loop: Header=BB6_5133 Depth=2
	s_delay_alu instid0(SALU_CYCLE_1)
	s_or_b32 exec_lo, exec_lo, s43
.LBB6_5222:                             ;   in Loop: Header=BB6_5133 Depth=2
	s_delay_alu instid0(SALU_CYCLE_1) | instskip(NEXT) | instid1(VALU_DEP_1)
	s_or_b32 exec_lo, exec_lo, s42
	v_dual_max_num_f32 v5, v5, v5 :: v_dual_max_num_f32 v3, v3, v3
	s_mov_b32 s11, 0
	s_delay_alu instid0(VALU_DEP_1)
	v_max_num_f32_e32 v3, v3, v5
.LBB6_5223:                             ;   in Loop: Header=BB6_5133 Depth=2
	s_and_b32 vcc_lo, exec_lo, s11
	s_cbranch_vccz .LBB6_5245
; %bb.5224:                             ;   in Loop: Header=BB6_5133 Depth=2
	v_dual_mov_b32 v5, 0 :: v_dual_mov_b32 v3, 0
	s_and_saveexec_b32 s11, s10
	s_cbranch_execz .LBB6_5234
; %bb.5225:                             ;   in Loop: Header=BB6_5133 Depth=2
	v_bfrev_b32_e32 v3, 1
	s_mov_b32 s42, exec_lo
	v_cmpx_ne_u16_e32 0xff80, v28
	s_cbranch_execz .LBB6_5233
; %bb.5226:                             ;   in Loop: Header=BB6_5133 Depth=2
	v_and_b32_e32 v3, 0x7c, v1
	v_and_b32_e32 v7, 3, v1
	s_delay_alu instid0(VALU_DEP_2) | instskip(SKIP_1) | instid1(SALU_CYCLE_1)
	v_cmp_ne_u32_e32 vcc_lo, 0x7c, v3
                                        ; implicit-def: $vgpr3
	s_and_saveexec_b32 s10, vcc_lo
	s_xor_b32 s10, exec_lo, s10
	s_cbranch_execz .LBB6_5230
; %bb.5227:                             ;   in Loop: Header=BB6_5133 Depth=2
	v_bfe_u32 v1, v1, 2, 5
	s_mov_b32 s43, exec_lo
	s_delay_alu instid0(VALU_DEP_1)
	v_cmpx_eq_u32_e32 0, v1
	s_cbranch_execz .LBB6_5229
; %bb.5228:                             ;   in Loop: Header=BB6_5133 Depth=2
	v_clz_i32_u32_e32 v1, v7
	s_delay_alu instid0(VALU_DEP_1) | instskip(SKIP_1) | instid1(VALU_DEP_2)
	v_min_u32_e32 v1, 32, v1
	v_mov_b32_e32 v29, v25
	v_subrev_nc_u32_e32 v3, 29, v1
	v_sub_nc_u32_e32 v1, 30, v1
	s_delay_alu instid0(VALU_DEP_2) | instskip(NEXT) | instid1(VALU_DEP_1)
	v_lshlrev_b64_e32 v[18:19], v3, v[28:29]
	v_and_b32_e32 v7, 3, v18
.LBB6_5229:                             ;   in Loop: Header=BB6_5133 Depth=2
	s_or_b32 exec_lo, exec_lo, s43
	v_bfe_i32 v3, v28, 0, 16
                                        ; implicit-def: $vgpr28
	s_delay_alu instid0(VALU_DEP_1) | instskip(NEXT) | instid1(VALU_DEP_1)
	v_and_b32_e32 v3, 0x80000000, v3
	v_lshl_add_u32 v1, v1, 23, v3
	s_delay_alu instid0(VALU_DEP_1) | instskip(NEXT) | instid1(VALU_DEP_1)
	v_lshl_or_b32 v1, v7, 21, v1
                                        ; implicit-def: $vgpr7
	v_add_nc_u32_e32 v3, 0x38000000, v1
.LBB6_5230:                             ;   in Loop: Header=BB6_5133 Depth=2
	s_and_not1_saveexec_b32 s43, s10
; %bb.5231:                             ;   in Loop: Header=BB6_5133 Depth=2
	v_cmp_lt_i16_e64 s10, -1, v28
	v_cmp_eq_u32_e32 vcc_lo, 0, v7
	s_delay_alu instid0(VALU_DEP_2) | instskip(NEXT) | instid1(VALU_DEP_1)
	v_cndmask_b32_e64 v1, 0xff800000, v44, s10
	v_cndmask_b32_e32 v3, 0x7f800001, v1, vcc_lo
; %bb.5232:                             ;   in Loop: Header=BB6_5133 Depth=2
	s_or_b32 exec_lo, exec_lo, s43
.LBB6_5233:                             ;   in Loop: Header=BB6_5133 Depth=2
	s_delay_alu instid0(SALU_CYCLE_1)
	s_or_b32 exec_lo, exec_lo, s42
.LBB6_5234:                             ;   in Loop: Header=BB6_5133 Depth=2
	s_delay_alu instid0(SALU_CYCLE_1) | instskip(NEXT) | instid1(SALU_CYCLE_1)
	s_or_b32 exec_lo, exec_lo, s11
	s_mov_b32 s11, exec_lo
	v_cmpx_ne_u16_e32 0, v80
	s_cbranch_execz .LBB6_5244
; %bb.5235:                             ;   in Loop: Header=BB6_5133 Depth=2
	v_bfrev_b32_e32 v5, 1
	s_mov_b32 s42, exec_lo
	v_cmpx_ne_u16_e32 0xff80, v80
	s_cbranch_execz .LBB6_5243
; %bb.5236:                             ;   in Loop: Header=BB6_5133 Depth=2
	v_and_b32_e32 v5, 0x7c, v80
	v_and_b32_e32 v1, 3, v80
	s_delay_alu instid0(VALU_DEP_2) | instskip(SKIP_1) | instid1(SALU_CYCLE_1)
	v_cmp_ne_u32_e32 vcc_lo, 0x7c, v5
                                        ; implicit-def: $vgpr5
	s_and_saveexec_b32 s10, vcc_lo
	s_xor_b32 s10, exec_lo, s10
	s_cbranch_execz .LBB6_5240
; %bb.5237:                             ;   in Loop: Header=BB6_5133 Depth=2
	v_and_b32_e32 v5, 0xff, v80
	s_mov_b32 s43, exec_lo
	s_delay_alu instid0(VALU_DEP_1) | instskip(NEXT) | instid1(VALU_DEP_1)
	v_bfe_u32 v5, v5, 2, 5
	v_cmpx_eq_u32_e32 0, v5
; %bb.5238:                             ;   in Loop: Header=BB6_5133 Depth=2
	v_clz_i32_u32_e32 v1, v1
	s_delay_alu instid0(VALU_DEP_1) | instskip(SKIP_1) | instid1(VALU_DEP_2)
	v_min_u32_e32 v1, 32, v1
	v_mov_b32_e32 v81, v25
	v_subrev_nc_u32_e32 v5, 29, v1
	s_delay_alu instid0(VALU_DEP_1) | instskip(NEXT) | instid1(VALU_DEP_1)
	v_lshlrev_b64_e32 v[18:19], v5, v[80:81]
	v_dual_sub_nc_u32 v5, 30, v1 :: v_dual_bitop2_b32 v1, 3, v18 bitop3:0x40
; %bb.5239:                             ;   in Loop: Header=BB6_5133 Depth=2
	s_or_b32 exec_lo, exec_lo, s43
	v_bfe_i32 v7, v80, 0, 16
                                        ; implicit-def: $vgpr80
	s_delay_alu instid0(VALU_DEP_1) | instskip(NEXT) | instid1(VALU_DEP_1)
	v_and_b32_e32 v7, 0x80000000, v7
	v_lshl_add_u32 v5, v5, 23, v7
	s_delay_alu instid0(VALU_DEP_1) | instskip(NEXT) | instid1(VALU_DEP_1)
	v_lshl_or_b32 v1, v1, 21, v5
	v_add_nc_u32_e32 v5, 0x38000000, v1
                                        ; implicit-def: $vgpr1
.LBB6_5240:                             ;   in Loop: Header=BB6_5133 Depth=2
	s_and_not1_saveexec_b32 s43, s10
; %bb.5241:                             ;   in Loop: Header=BB6_5133 Depth=2
	v_cmp_lt_i16_e64 s10, -1, v80
	v_cmp_eq_u32_e32 vcc_lo, 0, v1
	s_delay_alu instid0(VALU_DEP_2) | instskip(NEXT) | instid1(VALU_DEP_1)
	v_cndmask_b32_e64 v1, 0xff800000, v44, s10
	v_cndmask_b32_e32 v5, 0x7f800001, v1, vcc_lo
; %bb.5242:                             ;   in Loop: Header=BB6_5133 Depth=2
	s_or_b32 exec_lo, exec_lo, s43
.LBB6_5243:                             ;   in Loop: Header=BB6_5133 Depth=2
	s_delay_alu instid0(SALU_CYCLE_1)
	s_or_b32 exec_lo, exec_lo, s42
.LBB6_5244:                             ;   in Loop: Header=BB6_5133 Depth=2
	s_delay_alu instid0(SALU_CYCLE_1) | instskip(NEXT) | instid1(VALU_DEP_1)
	s_or_b32 exec_lo, exec_lo, s11
	v_dual_max_num_f32 v1, v5, v5 :: v_dual_max_num_f32 v3, v3, v3
	s_delay_alu instid0(VALU_DEP_1)
	v_min_num_f32_e32 v3, v3, v1
.LBB6_5245:                             ;   in Loop: Header=BB6_5133 Depth=2
	s_delay_alu instid0(VALU_DEP_1) | instskip(SKIP_3) | instid1(VALU_DEP_2)
	v_and_b32_e32 v18, 0x7f800000, v3
	v_mov_b32_e32 v19, v25
	v_and_b32_e32 v24, 0x7fffff, v3
                                        ; implicit-def: $vgpr29
	s_mov_b32 s10, exec_lo
	v_cmpx_ne_u64_e32 0x7f800000, v[18:19]
	s_xor_b32 s11, exec_lo, s10
	s_cbranch_execz .LBB6_5263
; %bb.5246:                             ;   in Loop: Header=BB6_5133 Depth=2
	v_dual_mov_b32 v19, v25 :: v_dual_lshrrev_b32 v1, 24, v3
	v_and_b32_e32 v18, 0x7fffffff, v3
                                        ; implicit-def: $vgpr29
	s_mov_b32 s10, exec_lo
	s_delay_alu instid0(VALU_DEP_2) | instskip(NEXT) | instid1(VALU_DEP_2)
	v_and_b32_e32 v1, 0x80, v1
	v_cmpx_gt_u64_e32 0x47600001, v[18:19]
	s_xor_b32 s42, exec_lo, s10
	s_cbranch_execz .LBB6_5260
; %bb.5247:                             ;   in Loop: Header=BB6_5133 Depth=2
	v_mov_b32_e32 v29, 0
	s_mov_b32 s43, exec_lo
	v_cmpx_ne_u32_e32 0, v3
	s_cbranch_execz .LBB6_5259
; %bb.5248:                             ;   in Loop: Header=BB6_5133 Depth=2
	v_bfe_u32 v3, v3, 23, 8
	v_or_b32_e32 v7, 0x800000, v24
	s_delay_alu instid0(VALU_DEP_2) | instskip(SKIP_1) | instid1(VALU_DEP_3)
	v_cmp_eq_u32_e32 vcc_lo, 0, v3
	v_cmp_gt_u32_e64 s10, 0x72, v3
	v_dual_cndmask_b32 v24, v7, v24 :: v_dual_sub_nc_u32 v5, 0x71, v3
	s_delay_alu instid0(VALU_DEP_1) | instskip(NEXT) | instid1(VALU_DEP_1)
	v_cndmask_b32_e64 v5, 0, v5, s10
	v_cndmask_b32_e64 v5, v5, 0x70, vcc_lo
	s_delay_alu instid0(VALU_DEP_1) | instskip(NEXT) | instid1(VALU_DEP_1)
	v_add_nc_u32_e32 v7, 21, v5
	v_lshlrev_b64_e64 v[18:19], v7, -1
	v_add_nc_u32_e32 v7, 20, v5
	s_delay_alu instid0(VALU_DEP_1) | instskip(NEXT) | instid1(VALU_DEP_3)
	v_lshlrev_b64_e64 v[28:29], v7, 1
	v_bfi_b32 v19, v19, 0, 0
	s_delay_alu instid0(VALU_DEP_4) | instskip(NEXT) | instid1(VALU_DEP_1)
	v_bfi_b32 v18, v18, 0, v24
	v_cmp_eq_u64_e64 s10, v[18:19], v[28:29]
	v_lshrrev_b64 v[28:29], v5, v[24:25]
	s_delay_alu instid0(VALU_DEP_1)
	v_mov_b64_e32 v[18:19], v[28:29]
	s_and_saveexec_b32 s44, s10
; %bb.5249:                             ;   in Loop: Header=BB6_5133 Depth=2
	v_bfe_u32 v24, v28, 21, 1
	s_delay_alu instid0(VALU_DEP_1) | instskip(NEXT) | instid1(VALU_DEP_1)
	v_add_nc_u64_e32 v[18:19], v[28:29], v[24:25]
	v_add_nc_u64_e32 v[18:19], -1, v[18:19]
; %bb.5250:                             ;   in Loop: Header=BB6_5133 Depth=2
	s_or_b32 exec_lo, exec_lo, s44
	v_add_nc_u32_e32 v3, 0xffffff81, v3
	v_lshrrev_b32_e32 v7, 23, v28
	s_mov_b32 s10, exec_lo
	s_delay_alu instid0(VALU_DEP_2) | instskip(NEXT) | instid1(VALU_DEP_1)
	v_cndmask_b32_e64 v3, v3, 0xffffff82, vcc_lo
	v_add3_u32 v7, v5, v3, v7
	v_and_b32_e32 v3, 0x1fffff, v18
	s_delay_alu instid0(VALU_DEP_1) | instskip(NEXT) | instid1(VALU_DEP_1)
	v_dual_add_nc_u32 v5, 14, v7 :: v_dual_add_nc_u32 v24, v3, v28
                                        ; implicit-def: $vgpr28_vgpr29
                                        ; implicit-def: $vgpr3
	v_cmpx_ne_u32_e32 0, v5
	s_xor_b32 s10, exec_lo, s10
; %bb.5251:                             ;   in Loop: Header=BB6_5133 Depth=2
	s_delay_alu instid0(VALU_DEP_2) | instskip(SKIP_1) | instid1(VALU_DEP_1)
	v_cmp_lt_u64_e32 vcc_lo, 0xffffff, v[24:25]
	v_add_nc_u32_e32 v3, 15, v7
	v_cndmask_b32_e32 v3, v5, v3, vcc_lo
	v_cndmask_b32_e64 v5, 0, 1, vcc_lo
	s_delay_alu instid0(VALU_DEP_1)
	v_lshrrev_b64 v[28:29], v5, v[24:25]
; %bb.5252:                             ;   in Loop: Header=BB6_5133 Depth=2
	s_and_not1_saveexec_b32 s10, s10
; %bb.5253:                             ;   in Loop: Header=BB6_5133 Depth=2
	v_mov_b64_e32 v[28:29], v[24:25]
	v_bfe_u32 v3, v24, 23, 1
; %bb.5254:                             ;   in Loop: Header=BB6_5133 Depth=2
	s_or_b32 exec_lo, exec_lo, s10
	s_delay_alu instid0(VALU_DEP_2) | instskip(NEXT) | instid1(VALU_DEP_2)
	v_lshrrev_b64 v[18:19], 21, v[28:29]
	v_cmp_gt_i32_e32 vcc_lo, 32, v3
	v_cmp_ne_u32_e64 s10, 0, v3
	s_delay_alu instid0(VALU_DEP_3) | instskip(NEXT) | instid1(VALU_DEP_1)
	v_dual_cndmask_b32 v29, 0, v19 :: v_dual_cndmask_b32 v28, 3, v18
	v_cmp_ne_u64_e32 vcc_lo, 0, v[28:29]
                                        ; implicit-def: $vgpr29
	s_or_b32 s10, s10, vcc_lo
	s_delay_alu instid0(SALU_CYCLE_1) | instskip(NEXT) | instid1(SALU_CYCLE_1)
	s_and_saveexec_b32 s44, s10
	s_xor_b32 s10, exec_lo, s44
; %bb.5255:                             ;   in Loop: Header=BB6_5133 Depth=2
	v_min_i32_e32 v3, 31, v3
	s_delay_alu instid0(VALU_DEP_1) | instskip(NEXT) | instid1(VALU_DEP_1)
	v_lshl_or_b32 v1, v3, 2, v1
	v_and_or_b32 v29, v28, 3, v1
                                        ; implicit-def: $vgpr1
; %bb.5256:                             ;   in Loop: Header=BB6_5133 Depth=2
	s_and_not1_saveexec_b32 s10, s10
; %bb.5257:                             ;   in Loop: Header=BB6_5133 Depth=2
	v_mov_b32_e32 v29, v1
; %bb.5258:                             ;   in Loop: Header=BB6_5133 Depth=2
	s_or_b32 exec_lo, exec_lo, s10
.LBB6_5259:                             ;   in Loop: Header=BB6_5133 Depth=2
	s_delay_alu instid0(SALU_CYCLE_1)
	s_or_b32 exec_lo, exec_lo, s43
                                        ; implicit-def: $vgpr1
.LBB6_5260:                             ;   in Loop: Header=BB6_5133 Depth=2
	s_and_not1_saveexec_b32 s10, s42
; %bb.5261:                             ;   in Loop: Header=BB6_5133 Depth=2
	v_or_b32_e32 v29, 0x7b, v1
; %bb.5262:                             ;   in Loop: Header=BB6_5133 Depth=2
	s_or_b32 exec_lo, exec_lo, s10
                                        ; implicit-def: $vgpr3
.LBB6_5263:                             ;   in Loop: Header=BB6_5133 Depth=2
	s_and_not1_saveexec_b32 s10, s11
	s_cbranch_execz .LBB6_5269
; %bb.5264:                             ;   in Loop: Header=BB6_5133 Depth=2
	s_mov_b32 s11, exec_lo
                                        ; implicit-def: $vgpr29
	v_cmpx_ne_u64_e32 0, v[24:25]
	s_xor_b32 s11, exec_lo, s11
; %bb.5265:                             ;   in Loop: Header=BB6_5133 Depth=2
	v_lshrrev_b32_e32 v1, 24, v3
                                        ; implicit-def: $vgpr3
	s_delay_alu instid0(VALU_DEP_1)
	v_or_b32_e32 v29, 0x7f, v1
; %bb.5266:                             ;   in Loop: Header=BB6_5133 Depth=2
	s_and_not1_saveexec_b32 s11, s11
; %bb.5267:                             ;   in Loop: Header=BB6_5133 Depth=2
	v_cmp_lt_i32_e32 vcc_lo, -1, v3
	v_cndmask_b32_e64 v29, -4, 0x7c, vcc_lo
; %bb.5268:                             ;   in Loop: Header=BB6_5133 Depth=2
	s_or_b32 exec_lo, exec_lo, s11
.LBB6_5269:                             ;   in Loop: Header=BB6_5133 Depth=2
	s_delay_alu instid0(SALU_CYCLE_1)
	s_or_b32 exec_lo, exec_lo, s10
	v_and_b32_e32 v1, 0xff, v20
	v_cmp_ne_u16_e64 s10, 0, v20
	s_mov_b32 s11, -1
	s_and_not1_b32 vcc_lo, exec_lo, s15
                                        ; implicit-def: $vgpr3
	s_cbranch_vccnz .LBB6_5291
; %bb.5270:                             ;   in Loop: Header=BB6_5133 Depth=2
	v_dual_mov_b32 v5, 0 :: v_dual_mov_b32 v3, 0
	s_and_saveexec_b32 s42, s10
	s_cbranch_execz .LBB6_5280
; %bb.5271:                             ;   in Loop: Header=BB6_5133 Depth=2
	v_bfrev_b32_e32 v3, 1
	s_mov_b32 s43, exec_lo
	v_cmpx_ne_u16_e32 0xff80, v20
	s_cbranch_execz .LBB6_5279
; %bb.5272:                             ;   in Loop: Header=BB6_5133 Depth=2
	v_and_b32_e32 v3, 0x7c, v1
	v_and_b32_e32 v7, 3, v1
	s_delay_alu instid0(VALU_DEP_2) | instskip(SKIP_1) | instid1(SALU_CYCLE_1)
	v_cmp_ne_u32_e32 vcc_lo, 0x7c, v3
                                        ; implicit-def: $vgpr3
	s_and_saveexec_b32 s11, vcc_lo
	s_xor_b32 s11, exec_lo, s11
	s_cbranch_execz .LBB6_5276
; %bb.5273:                             ;   in Loop: Header=BB6_5133 Depth=2
	v_bfe_u32 v3, v1, 2, 5
	s_mov_b32 s44, exec_lo
	s_delay_alu instid0(VALU_DEP_1)
	v_cmpx_eq_u32_e32 0, v3
	s_cbranch_execz .LBB6_5275
; %bb.5274:                             ;   in Loop: Header=BB6_5133 Depth=2
	v_clz_i32_u32_e32 v3, v7
	s_delay_alu instid0(VALU_DEP_1) | instskip(SKIP_1) | instid1(VALU_DEP_2)
	v_min_u32_e32 v3, 32, v3
	v_mov_b32_e32 v21, v25
	v_subrev_nc_u32_e32 v7, 29, v3
	v_sub_nc_u32_e32 v3, 30, v3
	s_delay_alu instid0(VALU_DEP_2) | instskip(NEXT) | instid1(VALU_DEP_1)
	v_lshlrev_b64_e32 v[18:19], v7, v[20:21]
	v_and_b32_e32 v7, 3, v18
.LBB6_5275:                             ;   in Loop: Header=BB6_5133 Depth=2
	s_or_b32 exec_lo, exec_lo, s44
	v_bfe_i32 v9, v20, 0, 16
	s_delay_alu instid0(VALU_DEP_1) | instskip(NEXT) | instid1(VALU_DEP_1)
	v_and_b32_e32 v9, 0x80000000, v9
	v_lshl_add_u32 v3, v3, 23, v9
	s_delay_alu instid0(VALU_DEP_1) | instskip(NEXT) | instid1(VALU_DEP_1)
	v_lshl_or_b32 v3, v7, 21, v3
                                        ; implicit-def: $vgpr7
	v_add_nc_u32_e32 v3, 0x38000000, v3
.LBB6_5276:                             ;   in Loop: Header=BB6_5133 Depth=2
	s_and_not1_saveexec_b32 s44, s11
; %bb.5277:                             ;   in Loop: Header=BB6_5133 Depth=2
	v_cmp_lt_i16_e64 s11, -1, v20
	v_cmp_eq_u32_e32 vcc_lo, 0, v7
	s_delay_alu instid0(VALU_DEP_2) | instskip(NEXT) | instid1(VALU_DEP_1)
	v_cndmask_b32_e64 v3, 0xff800000, v44, s11
	v_cndmask_b32_e32 v3, 0x7f800001, v3, vcc_lo
; %bb.5278:                             ;   in Loop: Header=BB6_5133 Depth=2
	s_or_b32 exec_lo, exec_lo, s44
.LBB6_5279:                             ;   in Loop: Header=BB6_5133 Depth=2
	s_delay_alu instid0(SALU_CYCLE_1)
	s_or_b32 exec_lo, exec_lo, s43
.LBB6_5280:                             ;   in Loop: Header=BB6_5133 Depth=2
	s_delay_alu instid0(SALU_CYCLE_1) | instskip(NEXT) | instid1(SALU_CYCLE_1)
	s_or_b32 exec_lo, exec_lo, s42
	s_mov_b32 s42, exec_lo
	v_cmpx_ne_u16_e32 0, v16
	s_cbranch_execz .LBB6_5290
; %bb.5281:                             ;   in Loop: Header=BB6_5133 Depth=2
	v_bfrev_b32_e32 v5, 1
	s_mov_b32 s43, exec_lo
	v_cmpx_ne_u16_e32 0xff80, v16
	s_cbranch_execz .LBB6_5289
; %bb.5282:                             ;   in Loop: Header=BB6_5133 Depth=2
	v_and_b32_e32 v5, 0x7c, v16
	v_and_b32_e32 v7, 3, v16
	s_delay_alu instid0(VALU_DEP_2) | instskip(SKIP_1) | instid1(SALU_CYCLE_1)
	v_cmp_ne_u32_e32 vcc_lo, 0x7c, v5
                                        ; implicit-def: $vgpr5
	s_and_saveexec_b32 s11, vcc_lo
	s_xor_b32 s11, exec_lo, s11
	s_cbranch_execz .LBB6_5286
; %bb.5283:                             ;   in Loop: Header=BB6_5133 Depth=2
	v_and_b32_e32 v5, 0xff, v16
	s_mov_b32 s44, exec_lo
	s_delay_alu instid0(VALU_DEP_1) | instskip(NEXT) | instid1(VALU_DEP_1)
	v_bfe_u32 v5, v5, 2, 5
	v_cmpx_eq_u32_e32 0, v5
	s_cbranch_execz .LBB6_5285
; %bb.5284:                             ;   in Loop: Header=BB6_5133 Depth=2
	v_clz_i32_u32_e32 v5, v7
	s_delay_alu instid0(VALU_DEP_1) | instskip(SKIP_1) | instid1(VALU_DEP_2)
	v_min_u32_e32 v5, 32, v5
	v_mov_b32_e32 v17, v25
	v_subrev_nc_u32_e32 v7, 29, v5
	v_sub_nc_u32_e32 v5, 30, v5
	s_delay_alu instid0(VALU_DEP_2) | instskip(NEXT) | instid1(VALU_DEP_1)
	v_lshlrev_b64_e32 v[18:19], v7, v[16:17]
	v_and_b32_e32 v7, 3, v18
.LBB6_5285:                             ;   in Loop: Header=BB6_5133 Depth=2
	s_or_b32 exec_lo, exec_lo, s44
	v_bfe_i32 v9, v16, 0, 16
	s_delay_alu instid0(VALU_DEP_1) | instskip(NEXT) | instid1(VALU_DEP_1)
	v_and_b32_e32 v9, 0x80000000, v9
	v_lshl_add_u32 v5, v5, 23, v9
	s_delay_alu instid0(VALU_DEP_1) | instskip(NEXT) | instid1(VALU_DEP_1)
	v_lshl_or_b32 v5, v7, 21, v5
                                        ; implicit-def: $vgpr7
	v_add_nc_u32_e32 v5, 0x38000000, v5
.LBB6_5286:                             ;   in Loop: Header=BB6_5133 Depth=2
	s_and_not1_saveexec_b32 s44, s11
; %bb.5287:                             ;   in Loop: Header=BB6_5133 Depth=2
	v_cmp_lt_i16_e64 s11, -1, v16
	v_cmp_eq_u32_e32 vcc_lo, 0, v7
	s_delay_alu instid0(VALU_DEP_2) | instskip(NEXT) | instid1(VALU_DEP_1)
	v_cndmask_b32_e64 v5, 0xff800000, v44, s11
	v_cndmask_b32_e32 v5, 0x7f800001, v5, vcc_lo
; %bb.5288:                             ;   in Loop: Header=BB6_5133 Depth=2
	s_or_b32 exec_lo, exec_lo, s44
.LBB6_5289:                             ;   in Loop: Header=BB6_5133 Depth=2
	s_delay_alu instid0(SALU_CYCLE_1)
	s_or_b32 exec_lo, exec_lo, s43
.LBB6_5290:                             ;   in Loop: Header=BB6_5133 Depth=2
	s_delay_alu instid0(SALU_CYCLE_1) | instskip(NEXT) | instid1(VALU_DEP_1)
	s_or_b32 exec_lo, exec_lo, s42
	v_dual_max_num_f32 v5, v5, v5 :: v_dual_max_num_f32 v3, v3, v3
	s_mov_b32 s11, 0
	s_delay_alu instid0(VALU_DEP_1)
	v_max_num_f32_e32 v3, v3, v5
.LBB6_5291:                             ;   in Loop: Header=BB6_5133 Depth=2
	s_and_b32 vcc_lo, exec_lo, s11
	s_cbranch_vccz .LBB6_5313
; %bb.5292:                             ;   in Loop: Header=BB6_5133 Depth=2
	v_dual_mov_b32 v5, 0 :: v_dual_mov_b32 v3, 0
	s_and_saveexec_b32 s11, s10
	s_cbranch_execz .LBB6_5302
; %bb.5293:                             ;   in Loop: Header=BB6_5133 Depth=2
	v_bfrev_b32_e32 v3, 1
	s_mov_b32 s42, exec_lo
	v_cmpx_ne_u16_e32 0xff80, v20
	s_cbranch_execz .LBB6_5301
; %bb.5294:                             ;   in Loop: Header=BB6_5133 Depth=2
	v_and_b32_e32 v3, 0x7c, v1
	v_and_b32_e32 v7, 3, v1
	s_delay_alu instid0(VALU_DEP_2) | instskip(SKIP_1) | instid1(SALU_CYCLE_1)
	v_cmp_ne_u32_e32 vcc_lo, 0x7c, v3
                                        ; implicit-def: $vgpr3
	s_and_saveexec_b32 s10, vcc_lo
	s_xor_b32 s10, exec_lo, s10
	s_cbranch_execz .LBB6_5298
; %bb.5295:                             ;   in Loop: Header=BB6_5133 Depth=2
	v_bfe_u32 v1, v1, 2, 5
	s_mov_b32 s43, exec_lo
	s_delay_alu instid0(VALU_DEP_1)
	v_cmpx_eq_u32_e32 0, v1
	s_cbranch_execz .LBB6_5297
; %bb.5296:                             ;   in Loop: Header=BB6_5133 Depth=2
	v_clz_i32_u32_e32 v1, v7
	s_delay_alu instid0(VALU_DEP_1) | instskip(SKIP_1) | instid1(VALU_DEP_2)
	v_min_u32_e32 v1, 32, v1
	v_mov_b32_e32 v21, v25
	v_subrev_nc_u32_e32 v3, 29, v1
	v_sub_nc_u32_e32 v1, 30, v1
	s_delay_alu instid0(VALU_DEP_2) | instskip(NEXT) | instid1(VALU_DEP_1)
	v_lshlrev_b64_e32 v[18:19], v3, v[20:21]
	v_and_b32_e32 v7, 3, v18
.LBB6_5297:                             ;   in Loop: Header=BB6_5133 Depth=2
	s_or_b32 exec_lo, exec_lo, s43
	v_bfe_i32 v3, v20, 0, 16
                                        ; implicit-def: $vgpr20
	s_delay_alu instid0(VALU_DEP_1) | instskip(NEXT) | instid1(VALU_DEP_1)
	v_and_b32_e32 v3, 0x80000000, v3
	v_lshl_add_u32 v1, v1, 23, v3
	s_delay_alu instid0(VALU_DEP_1) | instskip(NEXT) | instid1(VALU_DEP_1)
	v_lshl_or_b32 v1, v7, 21, v1
                                        ; implicit-def: $vgpr7
	v_add_nc_u32_e32 v3, 0x38000000, v1
.LBB6_5298:                             ;   in Loop: Header=BB6_5133 Depth=2
	s_and_not1_saveexec_b32 s43, s10
; %bb.5299:                             ;   in Loop: Header=BB6_5133 Depth=2
	v_cmp_lt_i16_e64 s10, -1, v20
	v_cmp_eq_u32_e32 vcc_lo, 0, v7
	s_delay_alu instid0(VALU_DEP_2) | instskip(NEXT) | instid1(VALU_DEP_1)
	v_cndmask_b32_e64 v1, 0xff800000, v44, s10
	v_cndmask_b32_e32 v3, 0x7f800001, v1, vcc_lo
; %bb.5300:                             ;   in Loop: Header=BB6_5133 Depth=2
	s_or_b32 exec_lo, exec_lo, s43
.LBB6_5301:                             ;   in Loop: Header=BB6_5133 Depth=2
	s_delay_alu instid0(SALU_CYCLE_1)
	s_or_b32 exec_lo, exec_lo, s42
.LBB6_5302:                             ;   in Loop: Header=BB6_5133 Depth=2
	s_delay_alu instid0(SALU_CYCLE_1) | instskip(NEXT) | instid1(SALU_CYCLE_1)
	s_or_b32 exec_lo, exec_lo, s11
	s_mov_b32 s11, exec_lo
	v_cmpx_ne_u16_e32 0, v16
	s_cbranch_execz .LBB6_5312
; %bb.5303:                             ;   in Loop: Header=BB6_5133 Depth=2
	v_bfrev_b32_e32 v5, 1
	s_mov_b32 s42, exec_lo
	v_cmpx_ne_u16_e32 0xff80, v16
	s_cbranch_execz .LBB6_5311
; %bb.5304:                             ;   in Loop: Header=BB6_5133 Depth=2
	v_and_b32_e32 v5, 0x7c, v16
	v_and_b32_e32 v1, 3, v16
	s_delay_alu instid0(VALU_DEP_2) | instskip(SKIP_1) | instid1(SALU_CYCLE_1)
	v_cmp_ne_u32_e32 vcc_lo, 0x7c, v5
                                        ; implicit-def: $vgpr5
	s_and_saveexec_b32 s10, vcc_lo
	s_xor_b32 s10, exec_lo, s10
	s_cbranch_execz .LBB6_5308
; %bb.5305:                             ;   in Loop: Header=BB6_5133 Depth=2
	v_and_b32_e32 v5, 0xff, v16
	s_mov_b32 s43, exec_lo
	s_delay_alu instid0(VALU_DEP_1) | instskip(NEXT) | instid1(VALU_DEP_1)
	v_bfe_u32 v5, v5, 2, 5
	v_cmpx_eq_u32_e32 0, v5
; %bb.5306:                             ;   in Loop: Header=BB6_5133 Depth=2
	v_clz_i32_u32_e32 v1, v1
	s_delay_alu instid0(VALU_DEP_1) | instskip(SKIP_1) | instid1(VALU_DEP_2)
	v_min_u32_e32 v1, 32, v1
	v_mov_b32_e32 v17, v25
	v_subrev_nc_u32_e32 v5, 29, v1
	s_delay_alu instid0(VALU_DEP_1) | instskip(NEXT) | instid1(VALU_DEP_1)
	v_lshlrev_b64_e32 v[18:19], v5, v[16:17]
	v_dual_sub_nc_u32 v5, 30, v1 :: v_dual_bitop2_b32 v1, 3, v18 bitop3:0x40
; %bb.5307:                             ;   in Loop: Header=BB6_5133 Depth=2
	s_or_b32 exec_lo, exec_lo, s43
	v_bfe_i32 v7, v16, 0, 16
                                        ; implicit-def: $vgpr16
	s_delay_alu instid0(VALU_DEP_1) | instskip(NEXT) | instid1(VALU_DEP_1)
	v_and_b32_e32 v7, 0x80000000, v7
	v_lshl_add_u32 v5, v5, 23, v7
	s_delay_alu instid0(VALU_DEP_1) | instskip(NEXT) | instid1(VALU_DEP_1)
	v_lshl_or_b32 v1, v1, 21, v5
	v_add_nc_u32_e32 v5, 0x38000000, v1
                                        ; implicit-def: $vgpr1
.LBB6_5308:                             ;   in Loop: Header=BB6_5133 Depth=2
	s_and_not1_saveexec_b32 s43, s10
; %bb.5309:                             ;   in Loop: Header=BB6_5133 Depth=2
	v_cmp_lt_i16_e64 s10, -1, v16
	v_cmp_eq_u32_e32 vcc_lo, 0, v1
	s_delay_alu instid0(VALU_DEP_2) | instskip(NEXT) | instid1(VALU_DEP_1)
	v_cndmask_b32_e64 v1, 0xff800000, v44, s10
	v_cndmask_b32_e32 v5, 0x7f800001, v1, vcc_lo
; %bb.5310:                             ;   in Loop: Header=BB6_5133 Depth=2
	s_or_b32 exec_lo, exec_lo, s43
.LBB6_5311:                             ;   in Loop: Header=BB6_5133 Depth=2
	s_delay_alu instid0(SALU_CYCLE_1)
	s_or_b32 exec_lo, exec_lo, s42
.LBB6_5312:                             ;   in Loop: Header=BB6_5133 Depth=2
	s_delay_alu instid0(SALU_CYCLE_1) | instskip(NEXT) | instid1(VALU_DEP_1)
	s_or_b32 exec_lo, exec_lo, s11
	v_dual_max_num_f32 v1, v5, v5 :: v_dual_max_num_f32 v3, v3, v3
	s_delay_alu instid0(VALU_DEP_1)
	v_min_num_f32_e32 v3, v3, v1
.LBB6_5313:                             ;   in Loop: Header=BB6_5133 Depth=2
	s_delay_alu instid0(VALU_DEP_1) | instskip(SKIP_3) | instid1(VALU_DEP_2)
	v_and_b32_e32 v16, 0x7f800000, v3
	v_mov_b32_e32 v17, v25
	v_and_b32_e32 v24, 0x7fffff, v3
                                        ; implicit-def: $vgpr20
	s_mov_b32 s10, exec_lo
	v_cmpx_ne_u64_e32 0x7f800000, v[16:17]
	s_xor_b32 s11, exec_lo, s10
	s_cbranch_execz .LBB6_5331
; %bb.5314:                             ;   in Loop: Header=BB6_5133 Depth=2
	v_dual_mov_b32 v17, v25 :: v_dual_lshrrev_b32 v1, 24, v3
	v_and_b32_e32 v16, 0x7fffffff, v3
                                        ; implicit-def: $vgpr20
	s_mov_b32 s10, exec_lo
	s_delay_alu instid0(VALU_DEP_2) | instskip(NEXT) | instid1(VALU_DEP_2)
	v_and_b32_e32 v1, 0x80, v1
	v_cmpx_gt_u64_e32 0x47600001, v[16:17]
	s_xor_b32 s42, exec_lo, s10
	s_cbranch_execz .LBB6_5328
; %bb.5315:                             ;   in Loop: Header=BB6_5133 Depth=2
	v_mov_b32_e32 v20, 0
	s_mov_b32 s43, exec_lo
	v_cmpx_ne_u32_e32 0, v3
	s_cbranch_execz .LBB6_5327
; %bb.5316:                             ;   in Loop: Header=BB6_5133 Depth=2
	v_bfe_u32 v3, v3, 23, 8
	v_or_b32_e32 v7, 0x800000, v24
	s_delay_alu instid0(VALU_DEP_2) | instskip(SKIP_1) | instid1(VALU_DEP_3)
	v_cmp_eq_u32_e32 vcc_lo, 0, v3
	v_cmp_gt_u32_e64 s10, 0x72, v3
	v_dual_cndmask_b32 v24, v7, v24 :: v_dual_sub_nc_u32 v5, 0x71, v3
	s_delay_alu instid0(VALU_DEP_1) | instskip(NEXT) | instid1(VALU_DEP_1)
	v_cndmask_b32_e64 v5, 0, v5, s10
	v_cndmask_b32_e64 v5, v5, 0x70, vcc_lo
	s_delay_alu instid0(VALU_DEP_1) | instskip(NEXT) | instid1(VALU_DEP_1)
	v_add_nc_u32_e32 v7, 21, v5
	v_lshlrev_b64_e64 v[16:17], v7, -1
	v_add_nc_u32_e32 v7, 20, v5
	s_delay_alu instid0(VALU_DEP_1) | instskip(NEXT) | instid1(VALU_DEP_3)
	v_lshlrev_b64_e64 v[18:19], v7, 1
	v_bfi_b32 v17, v17, 0, 0
	s_delay_alu instid0(VALU_DEP_4) | instskip(NEXT) | instid1(VALU_DEP_1)
	v_bfi_b32 v16, v16, 0, v24
	v_cmp_eq_u64_e64 s10, v[16:17], v[18:19]
	v_lshrrev_b64 v[16:17], v5, v[24:25]
	s_delay_alu instid0(VALU_DEP_1)
	v_mov_b64_e32 v[18:19], v[16:17]
	s_and_saveexec_b32 s44, s10
; %bb.5317:                             ;   in Loop: Header=BB6_5133 Depth=2
	v_bfe_u32 v24, v16, 21, 1
	s_delay_alu instid0(VALU_DEP_1) | instskip(NEXT) | instid1(VALU_DEP_1)
	v_add_nc_u64_e32 v[18:19], v[16:17], v[24:25]
	v_add_nc_u64_e32 v[18:19], -1, v[18:19]
; %bb.5318:                             ;   in Loop: Header=BB6_5133 Depth=2
	s_or_b32 exec_lo, exec_lo, s44
	v_add_nc_u32_e32 v3, 0xffffff81, v3
	v_lshrrev_b32_e32 v7, 23, v16
	s_mov_b32 s10, exec_lo
	s_delay_alu instid0(VALU_DEP_2) | instskip(NEXT) | instid1(VALU_DEP_1)
	v_cndmask_b32_e64 v3, v3, 0xffffff82, vcc_lo
	v_add3_u32 v7, v5, v3, v7
	v_and_b32_e32 v3, 0x1fffff, v18
	s_delay_alu instid0(VALU_DEP_1) | instskip(NEXT) | instid1(VALU_DEP_1)
	v_dual_add_nc_u32 v5, 14, v7 :: v_dual_add_nc_u32 v24, v3, v16
                                        ; implicit-def: $vgpr16_vgpr17
                                        ; implicit-def: $vgpr3
	v_cmpx_ne_u32_e32 0, v5
	s_xor_b32 s10, exec_lo, s10
; %bb.5319:                             ;   in Loop: Header=BB6_5133 Depth=2
	s_delay_alu instid0(VALU_DEP_2) | instskip(SKIP_1) | instid1(VALU_DEP_1)
	v_cmp_lt_u64_e32 vcc_lo, 0xffffff, v[24:25]
	v_add_nc_u32_e32 v3, 15, v7
	v_cndmask_b32_e32 v3, v5, v3, vcc_lo
	v_cndmask_b32_e64 v5, 0, 1, vcc_lo
	s_delay_alu instid0(VALU_DEP_1)
	v_lshrrev_b64 v[16:17], v5, v[24:25]
; %bb.5320:                             ;   in Loop: Header=BB6_5133 Depth=2
	s_and_not1_saveexec_b32 s10, s10
; %bb.5321:                             ;   in Loop: Header=BB6_5133 Depth=2
	v_mov_b64_e32 v[16:17], v[24:25]
	v_bfe_u32 v3, v24, 23, 1
; %bb.5322:                             ;   in Loop: Header=BB6_5133 Depth=2
	s_or_b32 exec_lo, exec_lo, s10
	s_delay_alu instid0(VALU_DEP_2) | instskip(NEXT) | instid1(VALU_DEP_2)
	v_lshrrev_b64 v[16:17], 21, v[16:17]
	v_cmp_gt_i32_e32 vcc_lo, 32, v3
	v_cmp_ne_u32_e64 s10, 0, v3
                                        ; implicit-def: $vgpr20
	s_delay_alu instid0(VALU_DEP_3) | instskip(NEXT) | instid1(VALU_DEP_1)
	v_dual_cndmask_b32 v17, 0, v17 :: v_dual_cndmask_b32 v16, 3, v16
	v_cmp_ne_u64_e32 vcc_lo, 0, v[16:17]
	s_or_b32 s10, s10, vcc_lo
	s_delay_alu instid0(SALU_CYCLE_1) | instskip(NEXT) | instid1(SALU_CYCLE_1)
	s_and_saveexec_b32 s44, s10
	s_xor_b32 s10, exec_lo, s44
; %bb.5323:                             ;   in Loop: Header=BB6_5133 Depth=2
	v_min_i32_e32 v3, 31, v3
	s_delay_alu instid0(VALU_DEP_1) | instskip(NEXT) | instid1(VALU_DEP_1)
	v_lshl_or_b32 v1, v3, 2, v1
	v_and_or_b32 v20, v16, 3, v1
                                        ; implicit-def: $vgpr1
; %bb.5324:                             ;   in Loop: Header=BB6_5133 Depth=2
	s_and_not1_saveexec_b32 s10, s10
; %bb.5325:                             ;   in Loop: Header=BB6_5133 Depth=2
	v_mov_b32_e32 v20, v1
; %bb.5326:                             ;   in Loop: Header=BB6_5133 Depth=2
	s_or_b32 exec_lo, exec_lo, s10
.LBB6_5327:                             ;   in Loop: Header=BB6_5133 Depth=2
	s_delay_alu instid0(SALU_CYCLE_1)
	s_or_b32 exec_lo, exec_lo, s43
                                        ; implicit-def: $vgpr1
.LBB6_5328:                             ;   in Loop: Header=BB6_5133 Depth=2
	s_and_not1_saveexec_b32 s10, s42
; %bb.5329:                             ;   in Loop: Header=BB6_5133 Depth=2
	v_or_b32_e32 v20, 0x7b, v1
; %bb.5330:                             ;   in Loop: Header=BB6_5133 Depth=2
	s_or_b32 exec_lo, exec_lo, s10
                                        ; implicit-def: $vgpr3
.LBB6_5331:                             ;   in Loop: Header=BB6_5133 Depth=2
	s_and_not1_saveexec_b32 s10, s11
	s_cbranch_execz .LBB6_5337
; %bb.5332:                             ;   in Loop: Header=BB6_5133 Depth=2
	s_mov_b32 s11, exec_lo
                                        ; implicit-def: $vgpr20
	v_cmpx_ne_u64_e32 0, v[24:25]
	s_xor_b32 s11, exec_lo, s11
; %bb.5333:                             ;   in Loop: Header=BB6_5133 Depth=2
	v_lshrrev_b32_e32 v1, 24, v3
                                        ; implicit-def: $vgpr3
	s_delay_alu instid0(VALU_DEP_1)
	v_or_b32_e32 v20, 0x7f, v1
; %bb.5334:                             ;   in Loop: Header=BB6_5133 Depth=2
	s_and_not1_saveexec_b32 s11, s11
; %bb.5335:                             ;   in Loop: Header=BB6_5133 Depth=2
	v_cmp_lt_i32_e32 vcc_lo, -1, v3
	v_cndmask_b32_e64 v20, -4, 0x7c, vcc_lo
; %bb.5336:                             ;   in Loop: Header=BB6_5133 Depth=2
	s_or_b32 exec_lo, exec_lo, s11
.LBB6_5337:                             ;   in Loop: Header=BB6_5133 Depth=2
	s_delay_alu instid0(SALU_CYCLE_1)
	s_or_b32 exec_lo, exec_lo, s10
	v_and_b32_e32 v1, 0xff, v64
	v_cmp_ne_u16_e64 s10, 0, v64
	s_mov_b32 s11, -1
	s_and_not1_b32 vcc_lo, exec_lo, s15
                                        ; implicit-def: $vgpr3
	s_cbranch_vccnz .LBB6_5359
; %bb.5338:                             ;   in Loop: Header=BB6_5133 Depth=2
	v_dual_mov_b32 v5, 0 :: v_dual_mov_b32 v3, 0
	s_and_saveexec_b32 s42, s10
	s_cbranch_execz .LBB6_5348
; %bb.5339:                             ;   in Loop: Header=BB6_5133 Depth=2
	v_bfrev_b32_e32 v3, 1
	s_mov_b32 s43, exec_lo
	v_cmpx_ne_u16_e32 0xff80, v64
	s_cbranch_execz .LBB6_5347
; %bb.5340:                             ;   in Loop: Header=BB6_5133 Depth=2
	v_and_b32_e32 v3, 0x7c, v1
	v_and_b32_e32 v7, 3, v1
	s_delay_alu instid0(VALU_DEP_2) | instskip(SKIP_1) | instid1(SALU_CYCLE_1)
	v_cmp_ne_u32_e32 vcc_lo, 0x7c, v3
                                        ; implicit-def: $vgpr3
	s_and_saveexec_b32 s11, vcc_lo
	s_xor_b32 s11, exec_lo, s11
	s_cbranch_execz .LBB6_5344
; %bb.5341:                             ;   in Loop: Header=BB6_5133 Depth=2
	v_bfe_u32 v3, v1, 2, 5
	s_mov_b32 s44, exec_lo
	s_delay_alu instid0(VALU_DEP_1)
	v_cmpx_eq_u32_e32 0, v3
	s_cbranch_execz .LBB6_5343
; %bb.5342:                             ;   in Loop: Header=BB6_5133 Depth=2
	v_clz_i32_u32_e32 v3, v7
	s_delay_alu instid0(VALU_DEP_1) | instskip(SKIP_1) | instid1(VALU_DEP_2)
	v_min_u32_e32 v3, 32, v3
	v_mov_b32_e32 v65, v25
	v_subrev_nc_u32_e32 v7, 29, v3
	v_sub_nc_u32_e32 v3, 30, v3
	s_delay_alu instid0(VALU_DEP_2) | instskip(NEXT) | instid1(VALU_DEP_1)
	v_lshlrev_b64_e32 v[16:17], v7, v[64:65]
	v_and_b32_e32 v7, 3, v16
.LBB6_5343:                             ;   in Loop: Header=BB6_5133 Depth=2
	s_or_b32 exec_lo, exec_lo, s44
	v_bfe_i32 v9, v64, 0, 16
	s_delay_alu instid0(VALU_DEP_1) | instskip(NEXT) | instid1(VALU_DEP_1)
	v_and_b32_e32 v9, 0x80000000, v9
	v_lshl_add_u32 v3, v3, 23, v9
	s_delay_alu instid0(VALU_DEP_1) | instskip(NEXT) | instid1(VALU_DEP_1)
	v_lshl_or_b32 v3, v7, 21, v3
                                        ; implicit-def: $vgpr7
	v_add_nc_u32_e32 v3, 0x38000000, v3
.LBB6_5344:                             ;   in Loop: Header=BB6_5133 Depth=2
	s_and_not1_saveexec_b32 s44, s11
; %bb.5345:                             ;   in Loop: Header=BB6_5133 Depth=2
	v_cmp_lt_i16_e64 s11, -1, v64
	v_cmp_eq_u32_e32 vcc_lo, 0, v7
	s_delay_alu instid0(VALU_DEP_2) | instskip(NEXT) | instid1(VALU_DEP_1)
	v_cndmask_b32_e64 v3, 0xff800000, v44, s11
	v_cndmask_b32_e32 v3, 0x7f800001, v3, vcc_lo
; %bb.5346:                             ;   in Loop: Header=BB6_5133 Depth=2
	s_or_b32 exec_lo, exec_lo, s44
.LBB6_5347:                             ;   in Loop: Header=BB6_5133 Depth=2
	s_delay_alu instid0(SALU_CYCLE_1)
	s_or_b32 exec_lo, exec_lo, s43
.LBB6_5348:                             ;   in Loop: Header=BB6_5133 Depth=2
	s_delay_alu instid0(SALU_CYCLE_1) | instskip(NEXT) | instid1(SALU_CYCLE_1)
	s_or_b32 exec_lo, exec_lo, s42
	s_mov_b32 s42, exec_lo
	v_cmpx_ne_u16_e32 0, v116
	s_cbranch_execz .LBB6_5358
; %bb.5349:                             ;   in Loop: Header=BB6_5133 Depth=2
	v_bfrev_b32_e32 v5, 1
	s_mov_b32 s43, exec_lo
	v_cmpx_ne_u16_e32 0xff80, v116
	s_cbranch_execz .LBB6_5357
; %bb.5350:                             ;   in Loop: Header=BB6_5133 Depth=2
	v_and_b32_e32 v5, 0x7c, v116
	v_and_b32_e32 v7, 3, v116
	s_delay_alu instid0(VALU_DEP_2) | instskip(SKIP_1) | instid1(SALU_CYCLE_1)
	v_cmp_ne_u32_e32 vcc_lo, 0x7c, v5
                                        ; implicit-def: $vgpr5
	s_and_saveexec_b32 s11, vcc_lo
	s_xor_b32 s11, exec_lo, s11
	s_cbranch_execz .LBB6_5354
; %bb.5351:                             ;   in Loop: Header=BB6_5133 Depth=2
	v_and_b32_e32 v5, 0xff, v116
	s_mov_b32 s44, exec_lo
	s_delay_alu instid0(VALU_DEP_1) | instskip(NEXT) | instid1(VALU_DEP_1)
	v_bfe_u32 v5, v5, 2, 5
	v_cmpx_eq_u32_e32 0, v5
	s_cbranch_execz .LBB6_5353
; %bb.5352:                             ;   in Loop: Header=BB6_5133 Depth=2
	v_clz_i32_u32_e32 v5, v7
	s_delay_alu instid0(VALU_DEP_1) | instskip(SKIP_1) | instid1(VALU_DEP_2)
	v_min_u32_e32 v5, 32, v5
	v_mov_b32_e32 v117, v25
	v_subrev_nc_u32_e32 v7, 29, v5
	v_sub_nc_u32_e32 v5, 30, v5
	s_delay_alu instid0(VALU_DEP_2) | instskip(NEXT) | instid1(VALU_DEP_1)
	v_lshlrev_b64_e32 v[16:17], v7, v[116:117]
	v_and_b32_e32 v7, 3, v16
.LBB6_5353:                             ;   in Loop: Header=BB6_5133 Depth=2
	s_or_b32 exec_lo, exec_lo, s44
	v_bfe_i32 v9, v116, 0, 16
	s_delay_alu instid0(VALU_DEP_1) | instskip(NEXT) | instid1(VALU_DEP_1)
	v_and_b32_e32 v9, 0x80000000, v9
	v_lshl_add_u32 v5, v5, 23, v9
	s_delay_alu instid0(VALU_DEP_1) | instskip(NEXT) | instid1(VALU_DEP_1)
	v_lshl_or_b32 v5, v7, 21, v5
                                        ; implicit-def: $vgpr7
	v_add_nc_u32_e32 v5, 0x38000000, v5
.LBB6_5354:                             ;   in Loop: Header=BB6_5133 Depth=2
	s_and_not1_saveexec_b32 s44, s11
; %bb.5355:                             ;   in Loop: Header=BB6_5133 Depth=2
	v_cmp_lt_i16_e64 s11, -1, v116
	v_cmp_eq_u32_e32 vcc_lo, 0, v7
	s_delay_alu instid0(VALU_DEP_2) | instskip(NEXT) | instid1(VALU_DEP_1)
	v_cndmask_b32_e64 v5, 0xff800000, v44, s11
	v_cndmask_b32_e32 v5, 0x7f800001, v5, vcc_lo
; %bb.5356:                             ;   in Loop: Header=BB6_5133 Depth=2
	s_or_b32 exec_lo, exec_lo, s44
.LBB6_5357:                             ;   in Loop: Header=BB6_5133 Depth=2
	s_delay_alu instid0(SALU_CYCLE_1)
	s_or_b32 exec_lo, exec_lo, s43
.LBB6_5358:                             ;   in Loop: Header=BB6_5133 Depth=2
	s_delay_alu instid0(SALU_CYCLE_1) | instskip(NEXT) | instid1(VALU_DEP_1)
	s_or_b32 exec_lo, exec_lo, s42
	v_dual_max_num_f32 v5, v5, v5 :: v_dual_max_num_f32 v3, v3, v3
	s_mov_b32 s11, 0
	s_delay_alu instid0(VALU_DEP_1)
	v_max_num_f32_e32 v3, v3, v5
.LBB6_5359:                             ;   in Loop: Header=BB6_5133 Depth=2
	s_and_b32 vcc_lo, exec_lo, s11
	s_cbranch_vccz .LBB6_5381
; %bb.5360:                             ;   in Loop: Header=BB6_5133 Depth=2
	v_dual_mov_b32 v5, 0 :: v_dual_mov_b32 v3, 0
	s_and_saveexec_b32 s11, s10
	s_cbranch_execz .LBB6_5370
; %bb.5361:                             ;   in Loop: Header=BB6_5133 Depth=2
	v_bfrev_b32_e32 v3, 1
	s_mov_b32 s42, exec_lo
	v_cmpx_ne_u16_e32 0xff80, v64
	s_cbranch_execz .LBB6_5369
; %bb.5362:                             ;   in Loop: Header=BB6_5133 Depth=2
	v_and_b32_e32 v3, 0x7c, v1
	v_and_b32_e32 v7, 3, v1
	s_delay_alu instid0(VALU_DEP_2) | instskip(SKIP_1) | instid1(SALU_CYCLE_1)
	v_cmp_ne_u32_e32 vcc_lo, 0x7c, v3
                                        ; implicit-def: $vgpr3
	s_and_saveexec_b32 s10, vcc_lo
	s_xor_b32 s10, exec_lo, s10
	s_cbranch_execz .LBB6_5366
; %bb.5363:                             ;   in Loop: Header=BB6_5133 Depth=2
	v_bfe_u32 v1, v1, 2, 5
	s_mov_b32 s43, exec_lo
	s_delay_alu instid0(VALU_DEP_1)
	v_cmpx_eq_u32_e32 0, v1
	s_cbranch_execz .LBB6_5365
; %bb.5364:                             ;   in Loop: Header=BB6_5133 Depth=2
	v_clz_i32_u32_e32 v1, v7
	s_delay_alu instid0(VALU_DEP_1) | instskip(SKIP_1) | instid1(VALU_DEP_2)
	v_min_u32_e32 v1, 32, v1
	v_mov_b32_e32 v65, v25
	v_subrev_nc_u32_e32 v3, 29, v1
	v_sub_nc_u32_e32 v1, 30, v1
	s_delay_alu instid0(VALU_DEP_2) | instskip(NEXT) | instid1(VALU_DEP_1)
	v_lshlrev_b64_e32 v[16:17], v3, v[64:65]
	v_and_b32_e32 v7, 3, v16
.LBB6_5365:                             ;   in Loop: Header=BB6_5133 Depth=2
	s_or_b32 exec_lo, exec_lo, s43
	v_bfe_i32 v3, v64, 0, 16
                                        ; implicit-def: $vgpr64
	s_delay_alu instid0(VALU_DEP_1) | instskip(NEXT) | instid1(VALU_DEP_1)
	v_and_b32_e32 v3, 0x80000000, v3
	v_lshl_add_u32 v1, v1, 23, v3
	s_delay_alu instid0(VALU_DEP_1) | instskip(NEXT) | instid1(VALU_DEP_1)
	v_lshl_or_b32 v1, v7, 21, v1
                                        ; implicit-def: $vgpr7
	v_add_nc_u32_e32 v3, 0x38000000, v1
.LBB6_5366:                             ;   in Loop: Header=BB6_5133 Depth=2
	s_and_not1_saveexec_b32 s43, s10
; %bb.5367:                             ;   in Loop: Header=BB6_5133 Depth=2
	v_cmp_lt_i16_e64 s10, -1, v64
	v_cmp_eq_u32_e32 vcc_lo, 0, v7
	s_delay_alu instid0(VALU_DEP_2) | instskip(NEXT) | instid1(VALU_DEP_1)
	v_cndmask_b32_e64 v1, 0xff800000, v44, s10
	v_cndmask_b32_e32 v3, 0x7f800001, v1, vcc_lo
; %bb.5368:                             ;   in Loop: Header=BB6_5133 Depth=2
	s_or_b32 exec_lo, exec_lo, s43
.LBB6_5369:                             ;   in Loop: Header=BB6_5133 Depth=2
	s_delay_alu instid0(SALU_CYCLE_1)
	s_or_b32 exec_lo, exec_lo, s42
.LBB6_5370:                             ;   in Loop: Header=BB6_5133 Depth=2
	s_delay_alu instid0(SALU_CYCLE_1) | instskip(NEXT) | instid1(SALU_CYCLE_1)
	s_or_b32 exec_lo, exec_lo, s11
	s_mov_b32 s11, exec_lo
	v_cmpx_ne_u16_e32 0, v116
	s_cbranch_execz .LBB6_5380
; %bb.5371:                             ;   in Loop: Header=BB6_5133 Depth=2
	v_bfrev_b32_e32 v5, 1
	s_mov_b32 s42, exec_lo
	v_cmpx_ne_u16_e32 0xff80, v116
	s_cbranch_execz .LBB6_5379
; %bb.5372:                             ;   in Loop: Header=BB6_5133 Depth=2
	v_and_b32_e32 v5, 0x7c, v116
	v_and_b32_e32 v1, 3, v116
	s_delay_alu instid0(VALU_DEP_2) | instskip(SKIP_1) | instid1(SALU_CYCLE_1)
	v_cmp_ne_u32_e32 vcc_lo, 0x7c, v5
                                        ; implicit-def: $vgpr5
	s_and_saveexec_b32 s10, vcc_lo
	s_xor_b32 s10, exec_lo, s10
	s_cbranch_execz .LBB6_5376
; %bb.5373:                             ;   in Loop: Header=BB6_5133 Depth=2
	v_and_b32_e32 v5, 0xff, v116
	s_mov_b32 s43, exec_lo
	s_delay_alu instid0(VALU_DEP_1) | instskip(NEXT) | instid1(VALU_DEP_1)
	v_bfe_u32 v5, v5, 2, 5
	v_cmpx_eq_u32_e32 0, v5
; %bb.5374:                             ;   in Loop: Header=BB6_5133 Depth=2
	v_clz_i32_u32_e32 v1, v1
	s_delay_alu instid0(VALU_DEP_1) | instskip(SKIP_1) | instid1(VALU_DEP_2)
	v_min_u32_e32 v1, 32, v1
	v_mov_b32_e32 v117, v25
	v_subrev_nc_u32_e32 v5, 29, v1
	s_delay_alu instid0(VALU_DEP_1) | instskip(NEXT) | instid1(VALU_DEP_1)
	v_lshlrev_b64_e32 v[16:17], v5, v[116:117]
	v_dual_sub_nc_u32 v5, 30, v1 :: v_dual_bitop2_b32 v1, 3, v16 bitop3:0x40
; %bb.5375:                             ;   in Loop: Header=BB6_5133 Depth=2
	s_or_b32 exec_lo, exec_lo, s43
	v_bfe_i32 v7, v116, 0, 16
                                        ; implicit-def: $vgpr116
	s_delay_alu instid0(VALU_DEP_1) | instskip(NEXT) | instid1(VALU_DEP_1)
	v_and_b32_e32 v7, 0x80000000, v7
	v_lshl_add_u32 v5, v5, 23, v7
	s_delay_alu instid0(VALU_DEP_1) | instskip(NEXT) | instid1(VALU_DEP_1)
	v_lshl_or_b32 v1, v1, 21, v5
	v_add_nc_u32_e32 v5, 0x38000000, v1
                                        ; implicit-def: $vgpr1
.LBB6_5376:                             ;   in Loop: Header=BB6_5133 Depth=2
	s_and_not1_saveexec_b32 s43, s10
; %bb.5377:                             ;   in Loop: Header=BB6_5133 Depth=2
	v_cmp_lt_i16_e64 s10, -1, v116
	v_cmp_eq_u32_e32 vcc_lo, 0, v1
	s_delay_alu instid0(VALU_DEP_2) | instskip(NEXT) | instid1(VALU_DEP_1)
	v_cndmask_b32_e64 v1, 0xff800000, v44, s10
	v_cndmask_b32_e32 v5, 0x7f800001, v1, vcc_lo
; %bb.5378:                             ;   in Loop: Header=BB6_5133 Depth=2
	s_or_b32 exec_lo, exec_lo, s43
.LBB6_5379:                             ;   in Loop: Header=BB6_5133 Depth=2
	s_delay_alu instid0(SALU_CYCLE_1)
	s_or_b32 exec_lo, exec_lo, s42
.LBB6_5380:                             ;   in Loop: Header=BB6_5133 Depth=2
	s_delay_alu instid0(SALU_CYCLE_1) | instskip(NEXT) | instid1(VALU_DEP_1)
	s_or_b32 exec_lo, exec_lo, s11
	v_dual_max_num_f32 v1, v5, v5 :: v_dual_max_num_f32 v3, v3, v3
	s_delay_alu instid0(VALU_DEP_1)
	v_min_num_f32_e32 v3, v3, v1
.LBB6_5381:                             ;   in Loop: Header=BB6_5133 Depth=2
	s_delay_alu instid0(VALU_DEP_1) | instskip(SKIP_2) | instid1(VALU_DEP_2)
	v_and_b32_e32 v16, 0x7f800000, v3
	v_mov_b32_e32 v17, v25
	v_and_b32_e32 v24, 0x7fffff, v3
	v_cmp_ne_u64_e32 vcc_lo, 0x7f800000, v[16:17]
                                        ; implicit-def: $vgpr17
	s_and_saveexec_b32 s10, vcc_lo
	s_delay_alu instid0(SALU_CYCLE_1)
	s_xor_b32 s11, exec_lo, s10
	s_cbranch_execz .LBB6_5399
; %bb.5382:                             ;   in Loop: Header=BB6_5133 Depth=2
	v_and_b32_e32 v16, 0x7fffffff, v3
	v_dual_mov_b32 v17, v25 :: v_dual_lshrrev_b32 v1, 24, v3
	s_delay_alu instid0(VALU_DEP_1) | instskip(NEXT) | instid1(VALU_DEP_2)
	v_cmp_gt_u64_e32 vcc_lo, 0x47600001, v[16:17]
	v_and_b32_e32 v1, 0x80, v1
                                        ; implicit-def: $vgpr17
	s_and_saveexec_b32 s10, vcc_lo
	s_delay_alu instid0(SALU_CYCLE_1)
	s_xor_b32 s42, exec_lo, s10
	s_cbranch_execz .LBB6_5396
; %bb.5383:                             ;   in Loop: Header=BB6_5133 Depth=2
	v_mov_b32_e32 v17, 0
	s_mov_b32 s43, exec_lo
	v_cmpx_ne_u32_e32 0, v3
	s_cbranch_execz .LBB6_5395
; %bb.5384:                             ;   in Loop: Header=BB6_5133 Depth=2
	v_bfe_u32 v3, v3, 23, 8
	v_or_b32_e32 v7, 0x800000, v24
	s_delay_alu instid0(VALU_DEP_2) | instskip(SKIP_1) | instid1(VALU_DEP_3)
	v_cmp_eq_u32_e32 vcc_lo, 0, v3
	v_cmp_gt_u32_e64 s10, 0x72, v3
	v_dual_cndmask_b32 v24, v7, v24 :: v_dual_sub_nc_u32 v5, 0x71, v3
	s_delay_alu instid0(VALU_DEP_1) | instskip(NEXT) | instid1(VALU_DEP_1)
	v_cndmask_b32_e64 v5, 0, v5, s10
	v_cndmask_b32_e64 v5, v5, 0x70, vcc_lo
	s_delay_alu instid0(VALU_DEP_1) | instskip(NEXT) | instid1(VALU_DEP_1)
	v_add_nc_u32_e32 v7, 21, v5
	v_lshlrev_b64_e64 v[16:17], v7, -1
	v_add_nc_u32_e32 v7, 20, v5
	s_delay_alu instid0(VALU_DEP_1) | instskip(NEXT) | instid1(VALU_DEP_3)
	v_lshlrev_b64_e64 v[18:19], v7, 1
	v_bfi_b32 v17, v17, 0, 0
	s_delay_alu instid0(VALU_DEP_4) | instskip(NEXT) | instid1(VALU_DEP_1)
	v_bfi_b32 v16, v16, 0, v24
	v_cmp_eq_u64_e64 s10, v[16:17], v[18:19]
	v_lshrrev_b64 v[16:17], v5, v[24:25]
	s_delay_alu instid0(VALU_DEP_1)
	v_mov_b64_e32 v[18:19], v[16:17]
	s_and_saveexec_b32 s44, s10
; %bb.5385:                             ;   in Loop: Header=BB6_5133 Depth=2
	v_bfe_u32 v24, v16, 21, 1
	s_delay_alu instid0(VALU_DEP_1) | instskip(NEXT) | instid1(VALU_DEP_1)
	v_add_nc_u64_e32 v[18:19], v[16:17], v[24:25]
	v_add_nc_u64_e32 v[18:19], -1, v[18:19]
; %bb.5386:                             ;   in Loop: Header=BB6_5133 Depth=2
	s_or_b32 exec_lo, exec_lo, s44
	v_add_nc_u32_e32 v3, 0xffffff81, v3
	v_lshrrev_b32_e32 v7, 23, v16
	s_mov_b32 s10, exec_lo
	s_delay_alu instid0(VALU_DEP_2) | instskip(NEXT) | instid1(VALU_DEP_1)
	v_cndmask_b32_e64 v3, v3, 0xffffff82, vcc_lo
	v_add3_u32 v7, v5, v3, v7
	v_and_b32_e32 v3, 0x1fffff, v18
	s_delay_alu instid0(VALU_DEP_1) | instskip(NEXT) | instid1(VALU_DEP_1)
	v_dual_add_nc_u32 v5, 14, v7 :: v_dual_add_nc_u32 v24, v3, v16
                                        ; implicit-def: $vgpr16_vgpr17
                                        ; implicit-def: $vgpr3
	v_cmpx_ne_u32_e32 0, v5
	s_xor_b32 s10, exec_lo, s10
; %bb.5387:                             ;   in Loop: Header=BB6_5133 Depth=2
	s_delay_alu instid0(VALU_DEP_2) | instskip(SKIP_1) | instid1(VALU_DEP_1)
	v_cmp_lt_u64_e32 vcc_lo, 0xffffff, v[24:25]
	v_add_nc_u32_e32 v3, 15, v7
	v_cndmask_b32_e32 v3, v5, v3, vcc_lo
	v_cndmask_b32_e64 v5, 0, 1, vcc_lo
	s_delay_alu instid0(VALU_DEP_1)
	v_lshrrev_b64 v[16:17], v5, v[24:25]
; %bb.5388:                             ;   in Loop: Header=BB6_5133 Depth=2
	s_and_not1_saveexec_b32 s10, s10
; %bb.5389:                             ;   in Loop: Header=BB6_5133 Depth=2
	v_mov_b64_e32 v[16:17], v[24:25]
	v_bfe_u32 v3, v24, 23, 1
; %bb.5390:                             ;   in Loop: Header=BB6_5133 Depth=2
	s_or_b32 exec_lo, exec_lo, s10
	s_delay_alu instid0(VALU_DEP_2) | instskip(NEXT) | instid1(VALU_DEP_2)
	v_lshrrev_b64 v[16:17], 21, v[16:17]
	v_cmp_gt_i32_e32 vcc_lo, 32, v3
	v_cmp_ne_u32_e64 s10, 0, v3
	s_delay_alu instid0(VALU_DEP_3) | instskip(NEXT) | instid1(VALU_DEP_1)
	v_dual_cndmask_b32 v17, 0, v17 :: v_dual_cndmask_b32 v16, 3, v16
	v_cmp_ne_u64_e32 vcc_lo, 0, v[16:17]
                                        ; implicit-def: $vgpr17
	s_or_b32 s10, s10, vcc_lo
	s_delay_alu instid0(SALU_CYCLE_1) | instskip(NEXT) | instid1(SALU_CYCLE_1)
	s_and_saveexec_b32 s44, s10
	s_xor_b32 s10, exec_lo, s44
; %bb.5391:                             ;   in Loop: Header=BB6_5133 Depth=2
	v_min_i32_e32 v3, 31, v3
	s_delay_alu instid0(VALU_DEP_1) | instskip(NEXT) | instid1(VALU_DEP_1)
	v_lshl_or_b32 v1, v3, 2, v1
	v_and_or_b32 v17, v16, 3, v1
                                        ; implicit-def: $vgpr1
; %bb.5392:                             ;   in Loop: Header=BB6_5133 Depth=2
	s_and_not1_saveexec_b32 s10, s10
; %bb.5393:                             ;   in Loop: Header=BB6_5133 Depth=2
	v_mov_b32_e32 v17, v1
; %bb.5394:                             ;   in Loop: Header=BB6_5133 Depth=2
	s_or_b32 exec_lo, exec_lo, s10
.LBB6_5395:                             ;   in Loop: Header=BB6_5133 Depth=2
	s_delay_alu instid0(SALU_CYCLE_1)
	s_or_b32 exec_lo, exec_lo, s43
                                        ; implicit-def: $vgpr1
.LBB6_5396:                             ;   in Loop: Header=BB6_5133 Depth=2
	s_and_not1_saveexec_b32 s10, s42
; %bb.5397:                             ;   in Loop: Header=BB6_5133 Depth=2
	v_or_b32_e32 v17, 0x7b, v1
; %bb.5398:                             ;   in Loop: Header=BB6_5133 Depth=2
	s_or_b32 exec_lo, exec_lo, s10
                                        ; implicit-def: $vgpr3
.LBB6_5399:                             ;   in Loop: Header=BB6_5133 Depth=2
	s_and_not1_saveexec_b32 s10, s11
	s_cbranch_execz .LBB6_5405
; %bb.5400:                             ;   in Loop: Header=BB6_5133 Depth=2
	s_mov_b32 s11, exec_lo
                                        ; implicit-def: $vgpr17
	v_cmpx_ne_u64_e32 0, v[24:25]
	s_xor_b32 s11, exec_lo, s11
; %bb.5401:                             ;   in Loop: Header=BB6_5133 Depth=2
	v_lshrrev_b32_e32 v1, 24, v3
                                        ; implicit-def: $vgpr3
	s_delay_alu instid0(VALU_DEP_1)
	v_or_b32_e32 v17, 0x7f, v1
; %bb.5402:                             ;   in Loop: Header=BB6_5133 Depth=2
	s_and_not1_saveexec_b32 s11, s11
; %bb.5403:                             ;   in Loop: Header=BB6_5133 Depth=2
	v_cmp_lt_i32_e32 vcc_lo, -1, v3
	v_cndmask_b32_e64 v17, -4, 0x7c, vcc_lo
; %bb.5404:                             ;   in Loop: Header=BB6_5133 Depth=2
	s_or_b32 exec_lo, exec_lo, s11
.LBB6_5405:                             ;   in Loop: Header=BB6_5133 Depth=2
	s_delay_alu instid0(SALU_CYCLE_1)
	s_or_b32 exec_lo, exec_lo, s10
	v_and_b32_e32 v1, 0xff, v8
	v_cmp_ne_u16_e64 s10, 0, v8
	s_mov_b32 s11, -1
	s_and_not1_b32 vcc_lo, exec_lo, s15
                                        ; implicit-def: $vgpr3
	s_cbranch_vccnz .LBB6_5427
; %bb.5406:                             ;   in Loop: Header=BB6_5133 Depth=2
	v_dual_mov_b32 v5, 0 :: v_dual_mov_b32 v3, 0
	s_and_saveexec_b32 s42, s10
	s_cbranch_execz .LBB6_5416
; %bb.5407:                             ;   in Loop: Header=BB6_5133 Depth=2
	v_bfrev_b32_e32 v3, 1
	s_mov_b32 s43, exec_lo
	v_cmpx_ne_u16_e32 0xff80, v8
	s_cbranch_execz .LBB6_5415
; %bb.5408:                             ;   in Loop: Header=BB6_5133 Depth=2
	v_and_b32_e32 v3, 0x7c, v1
	v_and_b32_e32 v7, 3, v1
	s_delay_alu instid0(VALU_DEP_2) | instskip(SKIP_1) | instid1(SALU_CYCLE_1)
	v_cmp_ne_u32_e32 vcc_lo, 0x7c, v3
                                        ; implicit-def: $vgpr3
	s_and_saveexec_b32 s11, vcc_lo
	s_xor_b32 s11, exec_lo, s11
	s_cbranch_execz .LBB6_5412
; %bb.5409:                             ;   in Loop: Header=BB6_5133 Depth=2
	v_bfe_u32 v3, v1, 2, 5
	s_mov_b32 s44, exec_lo
	s_delay_alu instid0(VALU_DEP_1)
	v_cmpx_eq_u32_e32 0, v3
	s_cbranch_execz .LBB6_5411
; %bb.5410:                             ;   in Loop: Header=BB6_5133 Depth=2
	v_clz_i32_u32_e32 v3, v7
	s_delay_alu instid0(VALU_DEP_1) | instskip(SKIP_1) | instid1(VALU_DEP_2)
	v_min_u32_e32 v3, 32, v3
	v_mov_b32_e32 v9, v25
	v_subrev_nc_u32_e32 v7, 29, v3
	v_sub_nc_u32_e32 v3, 30, v3
	s_delay_alu instid0(VALU_DEP_2) | instskip(NEXT) | instid1(VALU_DEP_1)
	v_lshlrev_b64_e32 v[18:19], v7, v[8:9]
	v_and_b32_e32 v7, 3, v18
.LBB6_5411:                             ;   in Loop: Header=BB6_5133 Depth=2
	s_or_b32 exec_lo, exec_lo, s44
	v_bfe_i32 v9, v8, 0, 16
	s_delay_alu instid0(VALU_DEP_1) | instskip(NEXT) | instid1(VALU_DEP_1)
	v_and_b32_e32 v9, 0x80000000, v9
	v_lshl_add_u32 v3, v3, 23, v9
	s_delay_alu instid0(VALU_DEP_1) | instskip(NEXT) | instid1(VALU_DEP_1)
	v_lshl_or_b32 v3, v7, 21, v3
                                        ; implicit-def: $vgpr7
	v_add_nc_u32_e32 v3, 0x38000000, v3
.LBB6_5412:                             ;   in Loop: Header=BB6_5133 Depth=2
	s_and_not1_saveexec_b32 s44, s11
; %bb.5413:                             ;   in Loop: Header=BB6_5133 Depth=2
	v_cmp_lt_i16_e64 s11, -1, v8
	v_cmp_eq_u32_e32 vcc_lo, 0, v7
	s_delay_alu instid0(VALU_DEP_2) | instskip(NEXT) | instid1(VALU_DEP_1)
	v_cndmask_b32_e64 v3, 0xff800000, v44, s11
	v_cndmask_b32_e32 v3, 0x7f800001, v3, vcc_lo
; %bb.5414:                             ;   in Loop: Header=BB6_5133 Depth=2
	s_or_b32 exec_lo, exec_lo, s44
.LBB6_5415:                             ;   in Loop: Header=BB6_5133 Depth=2
	s_delay_alu instid0(SALU_CYCLE_1)
	s_or_b32 exec_lo, exec_lo, s43
.LBB6_5416:                             ;   in Loop: Header=BB6_5133 Depth=2
	s_delay_alu instid0(SALU_CYCLE_1) | instskip(NEXT) | instid1(SALU_CYCLE_1)
	s_or_b32 exec_lo, exec_lo, s42
	s_mov_b32 s42, exec_lo
	v_cmpx_ne_u16_e32 0, v6
	s_cbranch_execz .LBB6_5426
; %bb.5417:                             ;   in Loop: Header=BB6_5133 Depth=2
	v_bfrev_b32_e32 v5, 1
	s_mov_b32 s43, exec_lo
	v_cmpx_ne_u16_e32 0xff80, v6
	s_cbranch_execz .LBB6_5425
; %bb.5418:                             ;   in Loop: Header=BB6_5133 Depth=2
	v_and_b32_e32 v5, 0x7c, v6
	v_and_b32_e32 v7, 3, v6
	s_delay_alu instid0(VALU_DEP_2) | instskip(SKIP_1) | instid1(SALU_CYCLE_1)
	v_cmp_ne_u32_e32 vcc_lo, 0x7c, v5
                                        ; implicit-def: $vgpr5
	s_and_saveexec_b32 s11, vcc_lo
	s_xor_b32 s11, exec_lo, s11
	s_cbranch_execz .LBB6_5422
; %bb.5419:                             ;   in Loop: Header=BB6_5133 Depth=2
	v_and_b32_e32 v5, 0xff, v6
	s_mov_b32 s44, exec_lo
	s_delay_alu instid0(VALU_DEP_1) | instskip(NEXT) | instid1(VALU_DEP_1)
	v_bfe_u32 v5, v5, 2, 5
	v_cmpx_eq_u32_e32 0, v5
	s_cbranch_execz .LBB6_5421
; %bb.5420:                             ;   in Loop: Header=BB6_5133 Depth=2
	v_clz_i32_u32_e32 v5, v7
	s_delay_alu instid0(VALU_DEP_1) | instskip(SKIP_1) | instid1(VALU_DEP_2)
	v_min_u32_e32 v5, 32, v5
	v_mov_b32_e32 v7, v25
	v_subrev_nc_u32_e32 v9, 29, v5
	v_sub_nc_u32_e32 v5, 30, v5
	s_delay_alu instid0(VALU_DEP_2) | instskip(NEXT) | instid1(VALU_DEP_1)
	v_lshlrev_b64_e32 v[18:19], v9, v[6:7]
	v_and_b32_e32 v7, 3, v18
.LBB6_5421:                             ;   in Loop: Header=BB6_5133 Depth=2
	s_or_b32 exec_lo, exec_lo, s44
	v_bfe_i32 v9, v6, 0, 16
	s_delay_alu instid0(VALU_DEP_1) | instskip(NEXT) | instid1(VALU_DEP_1)
	v_and_b32_e32 v9, 0x80000000, v9
	v_lshl_add_u32 v5, v5, 23, v9
	s_delay_alu instid0(VALU_DEP_1) | instskip(NEXT) | instid1(VALU_DEP_1)
	v_lshl_or_b32 v5, v7, 21, v5
                                        ; implicit-def: $vgpr7
	v_add_nc_u32_e32 v5, 0x38000000, v5
.LBB6_5422:                             ;   in Loop: Header=BB6_5133 Depth=2
	s_and_not1_saveexec_b32 s44, s11
; %bb.5423:                             ;   in Loop: Header=BB6_5133 Depth=2
	v_cmp_lt_i16_e64 s11, -1, v6
	v_cmp_eq_u32_e32 vcc_lo, 0, v7
	s_delay_alu instid0(VALU_DEP_2) | instskip(NEXT) | instid1(VALU_DEP_1)
	v_cndmask_b32_e64 v5, 0xff800000, v44, s11
	v_cndmask_b32_e32 v5, 0x7f800001, v5, vcc_lo
; %bb.5424:                             ;   in Loop: Header=BB6_5133 Depth=2
	s_or_b32 exec_lo, exec_lo, s44
.LBB6_5425:                             ;   in Loop: Header=BB6_5133 Depth=2
	s_delay_alu instid0(SALU_CYCLE_1)
	s_or_b32 exec_lo, exec_lo, s43
.LBB6_5426:                             ;   in Loop: Header=BB6_5133 Depth=2
	s_delay_alu instid0(SALU_CYCLE_1) | instskip(NEXT) | instid1(VALU_DEP_1)
	s_or_b32 exec_lo, exec_lo, s42
	v_dual_max_num_f32 v5, v5, v5 :: v_dual_max_num_f32 v3, v3, v3
	s_mov_b32 s11, 0
	s_delay_alu instid0(VALU_DEP_1)
	v_max_num_f32_e32 v3, v3, v5
.LBB6_5427:                             ;   in Loop: Header=BB6_5133 Depth=2
	s_and_b32 vcc_lo, exec_lo, s11
	s_cbranch_vccz .LBB6_5449
; %bb.5428:                             ;   in Loop: Header=BB6_5133 Depth=2
	v_dual_mov_b32 v5, 0 :: v_dual_mov_b32 v3, 0
	s_and_saveexec_b32 s11, s10
	s_cbranch_execz .LBB6_5438
; %bb.5429:                             ;   in Loop: Header=BB6_5133 Depth=2
	v_bfrev_b32_e32 v3, 1
	s_mov_b32 s42, exec_lo
	v_cmpx_ne_u16_e32 0xff80, v8
	s_cbranch_execz .LBB6_5437
; %bb.5430:                             ;   in Loop: Header=BB6_5133 Depth=2
	v_and_b32_e32 v3, 0x7c, v1
	v_and_b32_e32 v7, 3, v1
	s_delay_alu instid0(VALU_DEP_2) | instskip(SKIP_1) | instid1(SALU_CYCLE_1)
	v_cmp_ne_u32_e32 vcc_lo, 0x7c, v3
                                        ; implicit-def: $vgpr3
	s_and_saveexec_b32 s10, vcc_lo
	s_xor_b32 s10, exec_lo, s10
	s_cbranch_execz .LBB6_5434
; %bb.5431:                             ;   in Loop: Header=BB6_5133 Depth=2
	v_bfe_u32 v1, v1, 2, 5
	s_mov_b32 s43, exec_lo
	s_delay_alu instid0(VALU_DEP_1)
	v_cmpx_eq_u32_e32 0, v1
	s_cbranch_execz .LBB6_5433
; %bb.5432:                             ;   in Loop: Header=BB6_5133 Depth=2
	v_clz_i32_u32_e32 v1, v7
	s_delay_alu instid0(VALU_DEP_1) | instskip(SKIP_1) | instid1(VALU_DEP_2)
	v_min_u32_e32 v1, 32, v1
	v_mov_b32_e32 v9, v25
	v_subrev_nc_u32_e32 v3, 29, v1
	v_sub_nc_u32_e32 v1, 30, v1
	s_delay_alu instid0(VALU_DEP_2) | instskip(NEXT) | instid1(VALU_DEP_1)
	v_lshlrev_b64_e32 v[18:19], v3, v[8:9]
	v_and_b32_e32 v7, 3, v18
.LBB6_5433:                             ;   in Loop: Header=BB6_5133 Depth=2
	s_or_b32 exec_lo, exec_lo, s43
	v_bfe_i32 v3, v8, 0, 16
                                        ; implicit-def: $vgpr8
	s_delay_alu instid0(VALU_DEP_1) | instskip(NEXT) | instid1(VALU_DEP_1)
	v_and_b32_e32 v3, 0x80000000, v3
	v_lshl_add_u32 v1, v1, 23, v3
	s_delay_alu instid0(VALU_DEP_1) | instskip(NEXT) | instid1(VALU_DEP_1)
	v_lshl_or_b32 v1, v7, 21, v1
                                        ; implicit-def: $vgpr7
	v_add_nc_u32_e32 v3, 0x38000000, v1
.LBB6_5434:                             ;   in Loop: Header=BB6_5133 Depth=2
	s_and_not1_saveexec_b32 s43, s10
; %bb.5435:                             ;   in Loop: Header=BB6_5133 Depth=2
	v_cmp_lt_i16_e64 s10, -1, v8
	v_cmp_eq_u32_e32 vcc_lo, 0, v7
	s_delay_alu instid0(VALU_DEP_2) | instskip(NEXT) | instid1(VALU_DEP_1)
	v_cndmask_b32_e64 v1, 0xff800000, v44, s10
	v_cndmask_b32_e32 v3, 0x7f800001, v1, vcc_lo
; %bb.5436:                             ;   in Loop: Header=BB6_5133 Depth=2
	s_or_b32 exec_lo, exec_lo, s43
.LBB6_5437:                             ;   in Loop: Header=BB6_5133 Depth=2
	s_delay_alu instid0(SALU_CYCLE_1)
	s_or_b32 exec_lo, exec_lo, s42
.LBB6_5438:                             ;   in Loop: Header=BB6_5133 Depth=2
	s_delay_alu instid0(SALU_CYCLE_1) | instskip(NEXT) | instid1(SALU_CYCLE_1)
	s_or_b32 exec_lo, exec_lo, s11
	s_mov_b32 s11, exec_lo
	v_cmpx_ne_u16_e32 0, v6
	s_cbranch_execz .LBB6_5448
; %bb.5439:                             ;   in Loop: Header=BB6_5133 Depth=2
	v_bfrev_b32_e32 v5, 1
	s_mov_b32 s42, exec_lo
	v_cmpx_ne_u16_e32 0xff80, v6
	s_cbranch_execz .LBB6_5447
; %bb.5440:                             ;   in Loop: Header=BB6_5133 Depth=2
	v_and_b32_e32 v5, 0x7c, v6
	v_and_b32_e32 v1, 3, v6
	s_delay_alu instid0(VALU_DEP_2) | instskip(SKIP_1) | instid1(SALU_CYCLE_1)
	v_cmp_ne_u32_e32 vcc_lo, 0x7c, v5
                                        ; implicit-def: $vgpr5
	s_and_saveexec_b32 s10, vcc_lo
	s_xor_b32 s10, exec_lo, s10
	s_cbranch_execz .LBB6_5444
; %bb.5441:                             ;   in Loop: Header=BB6_5133 Depth=2
	v_and_b32_e32 v5, 0xff, v6
	s_mov_b32 s43, exec_lo
	s_delay_alu instid0(VALU_DEP_1) | instskip(NEXT) | instid1(VALU_DEP_1)
	v_bfe_u32 v5, v5, 2, 5
	v_cmpx_eq_u32_e32 0, v5
; %bb.5442:                             ;   in Loop: Header=BB6_5133 Depth=2
	v_clz_i32_u32_e32 v1, v1
	s_delay_alu instid0(VALU_DEP_1) | instskip(SKIP_1) | instid1(VALU_DEP_2)
	v_min_u32_e32 v1, 32, v1
	v_mov_b32_e32 v7, v25
	v_subrev_nc_u32_e32 v5, 29, v1
	s_delay_alu instid0(VALU_DEP_1) | instskip(NEXT) | instid1(VALU_DEP_1)
	v_lshlrev_b64_e32 v[8:9], v5, v[6:7]
	v_dual_sub_nc_u32 v5, 30, v1 :: v_dual_bitop2_b32 v1, 3, v8 bitop3:0x40
; %bb.5443:                             ;   in Loop: Header=BB6_5133 Depth=2
	s_or_b32 exec_lo, exec_lo, s43
	v_bfe_i32 v6, v6, 0, 16
	s_delay_alu instid0(VALU_DEP_1) | instskip(NEXT) | instid1(VALU_DEP_1)
	v_and_b32_e32 v6, 0x80000000, v6
	v_lshl_add_u32 v5, v5, 23, v6
                                        ; implicit-def: $vgpr6
	s_delay_alu instid0(VALU_DEP_1) | instskip(NEXT) | instid1(VALU_DEP_1)
	v_lshl_or_b32 v1, v1, 21, v5
	v_add_nc_u32_e32 v5, 0x38000000, v1
                                        ; implicit-def: $vgpr1
.LBB6_5444:                             ;   in Loop: Header=BB6_5133 Depth=2
	s_and_not1_saveexec_b32 s43, s10
; %bb.5445:                             ;   in Loop: Header=BB6_5133 Depth=2
	v_cmp_lt_i16_e64 s10, -1, v6
	v_cmp_eq_u32_e32 vcc_lo, 0, v1
	s_delay_alu instid0(VALU_DEP_2) | instskip(NEXT) | instid1(VALU_DEP_1)
	v_cndmask_b32_e64 v1, 0xff800000, v44, s10
	v_cndmask_b32_e32 v5, 0x7f800001, v1, vcc_lo
; %bb.5446:                             ;   in Loop: Header=BB6_5133 Depth=2
	s_or_b32 exec_lo, exec_lo, s43
.LBB6_5447:                             ;   in Loop: Header=BB6_5133 Depth=2
	s_delay_alu instid0(SALU_CYCLE_1)
	s_or_b32 exec_lo, exec_lo, s42
.LBB6_5448:                             ;   in Loop: Header=BB6_5133 Depth=2
	s_delay_alu instid0(SALU_CYCLE_1) | instskip(NEXT) | instid1(VALU_DEP_1)
	s_or_b32 exec_lo, exec_lo, s11
	v_dual_max_num_f32 v1, v5, v5 :: v_dual_max_num_f32 v3, v3, v3
	s_delay_alu instid0(VALU_DEP_1)
	v_min_num_f32_e32 v3, v3, v1
.LBB6_5449:                             ;   in Loop: Header=BB6_5133 Depth=2
	s_delay_alu instid0(VALU_DEP_1) | instskip(SKIP_3) | instid1(VALU_DEP_2)
	v_and_b32_e32 v6, 0x7f800000, v3
	v_mov_b32_e32 v7, v25
	v_and_b32_e32 v24, 0x7fffff, v3
                                        ; implicit-def: $vgpr16
	s_mov_b32 s10, exec_lo
	v_cmpx_ne_u64_e32 0x7f800000, v[6:7]
	s_xor_b32 s11, exec_lo, s10
	s_cbranch_execz .LBB6_5467
; %bb.5450:                             ;   in Loop: Header=BB6_5133 Depth=2
	v_dual_mov_b32 v7, v25 :: v_dual_lshrrev_b32 v1, 24, v3
	v_and_b32_e32 v6, 0x7fffffff, v3
                                        ; implicit-def: $vgpr16
	s_mov_b32 s10, exec_lo
	s_delay_alu instid0(VALU_DEP_2) | instskip(NEXT) | instid1(VALU_DEP_2)
	v_and_b32_e32 v1, 0x80, v1
	v_cmpx_gt_u64_e32 0x47600001, v[6:7]
	s_xor_b32 s42, exec_lo, s10
	s_cbranch_execz .LBB6_5464
; %bb.5451:                             ;   in Loop: Header=BB6_5133 Depth=2
	v_mov_b32_e32 v16, 0
	s_mov_b32 s43, exec_lo
	v_cmpx_ne_u32_e32 0, v3
	s_cbranch_execz .LBB6_5463
; %bb.5452:                             ;   in Loop: Header=BB6_5133 Depth=2
	v_bfe_u32 v3, v3, 23, 8
	v_or_b32_e32 v6, 0x800000, v24
	s_delay_alu instid0(VALU_DEP_2) | instskip(SKIP_1) | instid1(VALU_DEP_3)
	v_cmp_eq_u32_e32 vcc_lo, 0, v3
	v_cmp_gt_u32_e64 s10, 0x72, v3
	v_dual_cndmask_b32 v24, v6, v24 :: v_dual_sub_nc_u32 v5, 0x71, v3
	s_delay_alu instid0(VALU_DEP_1) | instskip(NEXT) | instid1(VALU_DEP_1)
	v_cndmask_b32_e64 v5, 0, v5, s10
	v_cndmask_b32_e64 v5, v5, 0x70, vcc_lo
	s_delay_alu instid0(VALU_DEP_1) | instskip(NEXT) | instid1(VALU_DEP_1)
	v_dual_add_nc_u32 v6, 21, v5 :: v_dual_add_nc_u32 v8, 20, v5
	v_lshlrev_b64_e64 v[6:7], v6, -1
	s_delay_alu instid0(VALU_DEP_2) | instskip(NEXT) | instid1(VALU_DEP_2)
	v_lshlrev_b64_e64 v[8:9], v8, 1
	v_bfi_b32 v7, v7, 0, 0
	s_delay_alu instid0(VALU_DEP_3) | instskip(NEXT) | instid1(VALU_DEP_1)
	v_bfi_b32 v6, v6, 0, v24
	v_cmp_eq_u64_e64 s10, v[6:7], v[8:9]
	v_lshrrev_b64 v[6:7], v5, v[24:25]
	s_delay_alu instid0(VALU_DEP_1)
	v_mov_b64_e32 v[8:9], v[6:7]
	s_and_saveexec_b32 s44, s10
; %bb.5453:                             ;   in Loop: Header=BB6_5133 Depth=2
	v_bfe_u32 v24, v6, 21, 1
	s_delay_alu instid0(VALU_DEP_1) | instskip(NEXT) | instid1(VALU_DEP_1)
	v_add_nc_u64_e32 v[8:9], v[6:7], v[24:25]
	v_add_nc_u64_e32 v[8:9], -1, v[8:9]
; %bb.5454:                             ;   in Loop: Header=BB6_5133 Depth=2
	s_or_b32 exec_lo, exec_lo, s44
	v_add_nc_u32_e32 v3, 0xffffff81, v3
	v_lshrrev_b32_e32 v7, 23, v6
	s_mov_b32 s10, exec_lo
	s_delay_alu instid0(VALU_DEP_2) | instskip(NEXT) | instid1(VALU_DEP_1)
	v_cndmask_b32_e64 v3, v3, 0xffffff82, vcc_lo
	v_add3_u32 v9, v5, v3, v7
	v_and_b32_e32 v3, 0x1fffff, v8
	s_delay_alu instid0(VALU_DEP_1) | instskip(NEXT) | instid1(VALU_DEP_1)
	v_dual_add_nc_u32 v5, 14, v9 :: v_dual_add_nc_u32 v24, v3, v6
                                        ; implicit-def: $vgpr6_vgpr7
                                        ; implicit-def: $vgpr3
	v_cmpx_ne_u32_e32 0, v5
	s_xor_b32 s10, exec_lo, s10
; %bb.5455:                             ;   in Loop: Header=BB6_5133 Depth=2
	s_delay_alu instid0(VALU_DEP_2) | instskip(SKIP_1) | instid1(VALU_DEP_1)
	v_cmp_lt_u64_e32 vcc_lo, 0xffffff, v[24:25]
	v_add_nc_u32_e32 v3, 15, v9
	v_cndmask_b32_e32 v3, v5, v3, vcc_lo
	v_cndmask_b32_e64 v5, 0, 1, vcc_lo
	s_delay_alu instid0(VALU_DEP_1)
	v_lshrrev_b64 v[6:7], v5, v[24:25]
; %bb.5456:                             ;   in Loop: Header=BB6_5133 Depth=2
	s_and_not1_saveexec_b32 s10, s10
; %bb.5457:                             ;   in Loop: Header=BB6_5133 Depth=2
	v_mov_b64_e32 v[6:7], v[24:25]
	v_bfe_u32 v3, v24, 23, 1
; %bb.5458:                             ;   in Loop: Header=BB6_5133 Depth=2
	s_or_b32 exec_lo, exec_lo, s10
	s_delay_alu instid0(VALU_DEP_2) | instskip(NEXT) | instid1(VALU_DEP_2)
	v_lshrrev_b64 v[6:7], 21, v[6:7]
	v_cmp_gt_i32_e32 vcc_lo, 32, v3
	v_cmp_ne_u32_e64 s10, 0, v3
                                        ; implicit-def: $vgpr16
	s_delay_alu instid0(VALU_DEP_3) | instskip(NEXT) | instid1(VALU_DEP_1)
	v_dual_cndmask_b32 v7, 0, v7 :: v_dual_cndmask_b32 v6, 3, v6
	v_cmp_ne_u64_e32 vcc_lo, 0, v[6:7]
	s_or_b32 s10, s10, vcc_lo
	s_delay_alu instid0(SALU_CYCLE_1) | instskip(NEXT) | instid1(SALU_CYCLE_1)
	s_and_saveexec_b32 s44, s10
	s_xor_b32 s10, exec_lo, s44
; %bb.5459:                             ;   in Loop: Header=BB6_5133 Depth=2
	v_min_i32_e32 v3, 31, v3
	s_delay_alu instid0(VALU_DEP_1) | instskip(NEXT) | instid1(VALU_DEP_1)
	v_lshl_or_b32 v1, v3, 2, v1
	v_and_or_b32 v16, v6, 3, v1
                                        ; implicit-def: $vgpr1
; %bb.5460:                             ;   in Loop: Header=BB6_5133 Depth=2
	s_and_not1_saveexec_b32 s10, s10
; %bb.5461:                             ;   in Loop: Header=BB6_5133 Depth=2
	v_mov_b32_e32 v16, v1
; %bb.5462:                             ;   in Loop: Header=BB6_5133 Depth=2
	s_or_b32 exec_lo, exec_lo, s10
.LBB6_5463:                             ;   in Loop: Header=BB6_5133 Depth=2
	s_delay_alu instid0(SALU_CYCLE_1)
	s_or_b32 exec_lo, exec_lo, s43
                                        ; implicit-def: $vgpr1
.LBB6_5464:                             ;   in Loop: Header=BB6_5133 Depth=2
	s_and_not1_saveexec_b32 s10, s42
; %bb.5465:                             ;   in Loop: Header=BB6_5133 Depth=2
	v_or_b32_e32 v16, 0x7b, v1
; %bb.5466:                             ;   in Loop: Header=BB6_5133 Depth=2
	s_or_b32 exec_lo, exec_lo, s10
                                        ; implicit-def: $vgpr3
.LBB6_5467:                             ;   in Loop: Header=BB6_5133 Depth=2
	s_and_not1_saveexec_b32 s10, s11
	s_cbranch_execz .LBB6_5473
; %bb.5468:                             ;   in Loop: Header=BB6_5133 Depth=2
	s_mov_b32 s11, exec_lo
                                        ; implicit-def: $vgpr16
	v_cmpx_ne_u64_e32 0, v[24:25]
	s_xor_b32 s11, exec_lo, s11
; %bb.5469:                             ;   in Loop: Header=BB6_5133 Depth=2
	v_lshrrev_b32_e32 v1, 24, v3
                                        ; implicit-def: $vgpr3
	s_delay_alu instid0(VALU_DEP_1)
	v_or_b32_e32 v16, 0x7f, v1
; %bb.5470:                             ;   in Loop: Header=BB6_5133 Depth=2
	s_and_not1_saveexec_b32 s11, s11
; %bb.5471:                             ;   in Loop: Header=BB6_5133 Depth=2
	v_cmp_lt_i32_e32 vcc_lo, -1, v3
	v_cndmask_b32_e64 v16, -4, 0x7c, vcc_lo
; %bb.5472:                             ;   in Loop: Header=BB6_5133 Depth=2
	s_or_b32 exec_lo, exec_lo, s11
.LBB6_5473:                             ;   in Loop: Header=BB6_5133 Depth=2
	s_delay_alu instid0(SALU_CYCLE_1)
	s_or_b32 exec_lo, exec_lo, s10
	v_and_b32_e32 v1, 0xff, v70
	v_cmp_ne_u16_e64 s10, 0, v70
	s_mov_b32 s11, -1
	s_and_not1_b32 vcc_lo, exec_lo, s15
                                        ; implicit-def: $vgpr3
	s_cbranch_vccnz .LBB6_5495
; %bb.5474:                             ;   in Loop: Header=BB6_5133 Depth=2
	v_dual_mov_b32 v5, 0 :: v_dual_mov_b32 v3, 0
	s_and_saveexec_b32 s42, s10
	s_cbranch_execz .LBB6_5484
; %bb.5475:                             ;   in Loop: Header=BB6_5133 Depth=2
	v_bfrev_b32_e32 v3, 1
	s_mov_b32 s43, exec_lo
	v_cmpx_ne_u16_e32 0xff80, v70
	s_cbranch_execz .LBB6_5483
; %bb.5476:                             ;   in Loop: Header=BB6_5133 Depth=2
	v_and_b32_e32 v3, 0x7c, v1
	v_and_b32_e32 v6, 3, v1
	s_delay_alu instid0(VALU_DEP_2) | instskip(SKIP_1) | instid1(SALU_CYCLE_1)
	v_cmp_ne_u32_e32 vcc_lo, 0x7c, v3
                                        ; implicit-def: $vgpr3
	s_and_saveexec_b32 s11, vcc_lo
	s_xor_b32 s11, exec_lo, s11
	s_cbranch_execz .LBB6_5480
; %bb.5477:                             ;   in Loop: Header=BB6_5133 Depth=2
	v_bfe_u32 v3, v1, 2, 5
	s_mov_b32 s44, exec_lo
	s_delay_alu instid0(VALU_DEP_1)
	v_cmpx_eq_u32_e32 0, v3
	s_cbranch_execz .LBB6_5479
; %bb.5478:                             ;   in Loop: Header=BB6_5133 Depth=2
	v_clz_i32_u32_e32 v3, v6
	s_delay_alu instid0(VALU_DEP_1) | instskip(SKIP_1) | instid1(VALU_DEP_2)
	v_min_u32_e32 v3, 32, v3
	v_mov_b32_e32 v71, v25
	v_subrev_nc_u32_e32 v6, 29, v3
	v_sub_nc_u32_e32 v3, 30, v3
	s_delay_alu instid0(VALU_DEP_2) | instskip(NEXT) | instid1(VALU_DEP_1)
	v_lshlrev_b64_e32 v[6:7], v6, v[70:71]
	v_and_b32_e32 v6, 3, v6
.LBB6_5479:                             ;   in Loop: Header=BB6_5133 Depth=2
	s_or_b32 exec_lo, exec_lo, s44
	v_bfe_i32 v7, v70, 0, 16
	s_delay_alu instid0(VALU_DEP_1) | instskip(NEXT) | instid1(VALU_DEP_1)
	v_and_b32_e32 v7, 0x80000000, v7
	v_lshl_add_u32 v3, v3, 23, v7
	s_delay_alu instid0(VALU_DEP_1) | instskip(NEXT) | instid1(VALU_DEP_1)
	v_lshl_or_b32 v3, v6, 21, v3
                                        ; implicit-def: $vgpr6
	v_add_nc_u32_e32 v3, 0x38000000, v3
.LBB6_5480:                             ;   in Loop: Header=BB6_5133 Depth=2
	s_and_not1_saveexec_b32 s44, s11
; %bb.5481:                             ;   in Loop: Header=BB6_5133 Depth=2
	v_cmp_lt_i16_e64 s11, -1, v70
	v_cmp_eq_u32_e32 vcc_lo, 0, v6
	s_delay_alu instid0(VALU_DEP_2) | instskip(NEXT) | instid1(VALU_DEP_1)
	v_cndmask_b32_e64 v3, 0xff800000, v44, s11
	v_cndmask_b32_e32 v3, 0x7f800001, v3, vcc_lo
; %bb.5482:                             ;   in Loop: Header=BB6_5133 Depth=2
	s_or_b32 exec_lo, exec_lo, s44
.LBB6_5483:                             ;   in Loop: Header=BB6_5133 Depth=2
	s_delay_alu instid0(SALU_CYCLE_1)
	s_or_b32 exec_lo, exec_lo, s43
.LBB6_5484:                             ;   in Loop: Header=BB6_5133 Depth=2
	s_delay_alu instid0(SALU_CYCLE_1) | instskip(NEXT) | instid1(SALU_CYCLE_1)
	s_or_b32 exec_lo, exec_lo, s42
	s_mov_b32 s42, exec_lo
	v_cmpx_ne_u16_e32 0, v112
	s_cbranch_execz .LBB6_5494
; %bb.5485:                             ;   in Loop: Header=BB6_5133 Depth=2
	v_bfrev_b32_e32 v5, 1
	s_mov_b32 s43, exec_lo
	v_cmpx_ne_u16_e32 0xff80, v112
	s_cbranch_execz .LBB6_5493
; %bb.5486:                             ;   in Loop: Header=BB6_5133 Depth=2
	v_and_b32_e32 v5, 0x7c, v112
	v_and_b32_e32 v6, 3, v112
	s_delay_alu instid0(VALU_DEP_2) | instskip(SKIP_1) | instid1(SALU_CYCLE_1)
	v_cmp_ne_u32_e32 vcc_lo, 0x7c, v5
                                        ; implicit-def: $vgpr5
	s_and_saveexec_b32 s11, vcc_lo
	s_xor_b32 s11, exec_lo, s11
	s_cbranch_execz .LBB6_5490
; %bb.5487:                             ;   in Loop: Header=BB6_5133 Depth=2
	v_and_b32_e32 v5, 0xff, v112
	s_mov_b32 s44, exec_lo
	s_delay_alu instid0(VALU_DEP_1) | instskip(NEXT) | instid1(VALU_DEP_1)
	v_bfe_u32 v5, v5, 2, 5
	v_cmpx_eq_u32_e32 0, v5
	s_cbranch_execz .LBB6_5489
; %bb.5488:                             ;   in Loop: Header=BB6_5133 Depth=2
	v_clz_i32_u32_e32 v5, v6
	s_delay_alu instid0(VALU_DEP_1) | instskip(SKIP_1) | instid1(VALU_DEP_2)
	v_min_u32_e32 v5, 32, v5
	v_mov_b32_e32 v113, v25
	v_subrev_nc_u32_e32 v6, 29, v5
	v_sub_nc_u32_e32 v5, 30, v5
	s_delay_alu instid0(VALU_DEP_2) | instskip(NEXT) | instid1(VALU_DEP_1)
	v_lshlrev_b64_e32 v[6:7], v6, v[112:113]
	v_and_b32_e32 v6, 3, v6
.LBB6_5489:                             ;   in Loop: Header=BB6_5133 Depth=2
	s_or_b32 exec_lo, exec_lo, s44
	v_bfe_i32 v7, v112, 0, 16
	s_delay_alu instid0(VALU_DEP_1) | instskip(NEXT) | instid1(VALU_DEP_1)
	v_and_b32_e32 v7, 0x80000000, v7
	v_lshl_add_u32 v5, v5, 23, v7
	s_delay_alu instid0(VALU_DEP_1) | instskip(NEXT) | instid1(VALU_DEP_1)
	v_lshl_or_b32 v5, v6, 21, v5
                                        ; implicit-def: $vgpr6
	v_add_nc_u32_e32 v5, 0x38000000, v5
.LBB6_5490:                             ;   in Loop: Header=BB6_5133 Depth=2
	s_and_not1_saveexec_b32 s44, s11
; %bb.5491:                             ;   in Loop: Header=BB6_5133 Depth=2
	v_cmp_lt_i16_e64 s11, -1, v112
	v_cmp_eq_u32_e32 vcc_lo, 0, v6
	s_delay_alu instid0(VALU_DEP_2) | instskip(NEXT) | instid1(VALU_DEP_1)
	v_cndmask_b32_e64 v5, 0xff800000, v44, s11
	v_cndmask_b32_e32 v5, 0x7f800001, v5, vcc_lo
; %bb.5492:                             ;   in Loop: Header=BB6_5133 Depth=2
	s_or_b32 exec_lo, exec_lo, s44
.LBB6_5493:                             ;   in Loop: Header=BB6_5133 Depth=2
	s_delay_alu instid0(SALU_CYCLE_1)
	s_or_b32 exec_lo, exec_lo, s43
.LBB6_5494:                             ;   in Loop: Header=BB6_5133 Depth=2
	s_delay_alu instid0(SALU_CYCLE_1) | instskip(NEXT) | instid1(VALU_DEP_1)
	s_or_b32 exec_lo, exec_lo, s42
	v_dual_max_num_f32 v5, v5, v5 :: v_dual_max_num_f32 v3, v3, v3
	s_mov_b32 s11, 0
	s_delay_alu instid0(VALU_DEP_1)
	v_max_num_f32_e32 v3, v3, v5
.LBB6_5495:                             ;   in Loop: Header=BB6_5133 Depth=2
	s_and_b32 vcc_lo, exec_lo, s11
	s_cbranch_vccz .LBB6_5517
; %bb.5496:                             ;   in Loop: Header=BB6_5133 Depth=2
	v_dual_mov_b32 v5, 0 :: v_dual_mov_b32 v3, 0
	s_and_saveexec_b32 s11, s10
	s_cbranch_execz .LBB6_5506
; %bb.5497:                             ;   in Loop: Header=BB6_5133 Depth=2
	v_bfrev_b32_e32 v3, 1
	s_mov_b32 s42, exec_lo
	v_cmpx_ne_u16_e32 0xff80, v70
	s_cbranch_execz .LBB6_5505
; %bb.5498:                             ;   in Loop: Header=BB6_5133 Depth=2
	v_and_b32_e32 v3, 0x7c, v1
	v_and_b32_e32 v6, 3, v1
	s_delay_alu instid0(VALU_DEP_2) | instskip(SKIP_1) | instid1(SALU_CYCLE_1)
	v_cmp_ne_u32_e32 vcc_lo, 0x7c, v3
                                        ; implicit-def: $vgpr3
	s_and_saveexec_b32 s10, vcc_lo
	s_xor_b32 s10, exec_lo, s10
	s_cbranch_execz .LBB6_5502
; %bb.5499:                             ;   in Loop: Header=BB6_5133 Depth=2
	v_bfe_u32 v1, v1, 2, 5
	s_mov_b32 s43, exec_lo
	s_delay_alu instid0(VALU_DEP_1)
	v_cmpx_eq_u32_e32 0, v1
	s_cbranch_execz .LBB6_5501
; %bb.5500:                             ;   in Loop: Header=BB6_5133 Depth=2
	v_clz_i32_u32_e32 v1, v6
	s_delay_alu instid0(VALU_DEP_1) | instskip(SKIP_1) | instid1(VALU_DEP_2)
	v_min_u32_e32 v1, 32, v1
	v_mov_b32_e32 v71, v25
	v_subrev_nc_u32_e32 v3, 29, v1
	v_sub_nc_u32_e32 v1, 30, v1
	s_delay_alu instid0(VALU_DEP_2) | instskip(NEXT) | instid1(VALU_DEP_1)
	v_lshlrev_b64_e32 v[6:7], v3, v[70:71]
	v_and_b32_e32 v6, 3, v6
.LBB6_5501:                             ;   in Loop: Header=BB6_5133 Depth=2
	s_or_b32 exec_lo, exec_lo, s43
	v_bfe_i32 v3, v70, 0, 16
                                        ; implicit-def: $vgpr70
	s_delay_alu instid0(VALU_DEP_1) | instskip(NEXT) | instid1(VALU_DEP_1)
	v_and_b32_e32 v3, 0x80000000, v3
	v_lshl_add_u32 v1, v1, 23, v3
	s_delay_alu instid0(VALU_DEP_1) | instskip(NEXT) | instid1(VALU_DEP_1)
	v_lshl_or_b32 v1, v6, 21, v1
                                        ; implicit-def: $vgpr6
	v_add_nc_u32_e32 v3, 0x38000000, v1
.LBB6_5502:                             ;   in Loop: Header=BB6_5133 Depth=2
	s_and_not1_saveexec_b32 s43, s10
; %bb.5503:                             ;   in Loop: Header=BB6_5133 Depth=2
	v_cmp_lt_i16_e64 s10, -1, v70
	v_cmp_eq_u32_e32 vcc_lo, 0, v6
	s_delay_alu instid0(VALU_DEP_2) | instskip(NEXT) | instid1(VALU_DEP_1)
	v_cndmask_b32_e64 v1, 0xff800000, v44, s10
	v_cndmask_b32_e32 v3, 0x7f800001, v1, vcc_lo
; %bb.5504:                             ;   in Loop: Header=BB6_5133 Depth=2
	s_or_b32 exec_lo, exec_lo, s43
.LBB6_5505:                             ;   in Loop: Header=BB6_5133 Depth=2
	s_delay_alu instid0(SALU_CYCLE_1)
	s_or_b32 exec_lo, exec_lo, s42
.LBB6_5506:                             ;   in Loop: Header=BB6_5133 Depth=2
	s_delay_alu instid0(SALU_CYCLE_1) | instskip(NEXT) | instid1(SALU_CYCLE_1)
	s_or_b32 exec_lo, exec_lo, s11
	s_mov_b32 s11, exec_lo
	v_cmpx_ne_u16_e32 0, v112
	s_cbranch_execz .LBB6_5516
; %bb.5507:                             ;   in Loop: Header=BB6_5133 Depth=2
	v_bfrev_b32_e32 v5, 1
	s_mov_b32 s42, exec_lo
	v_cmpx_ne_u16_e32 0xff80, v112
	s_cbranch_execz .LBB6_5515
; %bb.5508:                             ;   in Loop: Header=BB6_5133 Depth=2
	v_and_b32_e32 v5, 0x7c, v112
	v_and_b32_e32 v1, 3, v112
	s_delay_alu instid0(VALU_DEP_2) | instskip(SKIP_1) | instid1(SALU_CYCLE_1)
	v_cmp_ne_u32_e32 vcc_lo, 0x7c, v5
                                        ; implicit-def: $vgpr5
	s_and_saveexec_b32 s10, vcc_lo
	s_xor_b32 s10, exec_lo, s10
	s_cbranch_execz .LBB6_5512
; %bb.5509:                             ;   in Loop: Header=BB6_5133 Depth=2
	v_and_b32_e32 v5, 0xff, v112
	s_mov_b32 s43, exec_lo
	s_delay_alu instid0(VALU_DEP_1) | instskip(NEXT) | instid1(VALU_DEP_1)
	v_bfe_u32 v5, v5, 2, 5
	v_cmpx_eq_u32_e32 0, v5
; %bb.5510:                             ;   in Loop: Header=BB6_5133 Depth=2
	v_clz_i32_u32_e32 v1, v1
	s_delay_alu instid0(VALU_DEP_1) | instskip(SKIP_1) | instid1(VALU_DEP_2)
	v_min_u32_e32 v1, 32, v1
	v_mov_b32_e32 v113, v25
	v_subrev_nc_u32_e32 v5, 29, v1
	s_delay_alu instid0(VALU_DEP_1) | instskip(NEXT) | instid1(VALU_DEP_1)
	v_lshlrev_b64_e32 v[6:7], v5, v[112:113]
	v_dual_sub_nc_u32 v5, 30, v1 :: v_dual_bitop2_b32 v1, 3, v6 bitop3:0x40
; %bb.5511:                             ;   in Loop: Header=BB6_5133 Depth=2
	s_or_b32 exec_lo, exec_lo, s43
	v_bfe_i32 v6, v112, 0, 16
                                        ; implicit-def: $vgpr112
	s_delay_alu instid0(VALU_DEP_1) | instskip(NEXT) | instid1(VALU_DEP_1)
	v_and_b32_e32 v6, 0x80000000, v6
	v_lshl_add_u32 v5, v5, 23, v6
	s_delay_alu instid0(VALU_DEP_1) | instskip(NEXT) | instid1(VALU_DEP_1)
	v_lshl_or_b32 v1, v1, 21, v5
	v_add_nc_u32_e32 v5, 0x38000000, v1
                                        ; implicit-def: $vgpr1
.LBB6_5512:                             ;   in Loop: Header=BB6_5133 Depth=2
	s_and_not1_saveexec_b32 s43, s10
; %bb.5513:                             ;   in Loop: Header=BB6_5133 Depth=2
	v_cmp_lt_i16_e64 s10, -1, v112
	v_cmp_eq_u32_e32 vcc_lo, 0, v1
	s_delay_alu instid0(VALU_DEP_2) | instskip(NEXT) | instid1(VALU_DEP_1)
	v_cndmask_b32_e64 v1, 0xff800000, v44, s10
	v_cndmask_b32_e32 v5, 0x7f800001, v1, vcc_lo
; %bb.5514:                             ;   in Loop: Header=BB6_5133 Depth=2
	s_or_b32 exec_lo, exec_lo, s43
.LBB6_5515:                             ;   in Loop: Header=BB6_5133 Depth=2
	s_delay_alu instid0(SALU_CYCLE_1)
	s_or_b32 exec_lo, exec_lo, s42
.LBB6_5516:                             ;   in Loop: Header=BB6_5133 Depth=2
	s_delay_alu instid0(SALU_CYCLE_1) | instskip(NEXT) | instid1(VALU_DEP_1)
	s_or_b32 exec_lo, exec_lo, s11
	v_dual_max_num_f32 v1, v5, v5 :: v_dual_max_num_f32 v3, v3, v3
	s_delay_alu instid0(VALU_DEP_1)
	v_min_num_f32_e32 v3, v3, v1
.LBB6_5517:                             ;   in Loop: Header=BB6_5133 Depth=2
	s_delay_alu instid0(VALU_DEP_1) | instskip(SKIP_2) | instid1(VALU_DEP_2)
	v_and_b32_e32 v6, 0x7f800000, v3
	v_mov_b32_e32 v7, v25
	v_and_b32_e32 v24, 0x7fffff, v3
                                        ; implicit-def: $vgpr8
	v_cmp_ne_u64_e32 vcc_lo, 0x7f800000, v[6:7]
	s_mov_b32 s10, exec_lo
	s_wait_loadcnt_dscnt 0x0
	v_mov_b32_e32 v70, v22
	s_and_b32 s42, s10, vcc_lo
	s_delay_alu instid0(SALU_CYCLE_1)
	s_xor_b32 s11, s42, s10
	s_mov_b32 exec_lo, s42
	s_cbranch_execz .LBB6_5535
; %bb.5518:                             ;   in Loop: Header=BB6_5133 Depth=2
	v_dual_mov_b32 v7, v25 :: v_dual_lshrrev_b32 v1, 24, v3
	v_and_b32_e32 v6, 0x7fffffff, v3
                                        ; implicit-def: $vgpr8
	s_mov_b32 s10, exec_lo
	s_delay_alu instid0(VALU_DEP_2) | instskip(NEXT) | instid1(VALU_DEP_2)
	v_and_b32_e32 v1, 0x80, v1
	v_cmpx_gt_u64_e32 0x47600001, v[6:7]
	s_xor_b32 s42, exec_lo, s10
	s_cbranch_execz .LBB6_5532
; %bb.5519:                             ;   in Loop: Header=BB6_5133 Depth=2
	v_mov_b32_e32 v8, 0
	s_mov_b32 s43, exec_lo
	v_cmpx_ne_u32_e32 0, v3
	s_cbranch_execz .LBB6_5531
; %bb.5520:                             ;   in Loop: Header=BB6_5133 Depth=2
	v_bfe_u32 v3, v3, 23, 8
	v_or_b32_e32 v6, 0x800000, v24
	s_delay_alu instid0(VALU_DEP_2) | instskip(SKIP_1) | instid1(VALU_DEP_3)
	v_cmp_eq_u32_e32 vcc_lo, 0, v3
	v_cmp_gt_u32_e64 s10, 0x72, v3
	v_dual_cndmask_b32 v24, v6, v24 :: v_dual_sub_nc_u32 v5, 0x71, v3
	s_delay_alu instid0(VALU_DEP_1) | instskip(NEXT) | instid1(VALU_DEP_1)
	v_cndmask_b32_e64 v5, 0, v5, s10
	v_cndmask_b32_e64 v5, v5, 0x70, vcc_lo
	s_delay_alu instid0(VALU_DEP_1) | instskip(NEXT) | instid1(VALU_DEP_1)
	v_dual_add_nc_u32 v6, 21, v5 :: v_dual_add_nc_u32 v8, 20, v5
	v_lshlrev_b64_e64 v[6:7], v6, -1
	s_delay_alu instid0(VALU_DEP_2) | instskip(NEXT) | instid1(VALU_DEP_2)
	v_lshlrev_b64_e64 v[8:9], v8, 1
	v_bfi_b32 v7, v7, 0, 0
	s_delay_alu instid0(VALU_DEP_3) | instskip(NEXT) | instid1(VALU_DEP_1)
	v_bfi_b32 v6, v6, 0, v24
	v_cmp_eq_u64_e64 s10, v[6:7], v[8:9]
	v_lshrrev_b64 v[6:7], v5, v[24:25]
	s_delay_alu instid0(VALU_DEP_1)
	v_mov_b64_e32 v[8:9], v[6:7]
	s_and_saveexec_b32 s44, s10
; %bb.5521:                             ;   in Loop: Header=BB6_5133 Depth=2
	v_bfe_u32 v24, v6, 21, 1
	s_delay_alu instid0(VALU_DEP_1) | instskip(NEXT) | instid1(VALU_DEP_1)
	v_add_nc_u64_e32 v[8:9], v[6:7], v[24:25]
	v_add_nc_u64_e32 v[8:9], -1, v[8:9]
; %bb.5522:                             ;   in Loop: Header=BB6_5133 Depth=2
	s_or_b32 exec_lo, exec_lo, s44
	v_add_nc_u32_e32 v3, 0xffffff81, v3
	v_lshrrev_b32_e32 v7, 23, v6
	s_mov_b32 s10, exec_lo
	s_delay_alu instid0(VALU_DEP_2) | instskip(NEXT) | instid1(VALU_DEP_1)
	v_cndmask_b32_e64 v3, v3, 0xffffff82, vcc_lo
	v_add3_u32 v9, v5, v3, v7
	v_and_b32_e32 v3, 0x1fffff, v8
	s_delay_alu instid0(VALU_DEP_1) | instskip(NEXT) | instid1(VALU_DEP_1)
	v_dual_add_nc_u32 v5, 14, v9 :: v_dual_add_nc_u32 v24, v3, v6
                                        ; implicit-def: $vgpr6_vgpr7
                                        ; implicit-def: $vgpr3
	v_cmpx_ne_u32_e32 0, v5
	s_xor_b32 s10, exec_lo, s10
; %bb.5523:                             ;   in Loop: Header=BB6_5133 Depth=2
	s_delay_alu instid0(VALU_DEP_2) | instskip(SKIP_1) | instid1(VALU_DEP_1)
	v_cmp_lt_u64_e32 vcc_lo, 0xffffff, v[24:25]
	v_add_nc_u32_e32 v3, 15, v9
	v_cndmask_b32_e32 v3, v5, v3, vcc_lo
	v_cndmask_b32_e64 v5, 0, 1, vcc_lo
	s_delay_alu instid0(VALU_DEP_1)
	v_lshrrev_b64 v[6:7], v5, v[24:25]
; %bb.5524:                             ;   in Loop: Header=BB6_5133 Depth=2
	s_and_not1_saveexec_b32 s10, s10
; %bb.5525:                             ;   in Loop: Header=BB6_5133 Depth=2
	v_mov_b64_e32 v[6:7], v[24:25]
	v_bfe_u32 v3, v24, 23, 1
; %bb.5526:                             ;   in Loop: Header=BB6_5133 Depth=2
	s_or_b32 exec_lo, exec_lo, s10
	s_delay_alu instid0(VALU_DEP_2) | instskip(NEXT) | instid1(VALU_DEP_2)
	v_lshrrev_b64 v[6:7], 21, v[6:7]
	v_cmp_gt_i32_e32 vcc_lo, 32, v3
	v_cmp_ne_u32_e64 s10, 0, v3
                                        ; implicit-def: $vgpr8
	s_delay_alu instid0(VALU_DEP_3) | instskip(NEXT) | instid1(VALU_DEP_1)
	v_dual_cndmask_b32 v7, 0, v7 :: v_dual_cndmask_b32 v6, 3, v6
	v_cmp_ne_u64_e32 vcc_lo, 0, v[6:7]
	s_or_b32 s10, s10, vcc_lo
	s_delay_alu instid0(SALU_CYCLE_1) | instskip(NEXT) | instid1(SALU_CYCLE_1)
	s_and_saveexec_b32 s44, s10
	s_xor_b32 s10, exec_lo, s44
; %bb.5527:                             ;   in Loop: Header=BB6_5133 Depth=2
	v_min_i32_e32 v3, 31, v3
	s_delay_alu instid0(VALU_DEP_1) | instskip(NEXT) | instid1(VALU_DEP_1)
	v_lshl_or_b32 v1, v3, 2, v1
	v_and_or_b32 v8, v6, 3, v1
                                        ; implicit-def: $vgpr1
; %bb.5528:                             ;   in Loop: Header=BB6_5133 Depth=2
	s_and_not1_saveexec_b32 s10, s10
; %bb.5529:                             ;   in Loop: Header=BB6_5133 Depth=2
	v_mov_b32_e32 v8, v1
; %bb.5530:                             ;   in Loop: Header=BB6_5133 Depth=2
	s_or_b32 exec_lo, exec_lo, s10
.LBB6_5531:                             ;   in Loop: Header=BB6_5133 Depth=2
	s_delay_alu instid0(SALU_CYCLE_1)
	s_or_b32 exec_lo, exec_lo, s43
                                        ; implicit-def: $vgpr1
.LBB6_5532:                             ;   in Loop: Header=BB6_5133 Depth=2
	s_and_not1_saveexec_b32 s10, s42
; %bb.5533:                             ;   in Loop: Header=BB6_5133 Depth=2
	v_or_b32_e32 v8, 0x7b, v1
; %bb.5534:                             ;   in Loop: Header=BB6_5133 Depth=2
	s_or_b32 exec_lo, exec_lo, s10
                                        ; implicit-def: $vgpr3
.LBB6_5535:                             ;   in Loop: Header=BB6_5133 Depth=2
	s_and_not1_saveexec_b32 s10, s11
	s_cbranch_execz .LBB6_5541
; %bb.5536:                             ;   in Loop: Header=BB6_5133 Depth=2
	s_mov_b32 s11, exec_lo
                                        ; implicit-def: $vgpr8
	v_cmpx_ne_u64_e32 0, v[24:25]
	s_xor_b32 s11, exec_lo, s11
; %bb.5537:                             ;   in Loop: Header=BB6_5133 Depth=2
	v_lshrrev_b32_e32 v1, 24, v3
                                        ; implicit-def: $vgpr3
	s_delay_alu instid0(VALU_DEP_1)
	v_or_b32_e32 v8, 0x7f, v1
; %bb.5538:                             ;   in Loop: Header=BB6_5133 Depth=2
	s_and_not1_saveexec_b32 s11, s11
; %bb.5539:                             ;   in Loop: Header=BB6_5133 Depth=2
	v_cmp_lt_i32_e32 vcc_lo, -1, v3
	v_cndmask_b32_e64 v8, -4, 0x7c, vcc_lo
; %bb.5540:                             ;   in Loop: Header=BB6_5133 Depth=2
	s_or_b32 exec_lo, exec_lo, s11
.LBB6_5541:                             ;   in Loop: Header=BB6_5133 Depth=2
	s_delay_alu instid0(SALU_CYCLE_1)
	s_or_b32 exec_lo, exec_lo, s10
	v_and_b32_e32 v1, 0xff, v4
	v_cmp_ne_u16_e64 s10, 0, v4
	s_mov_b32 s11, -1
	s_and_not1_b32 vcc_lo, exec_lo, s15
                                        ; implicit-def: $vgpr3
	s_cbranch_vccnz .LBB6_5563
; %bb.5542:                             ;   in Loop: Header=BB6_5133 Depth=2
	v_dual_mov_b32 v6, 0 :: v_dual_mov_b32 v3, 0
	s_and_saveexec_b32 s42, s10
	s_cbranch_execz .LBB6_5552
; %bb.5543:                             ;   in Loop: Header=BB6_5133 Depth=2
	v_bfrev_b32_e32 v3, 1
	s_mov_b32 s43, exec_lo
	v_cmpx_ne_u16_e32 0xff80, v4
	s_cbranch_execz .LBB6_5551
; %bb.5544:                             ;   in Loop: Header=BB6_5133 Depth=2
	v_and_b32_e32 v3, 0x7c, v1
	v_and_b32_e32 v5, 3, v1
	s_delay_alu instid0(VALU_DEP_2) | instskip(SKIP_1) | instid1(SALU_CYCLE_1)
	v_cmp_ne_u32_e32 vcc_lo, 0x7c, v3
                                        ; implicit-def: $vgpr3
	s_and_saveexec_b32 s11, vcc_lo
	s_xor_b32 s11, exec_lo, s11
	s_cbranch_execz .LBB6_5548
; %bb.5545:                             ;   in Loop: Header=BB6_5133 Depth=2
	v_bfe_u32 v3, v1, 2, 5
	s_mov_b32 s44, exec_lo
	s_delay_alu instid0(VALU_DEP_1)
	v_cmpx_eq_u32_e32 0, v3
	s_cbranch_execz .LBB6_5547
; %bb.5546:                             ;   in Loop: Header=BB6_5133 Depth=2
	v_clz_i32_u32_e32 v3, v5
	s_delay_alu instid0(VALU_DEP_1) | instskip(SKIP_1) | instid1(VALU_DEP_2)
	v_min_u32_e32 v3, 32, v3
	v_mov_b32_e32 v5, v25
	v_subrev_nc_u32_e32 v7, 29, v3
	v_sub_nc_u32_e32 v3, 30, v3
	s_delay_alu instid0(VALU_DEP_2) | instskip(NEXT) | instid1(VALU_DEP_1)
	v_lshlrev_b64_e32 v[18:19], v7, v[4:5]
	v_and_b32_e32 v5, 3, v18
.LBB6_5547:                             ;   in Loop: Header=BB6_5133 Depth=2
	s_or_b32 exec_lo, exec_lo, s44
	v_bfe_i32 v7, v4, 0, 16
	s_delay_alu instid0(VALU_DEP_1) | instskip(NEXT) | instid1(VALU_DEP_1)
	v_and_b32_e32 v7, 0x80000000, v7
	v_lshl_add_u32 v3, v3, 23, v7
	s_delay_alu instid0(VALU_DEP_1) | instskip(NEXT) | instid1(VALU_DEP_1)
	v_lshl_or_b32 v3, v5, 21, v3
                                        ; implicit-def: $vgpr5
	v_add_nc_u32_e32 v3, 0x38000000, v3
.LBB6_5548:                             ;   in Loop: Header=BB6_5133 Depth=2
	s_and_not1_saveexec_b32 s44, s11
; %bb.5549:                             ;   in Loop: Header=BB6_5133 Depth=2
	v_cmp_lt_i16_e64 s11, -1, v4
	v_cmp_eq_u32_e32 vcc_lo, 0, v5
	s_delay_alu instid0(VALU_DEP_2) | instskip(NEXT) | instid1(VALU_DEP_1)
	v_cndmask_b32_e64 v3, 0xff800000, v44, s11
	v_cndmask_b32_e32 v3, 0x7f800001, v3, vcc_lo
; %bb.5550:                             ;   in Loop: Header=BB6_5133 Depth=2
	s_or_b32 exec_lo, exec_lo, s44
.LBB6_5551:                             ;   in Loop: Header=BB6_5133 Depth=2
	s_delay_alu instid0(SALU_CYCLE_1)
	s_or_b32 exec_lo, exec_lo, s43
.LBB6_5552:                             ;   in Loop: Header=BB6_5133 Depth=2
	s_delay_alu instid0(SALU_CYCLE_1) | instskip(NEXT) | instid1(SALU_CYCLE_1)
	s_or_b32 exec_lo, exec_lo, s42
	s_mov_b32 s42, exec_lo
	v_cmpx_ne_u16_e32 0, v82
	s_cbranch_execz .LBB6_5562
; %bb.5553:                             ;   in Loop: Header=BB6_5133 Depth=2
	v_bfrev_b32_e32 v6, 1
	s_mov_b32 s43, exec_lo
	v_cmpx_ne_u16_e32 0xff80, v82
	s_cbranch_execz .LBB6_5561
; %bb.5554:                             ;   in Loop: Header=BB6_5133 Depth=2
	v_and_b32_e32 v6, 0x7c, v82
	v_and_b32_e32 v5, 3, v82
	s_delay_alu instid0(VALU_DEP_2) | instskip(SKIP_1) | instid1(SALU_CYCLE_1)
	v_cmp_ne_u32_e32 vcc_lo, 0x7c, v6
                                        ; implicit-def: $vgpr6
	s_and_saveexec_b32 s11, vcc_lo
	s_xor_b32 s11, exec_lo, s11
	s_cbranch_execz .LBB6_5558
; %bb.5555:                             ;   in Loop: Header=BB6_5133 Depth=2
	v_and_b32_e32 v6, 0xff, v82
	s_mov_b32 s44, exec_lo
	s_delay_alu instid0(VALU_DEP_1) | instskip(NEXT) | instid1(VALU_DEP_1)
	v_bfe_u32 v6, v6, 2, 5
	v_cmpx_eq_u32_e32 0, v6
; %bb.5556:                             ;   in Loop: Header=BB6_5133 Depth=2
	v_clz_i32_u32_e32 v5, v5
	s_delay_alu instid0(VALU_DEP_1) | instskip(SKIP_1) | instid1(VALU_DEP_2)
	v_min_u32_e32 v5, 32, v5
	v_mov_b32_e32 v83, v25
	v_subrev_nc_u32_e32 v6, 29, v5
	s_delay_alu instid0(VALU_DEP_1) | instskip(NEXT) | instid1(VALU_DEP_1)
	v_lshlrev_b64_e32 v[18:19], v6, v[82:83]
	v_dual_sub_nc_u32 v6, 30, v5 :: v_dual_bitop2_b32 v5, 3, v18 bitop3:0x40
; %bb.5557:                             ;   in Loop: Header=BB6_5133 Depth=2
	s_or_b32 exec_lo, exec_lo, s44
	v_bfe_i32 v7, v82, 0, 16
	s_delay_alu instid0(VALU_DEP_1) | instskip(NEXT) | instid1(VALU_DEP_1)
	v_and_b32_e32 v7, 0x80000000, v7
	v_lshl_add_u32 v6, v6, 23, v7
	s_delay_alu instid0(VALU_DEP_1) | instskip(NEXT) | instid1(VALU_DEP_1)
	v_lshl_or_b32 v5, v5, 21, v6
	v_add_nc_u32_e32 v6, 0x38000000, v5
                                        ; implicit-def: $vgpr5
.LBB6_5558:                             ;   in Loop: Header=BB6_5133 Depth=2
	s_and_not1_saveexec_b32 s44, s11
; %bb.5559:                             ;   in Loop: Header=BB6_5133 Depth=2
	v_cmp_lt_i16_e64 s11, -1, v82
	v_cmp_eq_u32_e32 vcc_lo, 0, v5
	s_delay_alu instid0(VALU_DEP_2) | instskip(NEXT) | instid1(VALU_DEP_1)
	v_cndmask_b32_e64 v5, 0xff800000, v44, s11
	v_cndmask_b32_e32 v6, 0x7f800001, v5, vcc_lo
; %bb.5560:                             ;   in Loop: Header=BB6_5133 Depth=2
	s_or_b32 exec_lo, exec_lo, s44
.LBB6_5561:                             ;   in Loop: Header=BB6_5133 Depth=2
	s_delay_alu instid0(SALU_CYCLE_1)
	s_or_b32 exec_lo, exec_lo, s43
.LBB6_5562:                             ;   in Loop: Header=BB6_5133 Depth=2
	s_delay_alu instid0(SALU_CYCLE_1) | instskip(NEXT) | instid1(VALU_DEP_1)
	s_or_b32 exec_lo, exec_lo, s42
	v_dual_max_num_f32 v5, v6, v6 :: v_dual_max_num_f32 v3, v3, v3
	s_mov_b32 s11, 0
	s_delay_alu instid0(VALU_DEP_1)
	v_max_num_f32_e32 v3, v3, v5
.LBB6_5563:                             ;   in Loop: Header=BB6_5133 Depth=2
	s_and_b32 vcc_lo, exec_lo, s11
	s_cbranch_vccz .LBB6_5585
; %bb.5564:                             ;   in Loop: Header=BB6_5133 Depth=2
	v_dual_mov_b32 v3, 0 :: v_dual_mov_b32 v5, 0
	s_and_saveexec_b32 s11, s10
	s_cbranch_execz .LBB6_5574
; %bb.5565:                             ;   in Loop: Header=BB6_5133 Depth=2
	v_bfrev_b32_e32 v5, 1
	s_mov_b32 s42, exec_lo
	v_cmpx_ne_u16_e32 0xff80, v4
	s_cbranch_execz .LBB6_5573
; %bb.5566:                             ;   in Loop: Header=BB6_5133 Depth=2
	v_and_b32_e32 v5, 0x7c, v1
	v_and_b32_e32 v6, 3, v1
	s_delay_alu instid0(VALU_DEP_2) | instskip(SKIP_1) | instid1(SALU_CYCLE_1)
	v_cmp_ne_u32_e32 vcc_lo, 0x7c, v5
                                        ; implicit-def: $vgpr5
	s_and_saveexec_b32 s10, vcc_lo
	s_xor_b32 s10, exec_lo, s10
	s_cbranch_execz .LBB6_5570
; %bb.5567:                             ;   in Loop: Header=BB6_5133 Depth=2
	v_bfe_u32 v1, v1, 2, 5
	s_mov_b32 s43, exec_lo
	s_delay_alu instid0(VALU_DEP_1)
	v_cmpx_eq_u32_e32 0, v1
	s_cbranch_execz .LBB6_5569
; %bb.5568:                             ;   in Loop: Header=BB6_5133 Depth=2
	v_clz_i32_u32_e32 v1, v6
	s_delay_alu instid0(VALU_DEP_1) | instskip(SKIP_1) | instid1(VALU_DEP_2)
	v_min_u32_e32 v1, 32, v1
	v_mov_b32_e32 v5, v25
	v_subrev_nc_u32_e32 v6, 29, v1
	v_sub_nc_u32_e32 v1, 30, v1
	s_delay_alu instid0(VALU_DEP_2) | instskip(NEXT) | instid1(VALU_DEP_1)
	v_lshlrev_b64_e32 v[6:7], v6, v[4:5]
	v_and_b32_e32 v6, 3, v6
.LBB6_5569:                             ;   in Loop: Header=BB6_5133 Depth=2
	s_or_b32 exec_lo, exec_lo, s43
	v_bfe_i32 v4, v4, 0, 16
	s_delay_alu instid0(VALU_DEP_1) | instskip(NEXT) | instid1(VALU_DEP_1)
	v_and_b32_e32 v4, 0x80000000, v4
	v_lshl_add_u32 v1, v1, 23, v4
                                        ; implicit-def: $vgpr4
	s_delay_alu instid0(VALU_DEP_1) | instskip(NEXT) | instid1(VALU_DEP_1)
	v_lshl_or_b32 v1, v6, 21, v1
                                        ; implicit-def: $vgpr6
	v_add_nc_u32_e32 v5, 0x38000000, v1
.LBB6_5570:                             ;   in Loop: Header=BB6_5133 Depth=2
	s_and_not1_saveexec_b32 s43, s10
; %bb.5571:                             ;   in Loop: Header=BB6_5133 Depth=2
	v_cmp_lt_i16_e64 s10, -1, v4
	v_cmp_eq_u32_e32 vcc_lo, 0, v6
	s_delay_alu instid0(VALU_DEP_2) | instskip(NEXT) | instid1(VALU_DEP_1)
	v_cndmask_b32_e64 v1, 0xff800000, v44, s10
	v_cndmask_b32_e32 v5, 0x7f800001, v1, vcc_lo
; %bb.5572:                             ;   in Loop: Header=BB6_5133 Depth=2
	s_or_b32 exec_lo, exec_lo, s43
.LBB6_5573:                             ;   in Loop: Header=BB6_5133 Depth=2
	s_delay_alu instid0(SALU_CYCLE_1)
	s_or_b32 exec_lo, exec_lo, s42
.LBB6_5574:                             ;   in Loop: Header=BB6_5133 Depth=2
	s_delay_alu instid0(SALU_CYCLE_1) | instskip(NEXT) | instid1(SALU_CYCLE_1)
	s_or_b32 exec_lo, exec_lo, s11
	s_mov_b32 s10, exec_lo
	v_cmpx_ne_u16_e32 0, v82
	s_cbranch_execz .LBB6_5584
; %bb.5575:                             ;   in Loop: Header=BB6_5133 Depth=2
	v_bfrev_b32_e32 v3, 1
	s_mov_b32 s11, exec_lo
	v_cmpx_ne_u16_e32 0xff80, v82
	s_cbranch_execz .LBB6_5583
; %bb.5576:                             ;   in Loop: Header=BB6_5133 Depth=2
	v_and_b32_e32 v3, 0x7c, v82
	v_and_b32_e32 v1, 3, v82
	s_delay_alu instid0(VALU_DEP_2) | instskip(SKIP_1) | instid1(SALU_CYCLE_1)
	v_cmp_ne_u32_e32 vcc_lo, 0x7c, v3
                                        ; implicit-def: $vgpr3
	s_and_saveexec_b32 s42, vcc_lo
	s_xor_b32 s42, exec_lo, s42
	s_cbranch_execz .LBB6_5580
; %bb.5577:                             ;   in Loop: Header=BB6_5133 Depth=2
	v_and_b32_e32 v3, 0xff, v82
	s_mov_b32 s43, exec_lo
	s_delay_alu instid0(VALU_DEP_1) | instskip(NEXT) | instid1(VALU_DEP_1)
	v_bfe_u32 v3, v3, 2, 5
	v_cmpx_eq_u32_e32 0, v3
; %bb.5578:                             ;   in Loop: Header=BB6_5133 Depth=2
	v_clz_i32_u32_e32 v1, v1
	s_delay_alu instid0(VALU_DEP_1) | instskip(SKIP_1) | instid1(VALU_DEP_2)
	v_min_u32_e32 v1, 32, v1
	v_mov_b32_e32 v83, v25
	v_subrev_nc_u32_e32 v3, 29, v1
	s_delay_alu instid0(VALU_DEP_1) | instskip(NEXT) | instid1(VALU_DEP_1)
	v_lshlrev_b64_e32 v[6:7], v3, v[82:83]
	v_dual_sub_nc_u32 v3, 30, v1 :: v_dual_bitop2_b32 v1, 3, v6 bitop3:0x40
; %bb.5579:                             ;   in Loop: Header=BB6_5133 Depth=2
	s_or_b32 exec_lo, exec_lo, s43
	v_bfe_i32 v4, v82, 0, 16
                                        ; implicit-def: $vgpr82
	s_delay_alu instid0(VALU_DEP_1) | instskip(NEXT) | instid1(VALU_DEP_1)
	v_and_b32_e32 v4, 0x80000000, v4
	v_lshl_add_u32 v3, v3, 23, v4
	s_delay_alu instid0(VALU_DEP_1) | instskip(NEXT) | instid1(VALU_DEP_1)
	v_lshl_or_b32 v1, v1, 21, v3
	v_add_nc_u32_e32 v3, 0x38000000, v1
                                        ; implicit-def: $vgpr1
.LBB6_5580:                             ;   in Loop: Header=BB6_5133 Depth=2
	s_and_not1_saveexec_b32 s42, s42
; %bb.5581:                             ;   in Loop: Header=BB6_5133 Depth=2
	v_cmp_lt_i16_e32 vcc_lo, -1, v82
	v_cndmask_b32_e32 v3, 0xff800000, v44, vcc_lo
	v_cmp_eq_u32_e32 vcc_lo, 0, v1
	s_delay_alu instid0(VALU_DEP_2)
	v_cndmask_b32_e32 v3, 0x7f800001, v3, vcc_lo
; %bb.5582:                             ;   in Loop: Header=BB6_5133 Depth=2
	s_or_b32 exec_lo, exec_lo, s42
.LBB6_5583:                             ;   in Loop: Header=BB6_5133 Depth=2
	s_delay_alu instid0(SALU_CYCLE_1)
	s_or_b32 exec_lo, exec_lo, s11
.LBB6_5584:                             ;   in Loop: Header=BB6_5133 Depth=2
	s_delay_alu instid0(SALU_CYCLE_1) | instskip(NEXT) | instid1(VALU_DEP_1)
	s_or_b32 exec_lo, exec_lo, s10
	v_dual_max_num_f32 v1, v3, v3 :: v_dual_max_num_f32 v3, v5, v5
	s_delay_alu instid0(VALU_DEP_1)
	v_min_num_f32_e32 v3, v3, v1
.LBB6_5585:                             ;   in Loop: Header=BB6_5133 Depth=2
	s_delay_alu instid0(VALU_DEP_1) | instskip(SKIP_3) | instid1(VALU_DEP_2)
	v_and_b32_e32 v4, 0x7f800000, v3
	v_mov_b32_e32 v5, v25
	v_and_b32_e32 v24, 0x7fffff, v3
                                        ; implicit-def: $vgpr9
	s_mov_b32 s10, exec_lo
	v_cmpx_ne_u64_e32 0x7f800000, v[4:5]
	s_xor_b32 s11, exec_lo, s10
	s_cbranch_execz .LBB6_5603
; %bb.5586:                             ;   in Loop: Header=BB6_5133 Depth=2
	v_dual_mov_b32 v5, v25 :: v_dual_lshrrev_b32 v1, 24, v3
	v_and_b32_e32 v4, 0x7fffffff, v3
                                        ; implicit-def: $vgpr9
	s_mov_b32 s10, exec_lo
	s_delay_alu instid0(VALU_DEP_2) | instskip(NEXT) | instid1(VALU_DEP_2)
	v_and_b32_e32 v1, 0x80, v1
	v_cmpx_gt_u64_e32 0x47600001, v[4:5]
	s_xor_b32 s42, exec_lo, s10
	s_cbranch_execz .LBB6_5600
; %bb.5587:                             ;   in Loop: Header=BB6_5133 Depth=2
	v_mov_b32_e32 v9, 0
	s_mov_b32 s43, exec_lo
	v_cmpx_ne_u32_e32 0, v3
	s_cbranch_execz .LBB6_5599
; %bb.5588:                             ;   in Loop: Header=BB6_5133 Depth=2
	v_bfe_u32 v3, v3, 23, 8
	v_or_b32_e32 v5, 0x800000, v24
	s_delay_alu instid0(VALU_DEP_2) | instskip(SKIP_2) | instid1(VALU_DEP_2)
	v_cmp_gt_u32_e64 s10, 0x72, v3
	v_sub_nc_u32_e32 v4, 0x71, v3
	v_cmp_eq_u32_e32 vcc_lo, 0, v3
	v_cndmask_b32_e64 v4, 0, v4, s10
	s_delay_alu instid0(VALU_DEP_1) | instskip(NEXT) | instid1(VALU_DEP_1)
	v_cndmask_b32_e64 v9, v4, 0x70, vcc_lo
	v_dual_cndmask_b32 v24, v5, v24, vcc_lo :: v_dual_add_nc_u32 v4, 21, v9
	v_add_nc_u32_e32 v6, 20, v9
	s_delay_alu instid0(VALU_DEP_2) | instskip(NEXT) | instid1(VALU_DEP_2)
	v_lshlrev_b64_e64 v[4:5], v4, -1
	v_lshlrev_b64_e64 v[6:7], v6, 1
	s_delay_alu instid0(VALU_DEP_2) | instskip(NEXT) | instid1(VALU_DEP_3)
	v_bfi_b32 v5, v5, 0, 0
	v_bfi_b32 v4, v4, 0, v24
	s_delay_alu instid0(VALU_DEP_1) | instskip(SKIP_1) | instid1(VALU_DEP_1)
	v_cmp_eq_u64_e64 s10, v[4:5], v[6:7]
	v_lshrrev_b64 v[4:5], v9, v[24:25]
	v_mov_b64_e32 v[6:7], v[4:5]
	s_and_saveexec_b32 s44, s10
; %bb.5589:                             ;   in Loop: Header=BB6_5133 Depth=2
	v_bfe_u32 v24, v4, 21, 1
	s_delay_alu instid0(VALU_DEP_1) | instskip(NEXT) | instid1(VALU_DEP_1)
	v_add_nc_u64_e32 v[6:7], v[4:5], v[24:25]
	v_add_nc_u64_e32 v[6:7], -1, v[6:7]
; %bb.5590:                             ;   in Loop: Header=BB6_5133 Depth=2
	s_or_b32 exec_lo, exec_lo, s44
	v_add_nc_u32_e32 v3, 0xffffff81, v3
	v_lshrrev_b32_e32 v5, 23, v4
	s_mov_b32 s10, exec_lo
	s_delay_alu instid0(VALU_DEP_2) | instskip(NEXT) | instid1(VALU_DEP_1)
	v_cndmask_b32_e64 v3, v3, 0xffffff82, vcc_lo
	v_add3_u32 v7, v9, v3, v5
	v_and_b32_e32 v3, 0x1fffff, v6
	s_delay_alu instid0(VALU_DEP_1) | instskip(NEXT) | instid1(VALU_DEP_1)
	v_dual_add_nc_u32 v6, 14, v7 :: v_dual_add_nc_u32 v24, v3, v4
                                        ; implicit-def: $vgpr4_vgpr5
                                        ; implicit-def: $vgpr3
	v_cmpx_ne_u32_e32 0, v6
	s_xor_b32 s10, exec_lo, s10
; %bb.5591:                             ;   in Loop: Header=BB6_5133 Depth=2
	s_delay_alu instid0(VALU_DEP_2) | instskip(SKIP_2) | instid1(VALU_DEP_2)
	v_cmp_lt_u64_e32 vcc_lo, 0xffffff, v[24:25]
	v_add_nc_u32_e32 v3, 15, v7
	v_cndmask_b32_e64 v4, 0, 1, vcc_lo
	v_cndmask_b32_e32 v3, v6, v3, vcc_lo
	s_delay_alu instid0(VALU_DEP_2)
	v_lshrrev_b64 v[4:5], v4, v[24:25]
; %bb.5592:                             ;   in Loop: Header=BB6_5133 Depth=2
	s_and_not1_saveexec_b32 s10, s10
; %bb.5593:                             ;   in Loop: Header=BB6_5133 Depth=2
	v_mov_b64_e32 v[4:5], v[24:25]
	v_bfe_u32 v3, v24, 23, 1
; %bb.5594:                             ;   in Loop: Header=BB6_5133 Depth=2
	s_or_b32 exec_lo, exec_lo, s10
	s_delay_alu instid0(VALU_DEP_2) | instskip(NEXT) | instid1(VALU_DEP_2)
	v_lshrrev_b64 v[4:5], 21, v[4:5]
	v_cmp_gt_i32_e32 vcc_lo, 32, v3
	v_cmp_ne_u32_e64 s10, 0, v3
                                        ; implicit-def: $vgpr9
	s_delay_alu instid0(VALU_DEP_3) | instskip(NEXT) | instid1(VALU_DEP_1)
	v_dual_cndmask_b32 v5, 0, v5 :: v_dual_cndmask_b32 v4, 3, v4
	v_cmp_ne_u64_e32 vcc_lo, 0, v[4:5]
	s_or_b32 s10, s10, vcc_lo
	s_delay_alu instid0(SALU_CYCLE_1) | instskip(NEXT) | instid1(SALU_CYCLE_1)
	s_and_saveexec_b32 s44, s10
	s_xor_b32 s10, exec_lo, s44
; %bb.5595:                             ;   in Loop: Header=BB6_5133 Depth=2
	v_min_i32_e32 v3, 31, v3
	s_delay_alu instid0(VALU_DEP_1) | instskip(NEXT) | instid1(VALU_DEP_1)
	v_lshl_or_b32 v1, v3, 2, v1
	v_and_or_b32 v9, v4, 3, v1
                                        ; implicit-def: $vgpr1
; %bb.5596:                             ;   in Loop: Header=BB6_5133 Depth=2
	s_and_not1_saveexec_b32 s10, s10
; %bb.5597:                             ;   in Loop: Header=BB6_5133 Depth=2
	v_mov_b32_e32 v9, v1
; %bb.5598:                             ;   in Loop: Header=BB6_5133 Depth=2
	s_or_b32 exec_lo, exec_lo, s10
.LBB6_5599:                             ;   in Loop: Header=BB6_5133 Depth=2
	s_delay_alu instid0(SALU_CYCLE_1)
	s_or_b32 exec_lo, exec_lo, s43
                                        ; implicit-def: $vgpr1
.LBB6_5600:                             ;   in Loop: Header=BB6_5133 Depth=2
	s_and_not1_saveexec_b32 s10, s42
; %bb.5601:                             ;   in Loop: Header=BB6_5133 Depth=2
	v_or_b32_e32 v9, 0x7b, v1
; %bb.5602:                             ;   in Loop: Header=BB6_5133 Depth=2
	s_or_b32 exec_lo, exec_lo, s10
                                        ; implicit-def: $vgpr3
.LBB6_5603:                             ;   in Loop: Header=BB6_5133 Depth=2
	s_and_not1_saveexec_b32 s10, s11
	s_cbranch_execz .LBB6_5609
; %bb.5604:                             ;   in Loop: Header=BB6_5133 Depth=2
	s_mov_b32 s11, exec_lo
                                        ; implicit-def: $vgpr9
	v_cmpx_ne_u64_e32 0, v[24:25]
	s_xor_b32 s11, exec_lo, s11
; %bb.5605:                             ;   in Loop: Header=BB6_5133 Depth=2
	v_lshrrev_b32_e32 v1, 24, v3
                                        ; implicit-def: $vgpr3
	s_delay_alu instid0(VALU_DEP_1)
	v_or_b32_e32 v9, 0x7f, v1
; %bb.5606:                             ;   in Loop: Header=BB6_5133 Depth=2
	s_and_not1_saveexec_b32 s11, s11
; %bb.5607:                             ;   in Loop: Header=BB6_5133 Depth=2
	v_cmp_lt_i32_e32 vcc_lo, -1, v3
	v_cndmask_b32_e64 v9, -4, 0x7c, vcc_lo
; %bb.5608:                             ;   in Loop: Header=BB6_5133 Depth=2
	s_or_b32 exec_lo, exec_lo, s11
.LBB6_5609:                             ;   in Loop: Header=BB6_5133 Depth=2
	s_delay_alu instid0(SALU_CYCLE_1)
	s_or_b32 exec_lo, exec_lo, s10
	v_and_b32_e32 v1, 0xff, v118
	v_cmp_ne_u16_e64 s10, 0, v118
	s_and_not1_b32 vcc_lo, exec_lo, s15
	s_mov_b32 s11, -1
                                        ; implicit-def: $vgpr3
	s_cbranch_vccnz .LBB6_5631
; %bb.5610:                             ;   in Loop: Header=BB6_5133 Depth=2
	v_dual_mov_b32 v4, 0 :: v_dual_mov_b32 v3, 0
	s_and_saveexec_b32 s42, s10
	s_cbranch_execz .LBB6_5620
; %bb.5611:                             ;   in Loop: Header=BB6_5133 Depth=2
	v_bfrev_b32_e32 v3, 1
	s_mov_b32 s43, exec_lo
	v_cmpx_ne_u16_e32 0xff80, v118
	s_cbranch_execz .LBB6_5619
; %bb.5612:                             ;   in Loop: Header=BB6_5133 Depth=2
	v_and_b32_e32 v3, 0x7c, v1
	v_and_b32_e32 v5, 3, v1
	s_delay_alu instid0(VALU_DEP_2) | instskip(SKIP_1) | instid1(SALU_CYCLE_1)
	v_cmp_ne_u32_e32 vcc_lo, 0x7c, v3
                                        ; implicit-def: $vgpr3
	s_and_saveexec_b32 s11, vcc_lo
	s_xor_b32 s11, exec_lo, s11
	s_cbranch_execz .LBB6_5616
; %bb.5613:                             ;   in Loop: Header=BB6_5133 Depth=2
	v_bfe_u32 v3, v1, 2, 5
	s_mov_b32 s44, exec_lo
	s_delay_alu instid0(VALU_DEP_1)
	v_cmpx_eq_u32_e32 0, v3
	s_cbranch_execz .LBB6_5615
; %bb.5614:                             ;   in Loop: Header=BB6_5133 Depth=2
	v_clz_i32_u32_e32 v3, v5
	s_delay_alu instid0(VALU_DEP_1) | instskip(SKIP_1) | instid1(VALU_DEP_2)
	v_min_u32_e32 v3, 32, v3
	v_mov_b32_e32 v119, v25
	v_subrev_nc_u32_e32 v5, 29, v3
	v_sub_nc_u32_e32 v3, 30, v3
	s_delay_alu instid0(VALU_DEP_2) | instskip(NEXT) | instid1(VALU_DEP_1)
	v_lshlrev_b64_e32 v[6:7], v5, v[118:119]
	v_and_b32_e32 v5, 3, v6
.LBB6_5615:                             ;   in Loop: Header=BB6_5133 Depth=2
	s_or_b32 exec_lo, exec_lo, s44
	v_bfe_i32 v6, v118, 0, 16
	s_delay_alu instid0(VALU_DEP_1) | instskip(NEXT) | instid1(VALU_DEP_1)
	v_and_b32_e32 v6, 0x80000000, v6
	v_lshl_add_u32 v3, v3, 23, v6
	s_delay_alu instid0(VALU_DEP_1) | instskip(NEXT) | instid1(VALU_DEP_1)
	v_lshl_or_b32 v3, v5, 21, v3
                                        ; implicit-def: $vgpr5
	v_add_nc_u32_e32 v3, 0x38000000, v3
.LBB6_5616:                             ;   in Loop: Header=BB6_5133 Depth=2
	s_and_not1_saveexec_b32 s44, s11
; %bb.5617:                             ;   in Loop: Header=BB6_5133 Depth=2
	v_cmp_lt_i16_e64 s11, -1, v118
	v_cmp_eq_u32_e32 vcc_lo, 0, v5
	s_delay_alu instid0(VALU_DEP_2) | instskip(NEXT) | instid1(VALU_DEP_1)
	v_cndmask_b32_e64 v3, 0xff800000, v44, s11
	v_cndmask_b32_e32 v3, 0x7f800001, v3, vcc_lo
; %bb.5618:                             ;   in Loop: Header=BB6_5133 Depth=2
	s_or_b32 exec_lo, exec_lo, s44
.LBB6_5619:                             ;   in Loop: Header=BB6_5133 Depth=2
	s_delay_alu instid0(SALU_CYCLE_1)
	s_or_b32 exec_lo, exec_lo, s43
.LBB6_5620:                             ;   in Loop: Header=BB6_5133 Depth=2
	s_delay_alu instid0(SALU_CYCLE_1) | instskip(NEXT) | instid1(SALU_CYCLE_1)
	s_or_b32 exec_lo, exec_lo, s42
	s_mov_b32 s42, exec_lo
	v_cmpx_ne_u16_e32 0, v96
	s_cbranch_execz .LBB6_5630
; %bb.5621:                             ;   in Loop: Header=BB6_5133 Depth=2
	v_bfrev_b32_e32 v4, 1
	s_mov_b32 s43, exec_lo
	v_cmpx_ne_u16_e32 0xff80, v96
	s_cbranch_execz .LBB6_5629
; %bb.5622:                             ;   in Loop: Header=BB6_5133 Depth=2
	v_and_b32_e32 v4, 0x7c, v96
	v_and_b32_e32 v5, 3, v96
	s_delay_alu instid0(VALU_DEP_2) | instskip(SKIP_1) | instid1(SALU_CYCLE_1)
	v_cmp_ne_u32_e32 vcc_lo, 0x7c, v4
                                        ; implicit-def: $vgpr4
	s_and_saveexec_b32 s11, vcc_lo
	s_xor_b32 s11, exec_lo, s11
	s_cbranch_execz .LBB6_5626
; %bb.5623:                             ;   in Loop: Header=BB6_5133 Depth=2
	v_and_b32_e32 v4, 0xff, v96
	s_mov_b32 s44, exec_lo
	s_delay_alu instid0(VALU_DEP_1) | instskip(NEXT) | instid1(VALU_DEP_1)
	v_bfe_u32 v4, v4, 2, 5
	v_cmpx_eq_u32_e32 0, v4
	s_cbranch_execz .LBB6_5625
; %bb.5624:                             ;   in Loop: Header=BB6_5133 Depth=2
	v_clz_i32_u32_e32 v4, v5
	s_delay_alu instid0(VALU_DEP_1) | instskip(SKIP_1) | instid1(VALU_DEP_2)
	v_min_u32_e32 v4, 32, v4
	v_mov_b32_e32 v97, v25
	v_subrev_nc_u32_e32 v5, 29, v4
	v_sub_nc_u32_e32 v4, 30, v4
	s_delay_alu instid0(VALU_DEP_2) | instskip(NEXT) | instid1(VALU_DEP_1)
	v_lshlrev_b64_e32 v[6:7], v5, v[96:97]
	v_and_b32_e32 v5, 3, v6
.LBB6_5625:                             ;   in Loop: Header=BB6_5133 Depth=2
	s_or_b32 exec_lo, exec_lo, s44
	v_bfe_i32 v6, v96, 0, 16
	s_delay_alu instid0(VALU_DEP_1) | instskip(NEXT) | instid1(VALU_DEP_1)
	v_and_b32_e32 v6, 0x80000000, v6
	v_lshl_add_u32 v4, v4, 23, v6
	s_delay_alu instid0(VALU_DEP_1) | instskip(NEXT) | instid1(VALU_DEP_1)
	v_lshl_or_b32 v4, v5, 21, v4
                                        ; implicit-def: $vgpr5
	v_add_nc_u32_e32 v4, 0x38000000, v4
.LBB6_5626:                             ;   in Loop: Header=BB6_5133 Depth=2
	s_and_not1_saveexec_b32 s44, s11
; %bb.5627:                             ;   in Loop: Header=BB6_5133 Depth=2
	v_cmp_lt_i16_e64 s11, -1, v96
	v_cmp_eq_u32_e32 vcc_lo, 0, v5
	s_delay_alu instid0(VALU_DEP_2) | instskip(NEXT) | instid1(VALU_DEP_1)
	v_cndmask_b32_e64 v4, 0xff800000, v44, s11
	v_cndmask_b32_e32 v4, 0x7f800001, v4, vcc_lo
; %bb.5628:                             ;   in Loop: Header=BB6_5133 Depth=2
	s_or_b32 exec_lo, exec_lo, s44
.LBB6_5629:                             ;   in Loop: Header=BB6_5133 Depth=2
	s_delay_alu instid0(SALU_CYCLE_1)
	s_or_b32 exec_lo, exec_lo, s43
.LBB6_5630:                             ;   in Loop: Header=BB6_5133 Depth=2
	s_delay_alu instid0(SALU_CYCLE_1) | instskip(NEXT) | instid1(VALU_DEP_1)
	s_or_b32 exec_lo, exec_lo, s42
	v_dual_max_num_f32 v4, v4, v4 :: v_dual_max_num_f32 v3, v3, v3
	s_mov_b32 s11, 0
	s_delay_alu instid0(VALU_DEP_1)
	v_max_num_f32_e32 v3, v3, v4
.LBB6_5631:                             ;   in Loop: Header=BB6_5133 Depth=2
	s_and_b32 vcc_lo, exec_lo, s11
	s_cbranch_vccz .LBB6_5653
; %bb.5632:                             ;   in Loop: Header=BB6_5133 Depth=2
	v_dual_mov_b32 v4, 0 :: v_dual_mov_b32 v3, 0
	s_and_saveexec_b32 s11, s10
	s_cbranch_execz .LBB6_5642
; %bb.5633:                             ;   in Loop: Header=BB6_5133 Depth=2
	v_bfrev_b32_e32 v3, 1
	s_mov_b32 s10, exec_lo
	v_cmpx_ne_u16_e32 0xff80, v118
	s_cbranch_execz .LBB6_5641
; %bb.5634:                             ;   in Loop: Header=BB6_5133 Depth=2
	v_and_b32_e32 v3, 0x7c, v1
	v_and_b32_e32 v5, 3, v1
	s_delay_alu instid0(VALU_DEP_2) | instskip(SKIP_1) | instid1(SALU_CYCLE_1)
	v_cmp_ne_u32_e32 vcc_lo, 0x7c, v3
                                        ; implicit-def: $vgpr3
	s_and_saveexec_b32 s42, vcc_lo
	s_xor_b32 s42, exec_lo, s42
	s_cbranch_execz .LBB6_5638
; %bb.5635:                             ;   in Loop: Header=BB6_5133 Depth=2
	v_bfe_u32 v1, v1, 2, 5
	s_mov_b32 s43, exec_lo
	s_delay_alu instid0(VALU_DEP_1)
	v_cmpx_eq_u32_e32 0, v1
	s_cbranch_execz .LBB6_5637
; %bb.5636:                             ;   in Loop: Header=BB6_5133 Depth=2
	v_clz_i32_u32_e32 v1, v5
	s_delay_alu instid0(VALU_DEP_1) | instskip(SKIP_1) | instid1(VALU_DEP_2)
	v_min_u32_e32 v1, 32, v1
	v_mov_b32_e32 v119, v25
	v_subrev_nc_u32_e32 v3, 29, v1
	v_sub_nc_u32_e32 v1, 30, v1
	s_delay_alu instid0(VALU_DEP_2) | instskip(NEXT) | instid1(VALU_DEP_1)
	v_lshlrev_b64_e32 v[6:7], v3, v[118:119]
	v_and_b32_e32 v5, 3, v6
.LBB6_5637:                             ;   in Loop: Header=BB6_5133 Depth=2
	s_or_b32 exec_lo, exec_lo, s43
	v_bfe_i32 v3, v118, 0, 16
                                        ; implicit-def: $vgpr118
	s_delay_alu instid0(VALU_DEP_1) | instskip(NEXT) | instid1(VALU_DEP_1)
	v_and_b32_e32 v3, 0x80000000, v3
	v_lshl_add_u32 v1, v1, 23, v3
	s_delay_alu instid0(VALU_DEP_1) | instskip(NEXT) | instid1(VALU_DEP_1)
	v_lshl_or_b32 v1, v5, 21, v1
                                        ; implicit-def: $vgpr5
	v_add_nc_u32_e32 v3, 0x38000000, v1
.LBB6_5638:                             ;   in Loop: Header=BB6_5133 Depth=2
	s_and_not1_saveexec_b32 s42, s42
; %bb.5639:                             ;   in Loop: Header=BB6_5133 Depth=2
	v_cmp_lt_i16_e32 vcc_lo, -1, v118
	v_cndmask_b32_e32 v1, 0xff800000, v44, vcc_lo
	v_cmp_eq_u32_e32 vcc_lo, 0, v5
	s_delay_alu instid0(VALU_DEP_2)
	v_cndmask_b32_e32 v3, 0x7f800001, v1, vcc_lo
; %bb.5640:                             ;   in Loop: Header=BB6_5133 Depth=2
	s_or_b32 exec_lo, exec_lo, s42
.LBB6_5641:                             ;   in Loop: Header=BB6_5133 Depth=2
	s_delay_alu instid0(SALU_CYCLE_1)
	s_or_b32 exec_lo, exec_lo, s10
.LBB6_5642:                             ;   in Loop: Header=BB6_5133 Depth=2
	s_delay_alu instid0(SALU_CYCLE_1) | instskip(NEXT) | instid1(SALU_CYCLE_1)
	s_or_b32 exec_lo, exec_lo, s11
	s_mov_b32 s10, exec_lo
	v_cmpx_ne_u16_e32 0, v96
	s_cbranch_execz .LBB6_5652
; %bb.5643:                             ;   in Loop: Header=BB6_5133 Depth=2
	v_bfrev_b32_e32 v4, 1
	s_mov_b32 s11, exec_lo
	v_cmpx_ne_u16_e32 0xff80, v96
	s_cbranch_execz .LBB6_5651
; %bb.5644:                             ;   in Loop: Header=BB6_5133 Depth=2
	v_and_b32_e32 v4, 0x7c, v96
	v_and_b32_e32 v1, 3, v96
	s_delay_alu instid0(VALU_DEP_2) | instskip(SKIP_1) | instid1(SALU_CYCLE_1)
	v_cmp_ne_u32_e32 vcc_lo, 0x7c, v4
                                        ; implicit-def: $vgpr4
	s_and_saveexec_b32 s42, vcc_lo
	s_xor_b32 s42, exec_lo, s42
	s_cbranch_execz .LBB6_5648
; %bb.5645:                             ;   in Loop: Header=BB6_5133 Depth=2
	v_and_b32_e32 v4, 0xff, v96
	s_mov_b32 s43, exec_lo
	s_delay_alu instid0(VALU_DEP_1) | instskip(NEXT) | instid1(VALU_DEP_1)
	v_bfe_u32 v4, v4, 2, 5
	v_cmpx_eq_u32_e32 0, v4
; %bb.5646:                             ;   in Loop: Header=BB6_5133 Depth=2
	v_clz_i32_u32_e32 v1, v1
	s_delay_alu instid0(VALU_DEP_1) | instskip(SKIP_1) | instid1(VALU_DEP_2)
	v_min_u32_e32 v1, 32, v1
	v_mov_b32_e32 v97, v25
	v_subrev_nc_u32_e32 v4, 29, v1
	s_delay_alu instid0(VALU_DEP_1) | instskip(NEXT) | instid1(VALU_DEP_1)
	v_lshlrev_b64_e32 v[6:7], v4, v[96:97]
	v_dual_sub_nc_u32 v4, 30, v1 :: v_dual_bitop2_b32 v1, 3, v6 bitop3:0x40
; %bb.5647:                             ;   in Loop: Header=BB6_5133 Depth=2
	s_or_b32 exec_lo, exec_lo, s43
	v_bfe_i32 v5, v96, 0, 16
                                        ; implicit-def: $vgpr96
	s_delay_alu instid0(VALU_DEP_1) | instskip(NEXT) | instid1(VALU_DEP_1)
	v_and_b32_e32 v5, 0x80000000, v5
	v_lshl_add_u32 v4, v4, 23, v5
	s_delay_alu instid0(VALU_DEP_1) | instskip(NEXT) | instid1(VALU_DEP_1)
	v_lshl_or_b32 v1, v1, 21, v4
	v_add_nc_u32_e32 v4, 0x38000000, v1
                                        ; implicit-def: $vgpr1
.LBB6_5648:                             ;   in Loop: Header=BB6_5133 Depth=2
	s_and_not1_saveexec_b32 s42, s42
; %bb.5649:                             ;   in Loop: Header=BB6_5133 Depth=2
	v_cmp_lt_i16_e32 vcc_lo, -1, v96
	v_cndmask_b32_e32 v4, 0xff800000, v44, vcc_lo
	v_cmp_eq_u32_e32 vcc_lo, 0, v1
	s_delay_alu instid0(VALU_DEP_2)
	v_cndmask_b32_e32 v4, 0x7f800001, v4, vcc_lo
; %bb.5650:                             ;   in Loop: Header=BB6_5133 Depth=2
	s_or_b32 exec_lo, exec_lo, s42
.LBB6_5651:                             ;   in Loop: Header=BB6_5133 Depth=2
	s_delay_alu instid0(SALU_CYCLE_1)
	s_or_b32 exec_lo, exec_lo, s11
.LBB6_5652:                             ;   in Loop: Header=BB6_5133 Depth=2
	s_delay_alu instid0(SALU_CYCLE_1) | instskip(NEXT) | instid1(VALU_DEP_1)
	s_or_b32 exec_lo, exec_lo, s10
	v_dual_max_num_f32 v1, v4, v4 :: v_dual_max_num_f32 v3, v3, v3
	s_delay_alu instid0(VALU_DEP_1)
	v_min_num_f32_e32 v3, v3, v1
.LBB6_5653:                             ;   in Loop: Header=BB6_5133 Depth=2
	s_delay_alu instid0(VALU_DEP_1) | instskip(SKIP_2) | instid1(VALU_DEP_2)
	v_and_b32_e32 v4, 0x7f800000, v3
	v_mov_b32_e32 v5, v25
	v_and_b32_e32 v24, 0x7fffff, v3
                                        ; implicit-def: $vgpr18
	v_cmp_ne_u64_e32 vcc_lo, 0x7f800000, v[4:5]
	s_mov_b32 s10, exec_lo
	v_mov_b32_e32 v118, v48
	s_and_b32 s42, s10, vcc_lo
	s_delay_alu instid0(SALU_CYCLE_1)
	s_xor_b32 s11, s42, s10
	s_mov_b32 exec_lo, s42
	s_cbranch_execz .LBB6_5671
; %bb.5654:                             ;   in Loop: Header=BB6_5133 Depth=2
	v_dual_mov_b32 v5, v25 :: v_dual_lshrrev_b32 v1, 24, v3
	v_and_b32_e32 v4, 0x7fffffff, v3
                                        ; implicit-def: $vgpr18
	s_mov_b32 s10, exec_lo
	s_delay_alu instid0(VALU_DEP_2) | instskip(NEXT) | instid1(VALU_DEP_2)
	v_and_b32_e32 v1, 0x80, v1
	v_cmpx_gt_u64_e32 0x47600001, v[4:5]
	s_xor_b32 s42, exec_lo, s10
	s_cbranch_execz .LBB6_5668
; %bb.5655:                             ;   in Loop: Header=BB6_5133 Depth=2
	v_mov_b32_e32 v18, 0
	s_mov_b32 s43, exec_lo
	v_cmpx_ne_u32_e32 0, v3
	s_cbranch_execz .LBB6_5667
; %bb.5656:                             ;   in Loop: Header=BB6_5133 Depth=2
	v_bfe_u32 v3, v3, 23, 8
	v_or_b32_e32 v5, 0x800000, v24
	s_delay_alu instid0(VALU_DEP_2) | instskip(SKIP_2) | instid1(VALU_DEP_2)
	v_cmp_gt_u32_e64 s10, 0x72, v3
	v_sub_nc_u32_e32 v4, 0x71, v3
	v_cmp_eq_u32_e32 vcc_lo, 0, v3
	v_cndmask_b32_e64 v4, 0, v4, s10
	s_delay_alu instid0(VALU_DEP_1) | instskip(NEXT) | instid1(VALU_DEP_1)
	v_cndmask_b32_e64 v18, v4, 0x70, vcc_lo
	v_dual_cndmask_b32 v24, v5, v24, vcc_lo :: v_dual_add_nc_u32 v4, 21, v18
	v_add_nc_u32_e32 v6, 20, v18
	s_delay_alu instid0(VALU_DEP_2) | instskip(NEXT) | instid1(VALU_DEP_2)
	v_lshlrev_b64_e64 v[4:5], v4, -1
	v_lshlrev_b64_e64 v[6:7], v6, 1
	s_delay_alu instid0(VALU_DEP_2) | instskip(NEXT) | instid1(VALU_DEP_3)
	v_bfi_b32 v5, v5, 0, 0
	v_bfi_b32 v4, v4, 0, v24
	s_delay_alu instid0(VALU_DEP_1) | instskip(SKIP_1) | instid1(VALU_DEP_1)
	v_cmp_eq_u64_e64 s10, v[4:5], v[6:7]
	v_lshrrev_b64 v[4:5], v18, v[24:25]
	v_mov_b64_e32 v[6:7], v[4:5]
	s_and_saveexec_b32 s44, s10
; %bb.5657:                             ;   in Loop: Header=BB6_5133 Depth=2
	v_bfe_u32 v24, v4, 21, 1
	s_delay_alu instid0(VALU_DEP_1) | instskip(NEXT) | instid1(VALU_DEP_1)
	v_add_nc_u64_e32 v[6:7], v[4:5], v[24:25]
	v_add_nc_u64_e32 v[6:7], -1, v[6:7]
; %bb.5658:                             ;   in Loop: Header=BB6_5133 Depth=2
	s_or_b32 exec_lo, exec_lo, s44
	v_add_nc_u32_e32 v3, 0xffffff81, v3
	v_lshrrev_b32_e32 v5, 23, v4
	s_mov_b32 s10, exec_lo
	s_delay_alu instid0(VALU_DEP_2) | instskip(NEXT) | instid1(VALU_DEP_1)
	v_cndmask_b32_e64 v3, v3, 0xffffff82, vcc_lo
	v_add3_u32 v7, v18, v3, v5
	v_and_b32_e32 v3, 0x1fffff, v6
	s_delay_alu instid0(VALU_DEP_1) | instskip(NEXT) | instid1(VALU_DEP_1)
	v_dual_add_nc_u32 v6, 14, v7 :: v_dual_add_nc_u32 v24, v3, v4
                                        ; implicit-def: $vgpr4_vgpr5
                                        ; implicit-def: $vgpr3
	v_cmpx_ne_u32_e32 0, v6
	s_xor_b32 s10, exec_lo, s10
; %bb.5659:                             ;   in Loop: Header=BB6_5133 Depth=2
	s_delay_alu instid0(VALU_DEP_2) | instskip(SKIP_2) | instid1(VALU_DEP_2)
	v_cmp_lt_u64_e32 vcc_lo, 0xffffff, v[24:25]
	v_add_nc_u32_e32 v3, 15, v7
	v_cndmask_b32_e64 v4, 0, 1, vcc_lo
	v_cndmask_b32_e32 v3, v6, v3, vcc_lo
	s_delay_alu instid0(VALU_DEP_2)
	v_lshrrev_b64 v[4:5], v4, v[24:25]
; %bb.5660:                             ;   in Loop: Header=BB6_5133 Depth=2
	s_and_not1_saveexec_b32 s10, s10
; %bb.5661:                             ;   in Loop: Header=BB6_5133 Depth=2
	v_mov_b64_e32 v[4:5], v[24:25]
	v_bfe_u32 v3, v24, 23, 1
; %bb.5662:                             ;   in Loop: Header=BB6_5133 Depth=2
	s_or_b32 exec_lo, exec_lo, s10
	s_delay_alu instid0(VALU_DEP_2) | instskip(NEXT) | instid1(VALU_DEP_2)
	v_lshrrev_b64 v[4:5], 21, v[4:5]
	v_cmp_gt_i32_e32 vcc_lo, 32, v3
	v_cmp_ne_u32_e64 s10, 0, v3
                                        ; implicit-def: $vgpr18
	s_delay_alu instid0(VALU_DEP_3) | instskip(NEXT) | instid1(VALU_DEP_1)
	v_dual_cndmask_b32 v5, 0, v5 :: v_dual_cndmask_b32 v4, 3, v4
	v_cmp_ne_u64_e32 vcc_lo, 0, v[4:5]
	s_or_b32 s10, s10, vcc_lo
	s_delay_alu instid0(SALU_CYCLE_1) | instskip(NEXT) | instid1(SALU_CYCLE_1)
	s_and_saveexec_b32 s44, s10
	s_xor_b32 s10, exec_lo, s44
; %bb.5663:                             ;   in Loop: Header=BB6_5133 Depth=2
	v_min_i32_e32 v3, 31, v3
	s_delay_alu instid0(VALU_DEP_1) | instskip(NEXT) | instid1(VALU_DEP_1)
	v_lshl_or_b32 v1, v3, 2, v1
	v_and_or_b32 v18, v4, 3, v1
                                        ; implicit-def: $vgpr1
; %bb.5664:                             ;   in Loop: Header=BB6_5133 Depth=2
	s_and_not1_saveexec_b32 s10, s10
; %bb.5665:                             ;   in Loop: Header=BB6_5133 Depth=2
	v_mov_b32_e32 v18, v1
; %bb.5666:                             ;   in Loop: Header=BB6_5133 Depth=2
	s_or_b32 exec_lo, exec_lo, s10
.LBB6_5667:                             ;   in Loop: Header=BB6_5133 Depth=2
	s_delay_alu instid0(SALU_CYCLE_1)
	s_or_b32 exec_lo, exec_lo, s43
                                        ; implicit-def: $vgpr1
.LBB6_5668:                             ;   in Loop: Header=BB6_5133 Depth=2
	s_and_not1_saveexec_b32 s10, s42
; %bb.5669:                             ;   in Loop: Header=BB6_5133 Depth=2
	v_or_b32_e32 v18, 0x7b, v1
; %bb.5670:                             ;   in Loop: Header=BB6_5133 Depth=2
	s_or_b32 exec_lo, exec_lo, s10
                                        ; implicit-def: $vgpr3
.LBB6_5671:                             ;   in Loop: Header=BB6_5133 Depth=2
	s_and_not1_saveexec_b32 s10, s11
	s_cbranch_execz .LBB6_5677
; %bb.5672:                             ;   in Loop: Header=BB6_5133 Depth=2
	s_mov_b32 s11, exec_lo
                                        ; implicit-def: $vgpr18
	v_cmpx_ne_u64_e32 0, v[24:25]
	s_xor_b32 s11, exec_lo, s11
; %bb.5673:                             ;   in Loop: Header=BB6_5133 Depth=2
	v_lshrrev_b32_e32 v1, 24, v3
                                        ; implicit-def: $vgpr3
	s_delay_alu instid0(VALU_DEP_1)
	v_or_b32_e32 v18, 0x7f, v1
; %bb.5674:                             ;   in Loop: Header=BB6_5133 Depth=2
	s_and_not1_saveexec_b32 s11, s11
; %bb.5675:                             ;   in Loop: Header=BB6_5133 Depth=2
	v_cmp_lt_i32_e32 vcc_lo, -1, v3
	v_cndmask_b32_e64 v18, -4, 0x7c, vcc_lo
; %bb.5676:                             ;   in Loop: Header=BB6_5133 Depth=2
	s_or_b32 exec_lo, exec_lo, s11
.LBB6_5677:                             ;   in Loop: Header=BB6_5133 Depth=2
	s_delay_alu instid0(SALU_CYCLE_1)
	s_or_b32 exec_lo, exec_lo, s10
	v_and_b32_e32 v1, 0xff, v100
	v_cmp_ne_u16_e64 s10, 0, v100
	s_and_not1_b32 vcc_lo, exec_lo, s15
	s_mov_b32 s11, -1
                                        ; implicit-def: $vgpr3
	s_cbranch_vccnz .LBB6_5699
; %bb.5678:                             ;   in Loop: Header=BB6_5133 Depth=2
	v_dual_mov_b32 v4, 0 :: v_dual_mov_b32 v3, 0
	s_and_saveexec_b32 s42, s10
	s_cbranch_execz .LBB6_5688
; %bb.5679:                             ;   in Loop: Header=BB6_5133 Depth=2
	v_bfrev_b32_e32 v3, 1
	s_mov_b32 s43, exec_lo
	v_cmpx_ne_u16_e32 0xff80, v100
	s_cbranch_execz .LBB6_5687
; %bb.5680:                             ;   in Loop: Header=BB6_5133 Depth=2
	v_and_b32_e32 v3, 0x7c, v1
	v_and_b32_e32 v5, 3, v1
	s_delay_alu instid0(VALU_DEP_2) | instskip(SKIP_1) | instid1(SALU_CYCLE_1)
	v_cmp_ne_u32_e32 vcc_lo, 0x7c, v3
                                        ; implicit-def: $vgpr3
	s_and_saveexec_b32 s11, vcc_lo
	s_xor_b32 s11, exec_lo, s11
	s_cbranch_execz .LBB6_5684
; %bb.5681:                             ;   in Loop: Header=BB6_5133 Depth=2
	v_bfe_u32 v3, v1, 2, 5
	s_mov_b32 s44, exec_lo
	s_delay_alu instid0(VALU_DEP_1)
	v_cmpx_eq_u32_e32 0, v3
	s_cbranch_execz .LBB6_5683
; %bb.5682:                             ;   in Loop: Header=BB6_5133 Depth=2
	v_clz_i32_u32_e32 v3, v5
	s_delay_alu instid0(VALU_DEP_1) | instskip(SKIP_1) | instid1(VALU_DEP_2)
	v_min_u32_e32 v3, 32, v3
	v_mov_b32_e32 v101, v25
	v_subrev_nc_u32_e32 v5, 29, v3
	v_sub_nc_u32_e32 v3, 30, v3
	s_delay_alu instid0(VALU_DEP_2) | instskip(NEXT) | instid1(VALU_DEP_1)
	v_lshlrev_b64_e32 v[6:7], v5, v[100:101]
	v_and_b32_e32 v5, 3, v6
.LBB6_5683:                             ;   in Loop: Header=BB6_5133 Depth=2
	s_or_b32 exec_lo, exec_lo, s44
	v_bfe_i32 v6, v100, 0, 16
	s_delay_alu instid0(VALU_DEP_1) | instskip(NEXT) | instid1(VALU_DEP_1)
	v_and_b32_e32 v6, 0x80000000, v6
	v_lshl_add_u32 v3, v3, 23, v6
	s_delay_alu instid0(VALU_DEP_1) | instskip(NEXT) | instid1(VALU_DEP_1)
	v_lshl_or_b32 v3, v5, 21, v3
                                        ; implicit-def: $vgpr5
	v_add_nc_u32_e32 v3, 0x38000000, v3
.LBB6_5684:                             ;   in Loop: Header=BB6_5133 Depth=2
	s_and_not1_saveexec_b32 s44, s11
; %bb.5685:                             ;   in Loop: Header=BB6_5133 Depth=2
	v_cmp_lt_i16_e64 s11, -1, v100
	v_cmp_eq_u32_e32 vcc_lo, 0, v5
	s_delay_alu instid0(VALU_DEP_2) | instskip(NEXT) | instid1(VALU_DEP_1)
	v_cndmask_b32_e64 v3, 0xff800000, v44, s11
	v_cndmask_b32_e32 v3, 0x7f800001, v3, vcc_lo
; %bb.5686:                             ;   in Loop: Header=BB6_5133 Depth=2
	s_or_b32 exec_lo, exec_lo, s44
.LBB6_5687:                             ;   in Loop: Header=BB6_5133 Depth=2
	s_delay_alu instid0(SALU_CYCLE_1)
	s_or_b32 exec_lo, exec_lo, s43
.LBB6_5688:                             ;   in Loop: Header=BB6_5133 Depth=2
	s_delay_alu instid0(SALU_CYCLE_1) | instskip(NEXT) | instid1(SALU_CYCLE_1)
	s_or_b32 exec_lo, exec_lo, s42
	s_mov_b32 s42, exec_lo
	v_cmpx_ne_u16_e32 0, v40
	s_cbranch_execz .LBB6_5698
; %bb.5689:                             ;   in Loop: Header=BB6_5133 Depth=2
	v_bfrev_b32_e32 v4, 1
	s_mov_b32 s43, exec_lo
	v_cmpx_ne_u16_e32 0xff80, v40
	s_cbranch_execz .LBB6_5697
; %bb.5690:                             ;   in Loop: Header=BB6_5133 Depth=2
	v_and_b32_e32 v4, 0x7c, v40
	v_and_b32_e32 v5, 3, v40
	s_delay_alu instid0(VALU_DEP_2) | instskip(SKIP_1) | instid1(SALU_CYCLE_1)
	v_cmp_ne_u32_e32 vcc_lo, 0x7c, v4
                                        ; implicit-def: $vgpr4
	s_and_saveexec_b32 s11, vcc_lo
	s_xor_b32 s11, exec_lo, s11
	s_cbranch_execz .LBB6_5694
; %bb.5691:                             ;   in Loop: Header=BB6_5133 Depth=2
	v_and_b32_e32 v4, 0xff, v40
	s_mov_b32 s44, exec_lo
	s_delay_alu instid0(VALU_DEP_1) | instskip(NEXT) | instid1(VALU_DEP_1)
	v_bfe_u32 v4, v4, 2, 5
	v_cmpx_eq_u32_e32 0, v4
	s_cbranch_execz .LBB6_5693
; %bb.5692:                             ;   in Loop: Header=BB6_5133 Depth=2
	v_clz_i32_u32_e32 v4, v5
	s_delay_alu instid0(VALU_DEP_1) | instskip(SKIP_1) | instid1(VALU_DEP_2)
	v_min_u32_e32 v4, 32, v4
	v_mov_b32_e32 v41, v25
	v_subrev_nc_u32_e32 v5, 29, v4
	v_sub_nc_u32_e32 v4, 30, v4
	s_delay_alu instid0(VALU_DEP_2) | instskip(NEXT) | instid1(VALU_DEP_1)
	v_lshlrev_b64_e32 v[6:7], v5, v[40:41]
	v_and_b32_e32 v5, 3, v6
.LBB6_5693:                             ;   in Loop: Header=BB6_5133 Depth=2
	s_or_b32 exec_lo, exec_lo, s44
	v_bfe_i32 v6, v40, 0, 16
	s_delay_alu instid0(VALU_DEP_1) | instskip(NEXT) | instid1(VALU_DEP_1)
	v_and_b32_e32 v6, 0x80000000, v6
	v_lshl_add_u32 v4, v4, 23, v6
	s_delay_alu instid0(VALU_DEP_1) | instskip(NEXT) | instid1(VALU_DEP_1)
	v_lshl_or_b32 v4, v5, 21, v4
                                        ; implicit-def: $vgpr5
	v_add_nc_u32_e32 v4, 0x38000000, v4
.LBB6_5694:                             ;   in Loop: Header=BB6_5133 Depth=2
	s_and_not1_saveexec_b32 s44, s11
; %bb.5695:                             ;   in Loop: Header=BB6_5133 Depth=2
	v_cmp_lt_i16_e64 s11, -1, v40
	v_cmp_eq_u32_e32 vcc_lo, 0, v5
	s_delay_alu instid0(VALU_DEP_2) | instskip(NEXT) | instid1(VALU_DEP_1)
	v_cndmask_b32_e64 v4, 0xff800000, v44, s11
	v_cndmask_b32_e32 v4, 0x7f800001, v4, vcc_lo
; %bb.5696:                             ;   in Loop: Header=BB6_5133 Depth=2
	s_or_b32 exec_lo, exec_lo, s44
.LBB6_5697:                             ;   in Loop: Header=BB6_5133 Depth=2
	s_delay_alu instid0(SALU_CYCLE_1)
	s_or_b32 exec_lo, exec_lo, s43
.LBB6_5698:                             ;   in Loop: Header=BB6_5133 Depth=2
	s_delay_alu instid0(SALU_CYCLE_1) | instskip(NEXT) | instid1(VALU_DEP_1)
	s_or_b32 exec_lo, exec_lo, s42
	v_dual_max_num_f32 v4, v4, v4 :: v_dual_max_num_f32 v3, v3, v3
	s_mov_b32 s11, 0
	s_delay_alu instid0(VALU_DEP_1)
	v_max_num_f32_e32 v3, v3, v4
.LBB6_5699:                             ;   in Loop: Header=BB6_5133 Depth=2
	s_and_b32 vcc_lo, exec_lo, s11
	s_cbranch_vccz .LBB6_5721
; %bb.5700:                             ;   in Loop: Header=BB6_5133 Depth=2
	v_dual_mov_b32 v4, 0 :: v_dual_mov_b32 v3, 0
	s_and_saveexec_b32 s11, s10
	s_cbranch_execz .LBB6_5710
; %bb.5701:                             ;   in Loop: Header=BB6_5133 Depth=2
	v_bfrev_b32_e32 v3, 1
	s_mov_b32 s10, exec_lo
	v_cmpx_ne_u16_e32 0xff80, v100
	s_cbranch_execz .LBB6_5709
; %bb.5702:                             ;   in Loop: Header=BB6_5133 Depth=2
	v_and_b32_e32 v3, 0x7c, v1
	v_and_b32_e32 v5, 3, v1
	s_delay_alu instid0(VALU_DEP_2) | instskip(SKIP_1) | instid1(SALU_CYCLE_1)
	v_cmp_ne_u32_e32 vcc_lo, 0x7c, v3
                                        ; implicit-def: $vgpr3
	s_and_saveexec_b32 s42, vcc_lo
	s_xor_b32 s42, exec_lo, s42
	s_cbranch_execz .LBB6_5706
; %bb.5703:                             ;   in Loop: Header=BB6_5133 Depth=2
	v_bfe_u32 v1, v1, 2, 5
	s_mov_b32 s43, exec_lo
	s_delay_alu instid0(VALU_DEP_1)
	v_cmpx_eq_u32_e32 0, v1
	s_cbranch_execz .LBB6_5705
; %bb.5704:                             ;   in Loop: Header=BB6_5133 Depth=2
	v_clz_i32_u32_e32 v1, v5
	s_delay_alu instid0(VALU_DEP_1) | instskip(SKIP_1) | instid1(VALU_DEP_2)
	v_min_u32_e32 v1, 32, v1
	v_mov_b32_e32 v101, v25
	v_subrev_nc_u32_e32 v3, 29, v1
	v_sub_nc_u32_e32 v1, 30, v1
	s_delay_alu instid0(VALU_DEP_2) | instskip(NEXT) | instid1(VALU_DEP_1)
	v_lshlrev_b64_e32 v[6:7], v3, v[100:101]
	v_and_b32_e32 v5, 3, v6
.LBB6_5705:                             ;   in Loop: Header=BB6_5133 Depth=2
	s_or_b32 exec_lo, exec_lo, s43
	v_bfe_i32 v3, v100, 0, 16
                                        ; implicit-def: $vgpr100
	s_delay_alu instid0(VALU_DEP_1) | instskip(NEXT) | instid1(VALU_DEP_1)
	v_and_b32_e32 v3, 0x80000000, v3
	v_lshl_add_u32 v1, v1, 23, v3
	s_delay_alu instid0(VALU_DEP_1) | instskip(NEXT) | instid1(VALU_DEP_1)
	v_lshl_or_b32 v1, v5, 21, v1
                                        ; implicit-def: $vgpr5
	v_add_nc_u32_e32 v3, 0x38000000, v1
.LBB6_5706:                             ;   in Loop: Header=BB6_5133 Depth=2
	s_and_not1_saveexec_b32 s42, s42
; %bb.5707:                             ;   in Loop: Header=BB6_5133 Depth=2
	v_cmp_lt_i16_e32 vcc_lo, -1, v100
	v_cndmask_b32_e32 v1, 0xff800000, v44, vcc_lo
	v_cmp_eq_u32_e32 vcc_lo, 0, v5
	s_delay_alu instid0(VALU_DEP_2)
	v_cndmask_b32_e32 v3, 0x7f800001, v1, vcc_lo
; %bb.5708:                             ;   in Loop: Header=BB6_5133 Depth=2
	s_or_b32 exec_lo, exec_lo, s42
.LBB6_5709:                             ;   in Loop: Header=BB6_5133 Depth=2
	s_delay_alu instid0(SALU_CYCLE_1)
	s_or_b32 exec_lo, exec_lo, s10
.LBB6_5710:                             ;   in Loop: Header=BB6_5133 Depth=2
	s_delay_alu instid0(SALU_CYCLE_1) | instskip(NEXT) | instid1(SALU_CYCLE_1)
	s_or_b32 exec_lo, exec_lo, s11
	s_mov_b32 s10, exec_lo
	v_cmpx_ne_u16_e32 0, v40
	s_cbranch_execz .LBB6_5720
; %bb.5711:                             ;   in Loop: Header=BB6_5133 Depth=2
	v_bfrev_b32_e32 v4, 1
	s_mov_b32 s11, exec_lo
	v_cmpx_ne_u16_e32 0xff80, v40
	s_cbranch_execz .LBB6_5719
; %bb.5712:                             ;   in Loop: Header=BB6_5133 Depth=2
	v_and_b32_e32 v4, 0x7c, v40
	v_and_b32_e32 v1, 3, v40
	s_delay_alu instid0(VALU_DEP_2) | instskip(SKIP_1) | instid1(SALU_CYCLE_1)
	v_cmp_ne_u32_e32 vcc_lo, 0x7c, v4
                                        ; implicit-def: $vgpr4
	s_and_saveexec_b32 s42, vcc_lo
	s_xor_b32 s42, exec_lo, s42
	s_cbranch_execz .LBB6_5716
; %bb.5713:                             ;   in Loop: Header=BB6_5133 Depth=2
	v_and_b32_e32 v4, 0xff, v40
	s_mov_b32 s43, exec_lo
	s_delay_alu instid0(VALU_DEP_1) | instskip(NEXT) | instid1(VALU_DEP_1)
	v_bfe_u32 v4, v4, 2, 5
	v_cmpx_eq_u32_e32 0, v4
; %bb.5714:                             ;   in Loop: Header=BB6_5133 Depth=2
	v_clz_i32_u32_e32 v1, v1
	s_delay_alu instid0(VALU_DEP_1) | instskip(SKIP_1) | instid1(VALU_DEP_2)
	v_min_u32_e32 v1, 32, v1
	v_mov_b32_e32 v41, v25
	v_subrev_nc_u32_e32 v4, 29, v1
	s_delay_alu instid0(VALU_DEP_1) | instskip(NEXT) | instid1(VALU_DEP_1)
	v_lshlrev_b64_e32 v[6:7], v4, v[40:41]
	v_dual_sub_nc_u32 v4, 30, v1 :: v_dual_bitop2_b32 v1, 3, v6 bitop3:0x40
; %bb.5715:                             ;   in Loop: Header=BB6_5133 Depth=2
	s_or_b32 exec_lo, exec_lo, s43
	v_bfe_i32 v5, v40, 0, 16
                                        ; implicit-def: $vgpr40
	s_delay_alu instid0(VALU_DEP_1) | instskip(NEXT) | instid1(VALU_DEP_1)
	v_and_b32_e32 v5, 0x80000000, v5
	v_lshl_add_u32 v4, v4, 23, v5
	s_delay_alu instid0(VALU_DEP_1) | instskip(NEXT) | instid1(VALU_DEP_1)
	v_lshl_or_b32 v1, v1, 21, v4
	v_add_nc_u32_e32 v4, 0x38000000, v1
                                        ; implicit-def: $vgpr1
.LBB6_5716:                             ;   in Loop: Header=BB6_5133 Depth=2
	s_and_not1_saveexec_b32 s42, s42
; %bb.5717:                             ;   in Loop: Header=BB6_5133 Depth=2
	v_cmp_lt_i16_e32 vcc_lo, -1, v40
	v_cndmask_b32_e32 v4, 0xff800000, v44, vcc_lo
	v_cmp_eq_u32_e32 vcc_lo, 0, v1
	s_delay_alu instid0(VALU_DEP_2)
	v_cndmask_b32_e32 v4, 0x7f800001, v4, vcc_lo
; %bb.5718:                             ;   in Loop: Header=BB6_5133 Depth=2
	s_or_b32 exec_lo, exec_lo, s42
.LBB6_5719:                             ;   in Loop: Header=BB6_5133 Depth=2
	s_delay_alu instid0(SALU_CYCLE_1)
	s_or_b32 exec_lo, exec_lo, s11
.LBB6_5720:                             ;   in Loop: Header=BB6_5133 Depth=2
	s_delay_alu instid0(SALU_CYCLE_1) | instskip(NEXT) | instid1(VALU_DEP_1)
	s_or_b32 exec_lo, exec_lo, s10
	v_dual_max_num_f32 v1, v4, v4 :: v_dual_max_num_f32 v3, v3, v3
	s_delay_alu instid0(VALU_DEP_1)
	v_min_num_f32_e32 v3, v3, v1
.LBB6_5721:                             ;   in Loop: Header=BB6_5133 Depth=2
	s_delay_alu instid0(VALU_DEP_1) | instskip(SKIP_2) | instid1(VALU_DEP_2)
	v_and_b32_e32 v4, 0x7f800000, v3
	v_mov_b32_e32 v5, v25
	v_and_b32_e32 v24, 0x7fffff, v3
                                        ; implicit-def: $vgpr6
	v_cmp_ne_u64_e32 vcc_lo, 0x7f800000, v[4:5]
	s_mov_b32 s10, exec_lo
	v_dual_mov_b32 v82, v26 :: v_dual_mov_b32 v22, v32
	v_dual_mov_b32 v96, v50 :: v_dual_mov_b32 v26, v36
	;; [unrolled: 1-line block ×3, first 2 shown]
	s_and_b32 s42, s10, vcc_lo
	s_delay_alu instid0(SALU_CYCLE_1)
	s_xor_b32 s11, s42, s10
	s_mov_b32 exec_lo, s42
	s_cbranch_execz .LBB6_5739
; %bb.5722:                             ;   in Loop: Header=BB6_5133 Depth=2
	v_dual_mov_b32 v5, v25 :: v_dual_lshrrev_b32 v1, 24, v3
	v_and_b32_e32 v4, 0x7fffffff, v3
                                        ; implicit-def: $vgpr6
	s_mov_b32 s10, exec_lo
	s_delay_alu instid0(VALU_DEP_2) | instskip(NEXT) | instid1(VALU_DEP_2)
	v_and_b32_e32 v1, 0x80, v1
	v_cmpx_gt_u64_e32 0x47600001, v[4:5]
	s_xor_b32 s42, exec_lo, s10
	s_cbranch_execz .LBB6_5736
; %bb.5723:                             ;   in Loop: Header=BB6_5133 Depth=2
	v_mov_b32_e32 v6, 0
	s_mov_b32 s43, exec_lo
	v_cmpx_ne_u32_e32 0, v3
	s_cbranch_execz .LBB6_5735
; %bb.5724:                             ;   in Loop: Header=BB6_5133 Depth=2
	v_bfe_u32 v3, v3, 23, 8
	v_or_b32_e32 v5, 0x800000, v24
	s_delay_alu instid0(VALU_DEP_2) | instskip(SKIP_2) | instid1(VALU_DEP_2)
	v_cmp_gt_u32_e64 s10, 0x72, v3
	v_sub_nc_u32_e32 v4, 0x71, v3
	v_cmp_eq_u32_e32 vcc_lo, 0, v3
	v_cndmask_b32_e64 v4, 0, v4, s10
	s_delay_alu instid0(VALU_DEP_1) | instskip(NEXT) | instid1(VALU_DEP_1)
	v_cndmask_b32_e64 v19, v4, 0x70, vcc_lo
	v_dual_cndmask_b32 v24, v5, v24, vcc_lo :: v_dual_add_nc_u32 v4, 21, v19
	v_add_nc_u32_e32 v6, 20, v19
	s_delay_alu instid0(VALU_DEP_2) | instskip(NEXT) | instid1(VALU_DEP_2)
	v_lshlrev_b64_e64 v[4:5], v4, -1
	v_lshlrev_b64_e64 v[6:7], v6, 1
	s_delay_alu instid0(VALU_DEP_2) | instskip(NEXT) | instid1(VALU_DEP_3)
	v_bfi_b32 v5, v5, 0, 0
	v_bfi_b32 v4, v4, 0, v24
	s_delay_alu instid0(VALU_DEP_1) | instskip(SKIP_1) | instid1(VALU_DEP_1)
	v_cmp_eq_u64_e64 s10, v[4:5], v[6:7]
	v_lshrrev_b64 v[4:5], v19, v[24:25]
	v_mov_b64_e32 v[6:7], v[4:5]
	s_and_saveexec_b32 s44, s10
; %bb.5725:                             ;   in Loop: Header=BB6_5133 Depth=2
	v_bfe_u32 v24, v4, 21, 1
	s_delay_alu instid0(VALU_DEP_1) | instskip(NEXT) | instid1(VALU_DEP_1)
	v_add_nc_u64_e32 v[6:7], v[4:5], v[24:25]
	v_add_nc_u64_e32 v[6:7], -1, v[6:7]
; %bb.5726:                             ;   in Loop: Header=BB6_5133 Depth=2
	s_or_b32 exec_lo, exec_lo, s44
	v_add_nc_u32_e32 v3, 0xffffff81, v3
	v_lshrrev_b32_e32 v5, 23, v4
	s_mov_b32 s10, exec_lo
	s_delay_alu instid0(VALU_DEP_2) | instskip(NEXT) | instid1(VALU_DEP_1)
	v_cndmask_b32_e64 v3, v3, 0xffffff82, vcc_lo
	v_add3_u32 v7, v19, v3, v5
	v_and_b32_e32 v3, 0x1fffff, v6
	s_delay_alu instid0(VALU_DEP_1) | instskip(NEXT) | instid1(VALU_DEP_1)
	v_dual_add_nc_u32 v6, 14, v7 :: v_dual_add_nc_u32 v24, v3, v4
                                        ; implicit-def: $vgpr4_vgpr5
                                        ; implicit-def: $vgpr3
	v_cmpx_ne_u32_e32 0, v6
	s_xor_b32 s10, exec_lo, s10
; %bb.5727:                             ;   in Loop: Header=BB6_5133 Depth=2
	s_delay_alu instid0(VALU_DEP_2) | instskip(SKIP_2) | instid1(VALU_DEP_2)
	v_cmp_lt_u64_e32 vcc_lo, 0xffffff, v[24:25]
	v_add_nc_u32_e32 v3, 15, v7
	v_cndmask_b32_e64 v4, 0, 1, vcc_lo
	v_cndmask_b32_e32 v3, v6, v3, vcc_lo
	s_delay_alu instid0(VALU_DEP_2)
	v_lshrrev_b64 v[4:5], v4, v[24:25]
; %bb.5728:                             ;   in Loop: Header=BB6_5133 Depth=2
	s_and_not1_saveexec_b32 s10, s10
; %bb.5729:                             ;   in Loop: Header=BB6_5133 Depth=2
	v_mov_b64_e32 v[4:5], v[24:25]
	v_bfe_u32 v3, v24, 23, 1
; %bb.5730:                             ;   in Loop: Header=BB6_5133 Depth=2
	s_or_b32 exec_lo, exec_lo, s10
	s_delay_alu instid0(VALU_DEP_2) | instskip(NEXT) | instid1(VALU_DEP_2)
	v_lshrrev_b64 v[4:5], 21, v[4:5]
	v_cmp_gt_i32_e32 vcc_lo, 32, v3
	v_cmp_ne_u32_e64 s10, 0, v3
                                        ; implicit-def: $vgpr6
	s_delay_alu instid0(VALU_DEP_3) | instskip(NEXT) | instid1(VALU_DEP_1)
	v_dual_cndmask_b32 v5, 0, v5 :: v_dual_cndmask_b32 v4, 3, v4
	v_cmp_ne_u64_e32 vcc_lo, 0, v[4:5]
	s_or_b32 s10, s10, vcc_lo
	s_delay_alu instid0(SALU_CYCLE_1) | instskip(NEXT) | instid1(SALU_CYCLE_1)
	s_and_saveexec_b32 s44, s10
	s_xor_b32 s10, exec_lo, s44
; %bb.5731:                             ;   in Loop: Header=BB6_5133 Depth=2
	v_min_i32_e32 v3, 31, v3
	s_delay_alu instid0(VALU_DEP_1) | instskip(NEXT) | instid1(VALU_DEP_1)
	v_lshl_or_b32 v1, v3, 2, v1
	v_and_or_b32 v6, v4, 3, v1
                                        ; implicit-def: $vgpr1
; %bb.5732:                             ;   in Loop: Header=BB6_5133 Depth=2
	s_and_not1_saveexec_b32 s10, s10
; %bb.5733:                             ;   in Loop: Header=BB6_5133 Depth=2
	v_mov_b32_e32 v6, v1
; %bb.5734:                             ;   in Loop: Header=BB6_5133 Depth=2
	s_or_b32 exec_lo, exec_lo, s10
.LBB6_5735:                             ;   in Loop: Header=BB6_5133 Depth=2
	s_delay_alu instid0(SALU_CYCLE_1)
	s_or_b32 exec_lo, exec_lo, s43
                                        ; implicit-def: $vgpr1
.LBB6_5736:                             ;   in Loop: Header=BB6_5133 Depth=2
	s_and_not1_saveexec_b32 s10, s42
; %bb.5737:                             ;   in Loop: Header=BB6_5133 Depth=2
	v_or_b32_e32 v6, 0x7b, v1
; %bb.5738:                             ;   in Loop: Header=BB6_5133 Depth=2
	s_or_b32 exec_lo, exec_lo, s10
                                        ; implicit-def: $vgpr3
.LBB6_5739:                             ;   in Loop: Header=BB6_5133 Depth=2
	s_and_not1_saveexec_b32 s10, s11
	s_cbranch_execz .LBB6_5745
; %bb.5740:                             ;   in Loop: Header=BB6_5133 Depth=2
	s_mov_b32 s11, exec_lo
                                        ; implicit-def: $vgpr6
	v_cmpx_ne_u64_e32 0, v[24:25]
	s_xor_b32 s11, exec_lo, s11
; %bb.5741:                             ;   in Loop: Header=BB6_5133 Depth=2
	v_lshrrev_b32_e32 v1, 24, v3
                                        ; implicit-def: $vgpr3
	s_delay_alu instid0(VALU_DEP_1)
	v_or_b32_e32 v6, 0x7f, v1
; %bb.5742:                             ;   in Loop: Header=BB6_5133 Depth=2
	s_and_not1_saveexec_b32 s11, s11
; %bb.5743:                             ;   in Loop: Header=BB6_5133 Depth=2
	v_cmp_lt_i32_e32 vcc_lo, -1, v3
	v_cndmask_b32_e64 v6, -4, 0x7c, vcc_lo
; %bb.5744:                             ;   in Loop: Header=BB6_5133 Depth=2
	s_or_b32 exec_lo, exec_lo, s11
.LBB6_5745:                             ;   in Loop: Header=BB6_5133 Depth=2
	s_delay_alu instid0(SALU_CYCLE_1)
	s_or_b32 exec_lo, exec_lo, s10
	v_and_b32_e32 v3, 0xff, v114
	v_cmp_ne_u16_e64 s10, 0, v114
	s_and_not1_b32 vcc_lo, exec_lo, s15
	s_mov_b32 s11, -1
                                        ; implicit-def: $vgpr1
	s_cbranch_vccnz .LBB6_5767
; %bb.5746:                             ;   in Loop: Header=BB6_5133 Depth=2
	v_dual_mov_b32 v1, 0 :: v_dual_mov_b32 v4, 0
	s_and_saveexec_b32 s11, s10
	s_cbranch_execz .LBB6_5756
; %bb.5747:                             ;   in Loop: Header=BB6_5133 Depth=2
	v_bfrev_b32_e32 v4, 1
	s_mov_b32 s42, exec_lo
	v_cmpx_ne_u16_e32 0xff80, v114
	s_cbranch_execz .LBB6_5755
; %bb.5748:                             ;   in Loop: Header=BB6_5133 Depth=2
	v_and_b32_e32 v4, 0x7c, v3
	v_and_b32_e32 v5, 3, v3
	s_delay_alu instid0(VALU_DEP_2) | instskip(SKIP_1) | instid1(SALU_CYCLE_1)
	v_cmp_ne_u32_e32 vcc_lo, 0x7c, v4
                                        ; implicit-def: $vgpr4
	s_and_saveexec_b32 s43, vcc_lo
	s_xor_b32 s43, exec_lo, s43
	s_cbranch_execz .LBB6_5752
; %bb.5749:                             ;   in Loop: Header=BB6_5133 Depth=2
	v_bfe_u32 v4, v3, 2, 5
	s_mov_b32 s44, exec_lo
	s_delay_alu instid0(VALU_DEP_1)
	v_cmpx_eq_u32_e32 0, v4
	s_cbranch_execz .LBB6_5751
; %bb.5750:                             ;   in Loop: Header=BB6_5133 Depth=2
	v_clz_i32_u32_e32 v4, v5
	s_delay_alu instid0(VALU_DEP_1) | instskip(SKIP_1) | instid1(VALU_DEP_2)
	v_min_u32_e32 v4, 32, v4
	v_mov_b32_e32 v115, v25
	v_subrev_nc_u32_e32 v5, 29, v4
	v_sub_nc_u32_e32 v4, 30, v4
	s_delay_alu instid0(VALU_DEP_2) | instskip(NEXT) | instid1(VALU_DEP_1)
	v_lshlrev_b64_e32 v[64:65], v5, v[114:115]
	v_and_b32_e32 v5, 3, v64
.LBB6_5751:                             ;   in Loop: Header=BB6_5133 Depth=2
	s_or_b32 exec_lo, exec_lo, s44
	v_bfe_i32 v7, v114, 0, 16
	s_delay_alu instid0(VALU_DEP_1) | instskip(NEXT) | instid1(VALU_DEP_1)
	v_and_b32_e32 v7, 0x80000000, v7
	v_lshl_add_u32 v4, v4, 23, v7
	s_delay_alu instid0(VALU_DEP_1) | instskip(NEXT) | instid1(VALU_DEP_1)
	v_lshl_or_b32 v4, v5, 21, v4
                                        ; implicit-def: $vgpr5
	v_add_nc_u32_e32 v4, 0x38000000, v4
.LBB6_5752:                             ;   in Loop: Header=BB6_5133 Depth=2
	s_and_not1_saveexec_b32 s43, s43
; %bb.5753:                             ;   in Loop: Header=BB6_5133 Depth=2
	v_cmp_lt_i16_e32 vcc_lo, -1, v114
	v_cndmask_b32_e32 v4, 0xff800000, v44, vcc_lo
	v_cmp_eq_u32_e32 vcc_lo, 0, v5
	s_delay_alu instid0(VALU_DEP_2)
	v_cndmask_b32_e32 v4, 0x7f800001, v4, vcc_lo
; %bb.5754:                             ;   in Loop: Header=BB6_5133 Depth=2
	s_or_b32 exec_lo, exec_lo, s43
.LBB6_5755:                             ;   in Loop: Header=BB6_5133 Depth=2
	s_delay_alu instid0(SALU_CYCLE_1)
	s_or_b32 exec_lo, exec_lo, s42
.LBB6_5756:                             ;   in Loop: Header=BB6_5133 Depth=2
	s_delay_alu instid0(SALU_CYCLE_1) | instskip(NEXT) | instid1(SALU_CYCLE_1)
	s_or_b32 exec_lo, exec_lo, s11
	s_mov_b32 s11, exec_lo
	v_cmpx_ne_u16_e32 0, v0
	s_cbranch_execz .LBB6_5766
; %bb.5757:                             ;   in Loop: Header=BB6_5133 Depth=2
	v_bfrev_b32_e32 v1, 1
	s_mov_b32 s42, exec_lo
	v_cmpx_ne_u16_e32 0xff80, v0
	s_cbranch_execz .LBB6_5765
; %bb.5758:                             ;   in Loop: Header=BB6_5133 Depth=2
	v_and_b32_e32 v1, 0x7c, v0
	v_and_b32_e32 v5, 3, v0
	s_delay_alu instid0(VALU_DEP_2) | instskip(SKIP_1) | instid1(SALU_CYCLE_1)
	v_cmp_ne_u32_e32 vcc_lo, 0x7c, v1
                                        ; implicit-def: $vgpr1
	s_and_saveexec_b32 s43, vcc_lo
	s_xor_b32 s43, exec_lo, s43
	s_cbranch_execz .LBB6_5762
; %bb.5759:                             ;   in Loop: Header=BB6_5133 Depth=2
	v_and_b32_e32 v1, 0xff, v0
	s_mov_b32 s44, exec_lo
	s_delay_alu instid0(VALU_DEP_1) | instskip(NEXT) | instid1(VALU_DEP_1)
	v_bfe_u32 v1, v1, 2, 5
	v_cmpx_eq_u32_e32 0, v1
; %bb.5760:                             ;   in Loop: Header=BB6_5133 Depth=2
	v_clz_i32_u32_e32 v1, v5
	s_delay_alu instid0(VALU_DEP_1) | instskip(SKIP_1) | instid1(VALU_DEP_2)
	v_min_u32_e32 v5, 32, v1
	v_mov_b32_e32 v1, v25
	v_subrev_nc_u32_e32 v7, 29, v5
	s_delay_alu instid0(VALU_DEP_1) | instskip(NEXT) | instid1(VALU_DEP_1)
	v_lshlrev_b64_e32 v[64:65], v7, v[0:1]
	v_dual_sub_nc_u32 v1, 30, v5 :: v_dual_bitop2_b32 v5, 3, v64 bitop3:0x40
; %bb.5761:                             ;   in Loop: Header=BB6_5133 Depth=2
	s_or_b32 exec_lo, exec_lo, s44
	v_bfe_i32 v7, v0, 0, 16
	s_delay_alu instid0(VALU_DEP_1) | instskip(NEXT) | instid1(VALU_DEP_1)
	v_and_b32_e32 v7, 0x80000000, v7
	v_lshl_add_u32 v1, v1, 23, v7
	s_delay_alu instid0(VALU_DEP_1) | instskip(NEXT) | instid1(VALU_DEP_1)
	v_lshl_or_b32 v1, v5, 21, v1
                                        ; implicit-def: $vgpr5
	v_add_nc_u32_e32 v1, 0x38000000, v1
.LBB6_5762:                             ;   in Loop: Header=BB6_5133 Depth=2
	s_and_not1_saveexec_b32 s43, s43
; %bb.5763:                             ;   in Loop: Header=BB6_5133 Depth=2
	v_cmp_lt_i16_e32 vcc_lo, -1, v0
	v_cndmask_b32_e32 v1, 0xff800000, v44, vcc_lo
	v_cmp_eq_u32_e32 vcc_lo, 0, v5
	s_delay_alu instid0(VALU_DEP_2)
	v_cndmask_b32_e32 v1, 0x7f800001, v1, vcc_lo
; %bb.5764:                             ;   in Loop: Header=BB6_5133 Depth=2
	s_or_b32 exec_lo, exec_lo, s43
.LBB6_5765:                             ;   in Loop: Header=BB6_5133 Depth=2
	s_delay_alu instid0(SALU_CYCLE_1)
	s_or_b32 exec_lo, exec_lo, s42
.LBB6_5766:                             ;   in Loop: Header=BB6_5133 Depth=2
	s_delay_alu instid0(SALU_CYCLE_1) | instskip(NEXT) | instid1(VALU_DEP_1)
	s_or_b32 exec_lo, exec_lo, s11
	v_dual_max_num_f32 v1, v1, v1 :: v_dual_max_num_f32 v4, v4, v4
	s_mov_b32 s11, 0
	s_delay_alu instid0(VALU_DEP_1)
	v_max_num_f32_e32 v1, v4, v1
.LBB6_5767:                             ;   in Loop: Header=BB6_5133 Depth=2
	s_and_b32 vcc_lo, exec_lo, s11
	s_cbranch_vccz .LBB6_5789
; %bb.5768:                             ;   in Loop: Header=BB6_5133 Depth=2
	v_dual_mov_b32 v1, 0 :: v_dual_mov_b32 v4, 0
	s_and_saveexec_b32 s11, s10
	s_cbranch_execz .LBB6_5778
; %bb.5769:                             ;   in Loop: Header=BB6_5133 Depth=2
	v_bfrev_b32_e32 v4, 1
	s_mov_b32 s10, exec_lo
	v_cmpx_ne_u16_e32 0xff80, v114
	s_cbranch_execz .LBB6_5777
; %bb.5770:                             ;   in Loop: Header=BB6_5133 Depth=2
	v_and_b32_e32 v4, 0x7c, v3
	v_and_b32_e32 v5, 3, v3
	s_delay_alu instid0(VALU_DEP_2) | instskip(SKIP_1) | instid1(SALU_CYCLE_1)
	v_cmp_ne_u32_e32 vcc_lo, 0x7c, v4
                                        ; implicit-def: $vgpr4
	s_and_saveexec_b32 s42, vcc_lo
	s_xor_b32 s42, exec_lo, s42
	s_cbranch_execz .LBB6_5774
; %bb.5771:                             ;   in Loop: Header=BB6_5133 Depth=2
	v_bfe_u32 v3, v3, 2, 5
	s_mov_b32 s43, exec_lo
	s_delay_alu instid0(VALU_DEP_1)
	v_cmpx_eq_u32_e32 0, v3
	s_cbranch_execz .LBB6_5773
; %bb.5772:                             ;   in Loop: Header=BB6_5133 Depth=2
	v_clz_i32_u32_e32 v3, v5
	s_delay_alu instid0(VALU_DEP_1) | instskip(SKIP_1) | instid1(VALU_DEP_2)
	v_min_u32_e32 v3, 32, v3
	v_mov_b32_e32 v115, v25
	v_subrev_nc_u32_e32 v4, 29, v3
	v_sub_nc_u32_e32 v3, 30, v3
	s_delay_alu instid0(VALU_DEP_2) | instskip(NEXT) | instid1(VALU_DEP_1)
	v_lshlrev_b64_e32 v[4:5], v4, v[114:115]
	v_and_b32_e32 v5, 3, v4
.LBB6_5773:                             ;   in Loop: Header=BB6_5133 Depth=2
	s_or_b32 exec_lo, exec_lo, s43
	v_bfe_i32 v4, v114, 0, 16
                                        ; implicit-def: $vgpr114
	s_delay_alu instid0(VALU_DEP_1) | instskip(NEXT) | instid1(VALU_DEP_1)
	v_and_b32_e32 v4, 0x80000000, v4
	v_lshl_add_u32 v3, v3, 23, v4
	s_delay_alu instid0(VALU_DEP_1) | instskip(NEXT) | instid1(VALU_DEP_1)
	v_lshl_or_b32 v3, v5, 21, v3
                                        ; implicit-def: $vgpr5
	v_add_nc_u32_e32 v4, 0x38000000, v3
.LBB6_5774:                             ;   in Loop: Header=BB6_5133 Depth=2
	s_and_not1_saveexec_b32 s42, s42
; %bb.5775:                             ;   in Loop: Header=BB6_5133 Depth=2
	v_cmp_lt_i16_e32 vcc_lo, -1, v114
	v_cndmask_b32_e32 v3, 0xff800000, v44, vcc_lo
	v_cmp_eq_u32_e32 vcc_lo, 0, v5
	s_delay_alu instid0(VALU_DEP_2)
	v_cndmask_b32_e32 v4, 0x7f800001, v3, vcc_lo
; %bb.5776:                             ;   in Loop: Header=BB6_5133 Depth=2
	s_or_b32 exec_lo, exec_lo, s42
.LBB6_5777:                             ;   in Loop: Header=BB6_5133 Depth=2
	s_delay_alu instid0(SALU_CYCLE_1)
	s_or_b32 exec_lo, exec_lo, s10
.LBB6_5778:                             ;   in Loop: Header=BB6_5133 Depth=2
	s_delay_alu instid0(SALU_CYCLE_1) | instskip(NEXT) | instid1(SALU_CYCLE_1)
	s_or_b32 exec_lo, exec_lo, s11
	s_mov_b32 s10, exec_lo
	v_cmpx_ne_u16_e32 0, v0
	s_cbranch_execz .LBB6_5788
; %bb.5779:                             ;   in Loop: Header=BB6_5133 Depth=2
	v_bfrev_b32_e32 v1, 1
	s_mov_b32 s11, exec_lo
	v_cmpx_ne_u16_e32 0xff80, v0
	s_cbranch_execz .LBB6_5787
; %bb.5780:                             ;   in Loop: Header=BB6_5133 Depth=2
	v_and_b32_e32 v1, 0x7c, v0
	v_and_b32_e32 v3, 3, v0
	s_delay_alu instid0(VALU_DEP_2) | instskip(SKIP_1) | instid1(SALU_CYCLE_1)
	v_cmp_ne_u32_e32 vcc_lo, 0x7c, v1
                                        ; implicit-def: $vgpr1
	s_and_saveexec_b32 s42, vcc_lo
	s_xor_b32 s42, exec_lo, s42
	s_cbranch_execz .LBB6_5784
; %bb.5781:                             ;   in Loop: Header=BB6_5133 Depth=2
	v_and_b32_e32 v1, 0xff, v0
	s_mov_b32 s43, exec_lo
	s_delay_alu instid0(VALU_DEP_1) | instskip(NEXT) | instid1(VALU_DEP_1)
	v_bfe_u32 v1, v1, 2, 5
	v_cmpx_eq_u32_e32 0, v1
; %bb.5782:                             ;   in Loop: Header=BB6_5133 Depth=2
	v_clz_i32_u32_e32 v1, v3
	s_delay_alu instid0(VALU_DEP_1) | instskip(SKIP_1) | instid1(VALU_DEP_2)
	v_min_u32_e32 v3, 32, v1
	v_mov_b32_e32 v1, v25
	v_subrev_nc_u32_e32 v5, 29, v3
	s_delay_alu instid0(VALU_DEP_1) | instskip(NEXT) | instid1(VALU_DEP_1)
	v_lshlrev_b64_e32 v[64:65], v5, v[0:1]
	v_dual_sub_nc_u32 v1, 30, v3 :: v_dual_bitop2_b32 v3, 3, v64 bitop3:0x40
; %bb.5783:                             ;   in Loop: Header=BB6_5133 Depth=2
	s_or_b32 exec_lo, exec_lo, s43
	v_bfe_i32 v0, v0, 0, 16
	s_delay_alu instid0(VALU_DEP_1) | instskip(NEXT) | instid1(VALU_DEP_1)
	v_and_b32_e32 v0, 0x80000000, v0
	v_lshl_add_u32 v0, v1, 23, v0
	s_delay_alu instid0(VALU_DEP_1) | instskip(NEXT) | instid1(VALU_DEP_1)
	v_lshl_or_b32 v0, v3, 21, v0
                                        ; implicit-def: $vgpr3
	v_add_nc_u32_e32 v1, 0x38000000, v0
                                        ; implicit-def: $vgpr0
.LBB6_5784:                             ;   in Loop: Header=BB6_5133 Depth=2
	s_and_not1_saveexec_b32 s42, s42
; %bb.5785:                             ;   in Loop: Header=BB6_5133 Depth=2
	v_cmp_lt_i16_e32 vcc_lo, -1, v0
	v_cndmask_b32_e32 v0, 0xff800000, v44, vcc_lo
	v_cmp_eq_u32_e32 vcc_lo, 0, v3
	s_delay_alu instid0(VALU_DEP_2)
	v_cndmask_b32_e32 v1, 0x7f800001, v0, vcc_lo
; %bb.5786:                             ;   in Loop: Header=BB6_5133 Depth=2
	s_or_b32 exec_lo, exec_lo, s42
.LBB6_5787:                             ;   in Loop: Header=BB6_5133 Depth=2
	s_delay_alu instid0(SALU_CYCLE_1)
	s_or_b32 exec_lo, exec_lo, s11
.LBB6_5788:                             ;   in Loop: Header=BB6_5133 Depth=2
	s_delay_alu instid0(SALU_CYCLE_1) | instskip(NEXT) | instid1(VALU_DEP_1)
	s_or_b32 exec_lo, exec_lo, s10
	v_dual_max_num_f32 v0, v1, v1 :: v_dual_max_num_f32 v1, v4, v4
	s_delay_alu instid0(VALU_DEP_1)
	v_min_num_f32_e32 v1, v1, v0
.LBB6_5789:                             ;   in Loop: Header=BB6_5133 Depth=2
	s_delay_alu instid0(VALU_DEP_1) | instskip(SKIP_2) | instid1(VALU_DEP_2)
	v_and_b32_e32 v4, 0x7f800000, v1
	v_mov_b32_e32 v5, v25
	v_and_b32_e32 v24, 0x7fffff, v1
                                        ; implicit-def: $vgpr7
	v_cmp_ne_u64_e32 vcc_lo, 0x7f800000, v[4:5]
	s_mov_b32 s10, exec_lo
	v_mov_b32_e32 v114, v58
	scratch_load_b64 v[58:59], off, s33 offset:260 ; 8-byte Folded Reload
	s_and_b32 s42, s10, vcc_lo
	s_delay_alu instid0(SALU_CYCLE_1)
	s_xor_b32 s11, s42, s10
	s_wait_xcnt 0x0
	s_mov_b32 exec_lo, s42
	s_cbranch_execz .LBB6_5807
; %bb.5790:                             ;   in Loop: Header=BB6_5133 Depth=2
	v_dual_mov_b32 v5, v25 :: v_dual_lshrrev_b32 v0, 24, v1
	v_and_b32_e32 v4, 0x7fffffff, v1
                                        ; implicit-def: $vgpr7
	s_mov_b32 s10, exec_lo
	s_delay_alu instid0(VALU_DEP_2) | instskip(NEXT) | instid1(VALU_DEP_2)
	v_and_b32_e32 v3, 0x80, v0
	v_cmpx_gt_u64_e32 0x47600001, v[4:5]
	s_xor_b32 s42, exec_lo, s10
	s_cbranch_execz .LBB6_5804
; %bb.5791:                             ;   in Loop: Header=BB6_5133 Depth=2
	v_mov_b32_e32 v7, 0
	s_mov_b32 s43, exec_lo
	v_cmpx_ne_u32_e32 0, v1
	s_cbranch_execz .LBB6_5803
; %bb.5792:                             ;   in Loop: Header=BB6_5133 Depth=2
	v_bfe_u32 v7, v1, 23, 8
	v_or_b32_e32 v1, 0x800000, v24
	s_delay_alu instid0(VALU_DEP_2) | instskip(SKIP_2) | instid1(VALU_DEP_2)
	v_cmp_gt_u32_e64 s10, 0x72, v7
	v_sub_nc_u32_e32 v0, 0x71, v7
	v_cmp_eq_u32_e32 vcc_lo, 0, v7
	v_cndmask_b32_e64 v0, 0, v0, s10
	s_delay_alu instid0(VALU_DEP_1) | instskip(NEXT) | instid1(VALU_DEP_1)
	v_cndmask_b32_e64 v19, v0, 0x70, vcc_lo
	v_dual_cndmask_b32 v24, v1, v24, vcc_lo :: v_dual_add_nc_u32 v0, 21, v19
	v_add_nc_u32_e32 v4, 20, v19
	s_delay_alu instid0(VALU_DEP_2) | instskip(NEXT) | instid1(VALU_DEP_2)
	v_lshlrev_b64_e64 v[0:1], v0, -1
	v_lshlrev_b64_e64 v[4:5], v4, 1
	s_delay_alu instid0(VALU_DEP_2) | instskip(NEXT) | instid1(VALU_DEP_3)
	v_bfi_b32 v1, v1, 0, 0
	v_bfi_b32 v0, v0, 0, v24
	s_delay_alu instid0(VALU_DEP_1) | instskip(SKIP_1) | instid1(VALU_DEP_1)
	v_cmp_eq_u64_e64 s10, v[0:1], v[4:5]
	v_lshrrev_b64 v[0:1], v19, v[24:25]
	v_mov_b64_e32 v[4:5], v[0:1]
	s_and_saveexec_b32 s44, s10
; %bb.5793:                             ;   in Loop: Header=BB6_5133 Depth=2
	v_bfe_u32 v24, v0, 21, 1
	s_delay_alu instid0(VALU_DEP_1) | instskip(NEXT) | instid1(VALU_DEP_1)
	v_add_nc_u64_e32 v[4:5], v[0:1], v[24:25]
	v_add_nc_u64_e32 v[4:5], -1, v[4:5]
; %bb.5794:                             ;   in Loop: Header=BB6_5133 Depth=2
	s_or_b32 exec_lo, exec_lo, s44
	v_add_nc_u32_e32 v1, 0xffffff81, v7
	v_lshrrev_b32_e32 v5, 23, v0
	s_mov_b32 s10, exec_lo
	s_delay_alu instid0(VALU_DEP_2) | instskip(NEXT) | instid1(VALU_DEP_1)
	v_cndmask_b32_e64 v1, v1, 0xffffff82, vcc_lo
	v_add3_u32 v5, v19, v1, v5
	v_and_b32_e32 v1, 0x1fffff, v4
                                        ; implicit-def: $vgpr4
	s_delay_alu instid0(VALU_DEP_1) | instskip(NEXT) | instid1(VALU_DEP_1)
	v_dual_add_nc_u32 v7, 14, v5 :: v_dual_add_nc_u32 v24, v1, v0
                                        ; implicit-def: $vgpr0_vgpr1
	v_cmpx_ne_u32_e32 0, v7
	s_xor_b32 s10, exec_lo, s10
; %bb.5795:                             ;   in Loop: Header=BB6_5133 Depth=2
	s_delay_alu instid0(VALU_DEP_2) | instskip(SKIP_1) | instid1(VALU_DEP_1)
	v_cmp_lt_u64_e32 vcc_lo, 0xffffff, v[24:25]
	v_add_nc_u32_e32 v0, 15, v5
	v_cndmask_b32_e32 v4, v7, v0, vcc_lo
	v_cndmask_b32_e64 v0, 0, 1, vcc_lo
	s_delay_alu instid0(VALU_DEP_1)
	v_lshrrev_b64 v[0:1], v0, v[24:25]
; %bb.5796:                             ;   in Loop: Header=BB6_5133 Depth=2
	s_and_not1_saveexec_b32 s10, s10
; %bb.5797:                             ;   in Loop: Header=BB6_5133 Depth=2
	v_mov_b64_e32 v[0:1], v[24:25]
	v_bfe_u32 v4, v24, 23, 1
; %bb.5798:                             ;   in Loop: Header=BB6_5133 Depth=2
	s_or_b32 exec_lo, exec_lo, s10
	s_delay_alu instid0(VALU_DEP_2) | instskip(NEXT) | instid1(VALU_DEP_2)
	v_lshrrev_b64 v[0:1], 21, v[0:1]
	v_cmp_gt_i32_e32 vcc_lo, 32, v4
	v_cmp_ne_u32_e64 s10, 0, v4
                                        ; implicit-def: $vgpr7
	s_delay_alu instid0(VALU_DEP_3) | instskip(NEXT) | instid1(VALU_DEP_1)
	v_dual_cndmask_b32 v1, 0, v1 :: v_dual_cndmask_b32 v0, 3, v0
	v_cmp_ne_u64_e32 vcc_lo, 0, v[0:1]
	s_or_b32 s10, s10, vcc_lo
	s_delay_alu instid0(SALU_CYCLE_1) | instskip(NEXT) | instid1(SALU_CYCLE_1)
	s_and_saveexec_b32 s44, s10
	s_xor_b32 s10, exec_lo, s44
; %bb.5799:                             ;   in Loop: Header=BB6_5133 Depth=2
	v_min_i32_e32 v1, 31, v4
	s_delay_alu instid0(VALU_DEP_1) | instskip(NEXT) | instid1(VALU_DEP_1)
	v_lshl_or_b32 v1, v1, 2, v3
                                        ; implicit-def: $vgpr3
	v_and_or_b32 v7, v0, 3, v1
; %bb.5800:                             ;   in Loop: Header=BB6_5133 Depth=2
	s_and_not1_saveexec_b32 s10, s10
; %bb.5801:                             ;   in Loop: Header=BB6_5133 Depth=2
	v_mov_b32_e32 v7, v3
; %bb.5802:                             ;   in Loop: Header=BB6_5133 Depth=2
	s_or_b32 exec_lo, exec_lo, s10
.LBB6_5803:                             ;   in Loop: Header=BB6_5133 Depth=2
	s_delay_alu instid0(SALU_CYCLE_1)
	s_or_b32 exec_lo, exec_lo, s43
                                        ; implicit-def: $vgpr3
.LBB6_5804:                             ;   in Loop: Header=BB6_5133 Depth=2
	s_and_not1_saveexec_b32 s10, s42
; %bb.5805:                             ;   in Loop: Header=BB6_5133 Depth=2
	v_or_b32_e32 v7, 0x7b, v3
; %bb.5806:                             ;   in Loop: Header=BB6_5133 Depth=2
	s_or_b32 exec_lo, exec_lo, s10
                                        ; implicit-def: $vgpr1
.LBB6_5807:                             ;   in Loop: Header=BB6_5133 Depth=2
	s_and_not1_saveexec_b32 s10, s11
	s_cbranch_execz .LBB6_5813
; %bb.5808:                             ;   in Loop: Header=BB6_5133 Depth=2
	s_mov_b32 s11, exec_lo
                                        ; implicit-def: $vgpr7
	v_cmpx_ne_u64_e32 0, v[24:25]
	s_xor_b32 s11, exec_lo, s11
; %bb.5809:                             ;   in Loop: Header=BB6_5133 Depth=2
	v_lshrrev_b32_e32 v0, 24, v1
                                        ; implicit-def: $vgpr1
	s_delay_alu instid0(VALU_DEP_1)
	v_or_b32_e32 v7, 0x7f, v0
; %bb.5810:                             ;   in Loop: Header=BB6_5133 Depth=2
	s_and_not1_saveexec_b32 s11, s11
; %bb.5811:                             ;   in Loop: Header=BB6_5133 Depth=2
	v_cmp_lt_i32_e32 vcc_lo, -1, v1
	v_cndmask_b32_e64 v7, -4, 0x7c, vcc_lo
; %bb.5812:                             ;   in Loop: Header=BB6_5133 Depth=2
	s_or_b32 exec_lo, exec_lo, s11
.LBB6_5813:                             ;   in Loop: Header=BB6_5133 Depth=2
	s_delay_alu instid0(SALU_CYCLE_1)
	s_or_b32 exec_lo, exec_lo, s10
	v_and_b32_e32 v0, 0xff, v102
	v_cmp_ne_u16_e64 s10, 0, v102
	s_and_not1_b32 vcc_lo, exec_lo, s15
	s_mov_b32 s11, -1
                                        ; implicit-def: $vgpr1
	s_cbranch_vccnz .LBB6_5835
; %bb.5814:                             ;   in Loop: Header=BB6_5133 Depth=2
	v_dual_mov_b32 v3, 0 :: v_dual_mov_b32 v1, 0
	s_and_saveexec_b32 s11, s10
	s_cbranch_execz .LBB6_5824
; %bb.5815:                             ;   in Loop: Header=BB6_5133 Depth=2
	v_bfrev_b32_e32 v1, 1
	s_mov_b32 s42, exec_lo
	v_cmpx_ne_u16_e32 0xff80, v102
	s_cbranch_execz .LBB6_5823
; %bb.5816:                             ;   in Loop: Header=BB6_5133 Depth=2
	v_and_b32_e32 v1, 0x7c, v0
	v_and_b32_e32 v4, 3, v0
	s_delay_alu instid0(VALU_DEP_2) | instskip(SKIP_1) | instid1(SALU_CYCLE_1)
	v_cmp_ne_u32_e32 vcc_lo, 0x7c, v1
                                        ; implicit-def: $vgpr1
	s_and_saveexec_b32 s43, vcc_lo
	s_xor_b32 s43, exec_lo, s43
	s_cbranch_execz .LBB6_5820
; %bb.5817:                             ;   in Loop: Header=BB6_5133 Depth=2
	v_bfe_u32 v1, v0, 2, 5
	s_mov_b32 s44, exec_lo
	s_delay_alu instid0(VALU_DEP_1)
	v_cmpx_eq_u32_e32 0, v1
	s_cbranch_execz .LBB6_5819
; %bb.5818:                             ;   in Loop: Header=BB6_5133 Depth=2
	v_clz_i32_u32_e32 v1, v4
	s_delay_alu instid0(VALU_DEP_1) | instskip(SKIP_1) | instid1(VALU_DEP_2)
	v_min_u32_e32 v1, 32, v1
	v_mov_b32_e32 v103, v25
	v_subrev_nc_u32_e32 v4, 29, v1
	v_sub_nc_u32_e32 v1, 30, v1
	s_delay_alu instid0(VALU_DEP_2) | instskip(NEXT) | instid1(VALU_DEP_1)
	v_lshlrev_b64_e32 v[4:5], v4, v[102:103]
	v_and_b32_e32 v4, 3, v4
.LBB6_5819:                             ;   in Loop: Header=BB6_5133 Depth=2
	s_or_b32 exec_lo, exec_lo, s44
	v_bfe_i32 v5, v102, 0, 16
	s_delay_alu instid0(VALU_DEP_1) | instskip(NEXT) | instid1(VALU_DEP_1)
	v_and_b32_e32 v5, 0x80000000, v5
	v_lshl_add_u32 v1, v1, 23, v5
	s_delay_alu instid0(VALU_DEP_1) | instskip(NEXT) | instid1(VALU_DEP_1)
	v_lshl_or_b32 v1, v4, 21, v1
                                        ; implicit-def: $vgpr4
	v_add_nc_u32_e32 v1, 0x38000000, v1
.LBB6_5820:                             ;   in Loop: Header=BB6_5133 Depth=2
	s_and_not1_saveexec_b32 s43, s43
; %bb.5821:                             ;   in Loop: Header=BB6_5133 Depth=2
	v_cmp_lt_i16_e32 vcc_lo, -1, v102
	v_cndmask_b32_e32 v1, 0xff800000, v44, vcc_lo
	v_cmp_eq_u32_e32 vcc_lo, 0, v4
	s_delay_alu instid0(VALU_DEP_2)
	v_cndmask_b32_e32 v1, 0x7f800001, v1, vcc_lo
; %bb.5822:                             ;   in Loop: Header=BB6_5133 Depth=2
	s_or_b32 exec_lo, exec_lo, s43
.LBB6_5823:                             ;   in Loop: Header=BB6_5133 Depth=2
	s_delay_alu instid0(SALU_CYCLE_1)
	s_or_b32 exec_lo, exec_lo, s42
.LBB6_5824:                             ;   in Loop: Header=BB6_5133 Depth=2
	s_delay_alu instid0(SALU_CYCLE_1) | instskip(NEXT) | instid1(SALU_CYCLE_1)
	s_or_b32 exec_lo, exec_lo, s11
	s_mov_b32 s11, exec_lo
	v_cmpx_ne_u16_e32 0, v84
	s_cbranch_execz .LBB6_5834
; %bb.5825:                             ;   in Loop: Header=BB6_5133 Depth=2
	v_bfrev_b32_e32 v3, 1
	s_mov_b32 s42, exec_lo
	v_cmpx_ne_u16_e32 0xff80, v84
	s_cbranch_execz .LBB6_5833
; %bb.5826:                             ;   in Loop: Header=BB6_5133 Depth=2
	v_and_b32_e32 v3, 0x7c, v84
	v_and_b32_e32 v4, 3, v84
	s_delay_alu instid0(VALU_DEP_2) | instskip(SKIP_1) | instid1(SALU_CYCLE_1)
	v_cmp_ne_u32_e32 vcc_lo, 0x7c, v3
                                        ; implicit-def: $vgpr3
	s_and_saveexec_b32 s43, vcc_lo
	s_xor_b32 s43, exec_lo, s43
	s_cbranch_execz .LBB6_5830
; %bb.5827:                             ;   in Loop: Header=BB6_5133 Depth=2
	v_and_b32_e32 v3, 0xff, v84
	s_mov_b32 s44, exec_lo
	s_delay_alu instid0(VALU_DEP_1) | instskip(NEXT) | instid1(VALU_DEP_1)
	v_bfe_u32 v3, v3, 2, 5
	v_cmpx_eq_u32_e32 0, v3
	s_cbranch_execz .LBB6_5829
; %bb.5828:                             ;   in Loop: Header=BB6_5133 Depth=2
	v_clz_i32_u32_e32 v3, v4
	s_delay_alu instid0(VALU_DEP_1) | instskip(SKIP_1) | instid1(VALU_DEP_2)
	v_min_u32_e32 v3, 32, v3
	v_mov_b32_e32 v85, v25
	v_subrev_nc_u32_e32 v4, 29, v3
	v_sub_nc_u32_e32 v3, 30, v3
	s_delay_alu instid0(VALU_DEP_2) | instskip(NEXT) | instid1(VALU_DEP_1)
	v_lshlrev_b64_e32 v[4:5], v4, v[84:85]
	v_and_b32_e32 v4, 3, v4
.LBB6_5829:                             ;   in Loop: Header=BB6_5133 Depth=2
	s_or_b32 exec_lo, exec_lo, s44
	v_bfe_i32 v5, v84, 0, 16
	s_delay_alu instid0(VALU_DEP_1) | instskip(NEXT) | instid1(VALU_DEP_1)
	v_and_b32_e32 v5, 0x80000000, v5
	v_lshl_add_u32 v3, v3, 23, v5
	s_delay_alu instid0(VALU_DEP_1) | instskip(NEXT) | instid1(VALU_DEP_1)
	v_lshl_or_b32 v3, v4, 21, v3
                                        ; implicit-def: $vgpr4
	v_add_nc_u32_e32 v3, 0x38000000, v3
.LBB6_5830:                             ;   in Loop: Header=BB6_5133 Depth=2
	s_and_not1_saveexec_b32 s43, s43
; %bb.5831:                             ;   in Loop: Header=BB6_5133 Depth=2
	v_cmp_lt_i16_e32 vcc_lo, -1, v84
	v_cndmask_b32_e32 v3, 0xff800000, v44, vcc_lo
	v_cmp_eq_u32_e32 vcc_lo, 0, v4
	s_delay_alu instid0(VALU_DEP_2)
	v_cndmask_b32_e32 v3, 0x7f800001, v3, vcc_lo
; %bb.5832:                             ;   in Loop: Header=BB6_5133 Depth=2
	s_or_b32 exec_lo, exec_lo, s43
.LBB6_5833:                             ;   in Loop: Header=BB6_5133 Depth=2
	s_delay_alu instid0(SALU_CYCLE_1)
	s_or_b32 exec_lo, exec_lo, s42
.LBB6_5834:                             ;   in Loop: Header=BB6_5133 Depth=2
	s_delay_alu instid0(SALU_CYCLE_1) | instskip(NEXT) | instid1(VALU_DEP_1)
	s_or_b32 exec_lo, exec_lo, s11
	v_dual_max_num_f32 v3, v3, v3 :: v_dual_max_num_f32 v1, v1, v1
	s_mov_b32 s11, 0
	s_delay_alu instid0(VALU_DEP_1)
	v_max_num_f32_e32 v1, v1, v3
.LBB6_5835:                             ;   in Loop: Header=BB6_5133 Depth=2
	s_and_b32 vcc_lo, exec_lo, s11
	s_cbranch_vccz .LBB6_5857
; %bb.5836:                             ;   in Loop: Header=BB6_5133 Depth=2
	v_dual_mov_b32 v3, 0 :: v_dual_mov_b32 v1, 0
	s_and_saveexec_b32 s11, s10
	s_cbranch_execz .LBB6_5846
; %bb.5837:                             ;   in Loop: Header=BB6_5133 Depth=2
	v_bfrev_b32_e32 v1, 1
	s_mov_b32 s10, exec_lo
	v_cmpx_ne_u16_e32 0xff80, v102
	s_cbranch_execz .LBB6_5845
; %bb.5838:                             ;   in Loop: Header=BB6_5133 Depth=2
	v_and_b32_e32 v1, 0x7c, v0
	v_and_b32_e32 v4, 3, v0
	s_delay_alu instid0(VALU_DEP_2) | instskip(SKIP_1) | instid1(SALU_CYCLE_1)
	v_cmp_ne_u32_e32 vcc_lo, 0x7c, v1
                                        ; implicit-def: $vgpr1
	s_and_saveexec_b32 s42, vcc_lo
	s_xor_b32 s42, exec_lo, s42
	s_cbranch_execz .LBB6_5842
; %bb.5839:                             ;   in Loop: Header=BB6_5133 Depth=2
	v_bfe_u32 v0, v0, 2, 5
	s_mov_b32 s43, exec_lo
	s_delay_alu instid0(VALU_DEP_1)
	v_cmpx_eq_u32_e32 0, v0
	s_cbranch_execz .LBB6_5841
; %bb.5840:                             ;   in Loop: Header=BB6_5133 Depth=2
	v_clz_i32_u32_e32 v0, v4
	s_delay_alu instid0(VALU_DEP_1) | instskip(SKIP_1) | instid1(VALU_DEP_2)
	v_min_u32_e32 v0, 32, v0
	v_mov_b32_e32 v103, v25
	v_subrev_nc_u32_e32 v1, 29, v0
	v_sub_nc_u32_e32 v0, 30, v0
	s_delay_alu instid0(VALU_DEP_2) | instskip(NEXT) | instid1(VALU_DEP_1)
	v_lshlrev_b64_e32 v[4:5], v1, v[102:103]
	v_and_b32_e32 v4, 3, v4
.LBB6_5841:                             ;   in Loop: Header=BB6_5133 Depth=2
	s_or_b32 exec_lo, exec_lo, s43
	v_bfe_i32 v1, v102, 0, 16
                                        ; implicit-def: $vgpr102
	s_delay_alu instid0(VALU_DEP_1) | instskip(NEXT) | instid1(VALU_DEP_1)
	v_and_b32_e32 v1, 0x80000000, v1
	v_lshl_add_u32 v0, v0, 23, v1
	s_delay_alu instid0(VALU_DEP_1) | instskip(NEXT) | instid1(VALU_DEP_1)
	v_lshl_or_b32 v0, v4, 21, v0
                                        ; implicit-def: $vgpr4
	v_add_nc_u32_e32 v1, 0x38000000, v0
.LBB6_5842:                             ;   in Loop: Header=BB6_5133 Depth=2
	s_and_not1_saveexec_b32 s42, s42
; %bb.5843:                             ;   in Loop: Header=BB6_5133 Depth=2
	v_cmp_lt_i16_e32 vcc_lo, -1, v102
	v_cndmask_b32_e32 v0, 0xff800000, v44, vcc_lo
	v_cmp_eq_u32_e32 vcc_lo, 0, v4
	s_delay_alu instid0(VALU_DEP_2)
	v_cndmask_b32_e32 v1, 0x7f800001, v0, vcc_lo
; %bb.5844:                             ;   in Loop: Header=BB6_5133 Depth=2
	s_or_b32 exec_lo, exec_lo, s42
.LBB6_5845:                             ;   in Loop: Header=BB6_5133 Depth=2
	s_delay_alu instid0(SALU_CYCLE_1)
	s_or_b32 exec_lo, exec_lo, s10
.LBB6_5846:                             ;   in Loop: Header=BB6_5133 Depth=2
	s_delay_alu instid0(SALU_CYCLE_1) | instskip(NEXT) | instid1(SALU_CYCLE_1)
	s_or_b32 exec_lo, exec_lo, s11
	s_mov_b32 s10, exec_lo
	v_cmpx_ne_u16_e32 0, v84
	s_cbranch_execz .LBB6_5856
; %bb.5847:                             ;   in Loop: Header=BB6_5133 Depth=2
	v_bfrev_b32_e32 v3, 1
	s_mov_b32 s11, exec_lo
	v_cmpx_ne_u16_e32 0xff80, v84
	s_cbranch_execz .LBB6_5855
; %bb.5848:                             ;   in Loop: Header=BB6_5133 Depth=2
	v_and_b32_e32 v3, 0x7c, v84
	v_and_b32_e32 v0, 3, v84
	s_delay_alu instid0(VALU_DEP_2) | instskip(SKIP_1) | instid1(SALU_CYCLE_1)
	v_cmp_ne_u32_e32 vcc_lo, 0x7c, v3
                                        ; implicit-def: $vgpr3
	s_and_saveexec_b32 s42, vcc_lo
	s_xor_b32 s42, exec_lo, s42
	s_cbranch_execz .LBB6_5852
; %bb.5849:                             ;   in Loop: Header=BB6_5133 Depth=2
	v_and_b32_e32 v3, 0xff, v84
	s_mov_b32 s43, exec_lo
	s_delay_alu instid0(VALU_DEP_1) | instskip(NEXT) | instid1(VALU_DEP_1)
	v_bfe_u32 v3, v3, 2, 5
	v_cmpx_eq_u32_e32 0, v3
	s_cbranch_execz .LBB6_5851
; %bb.5850:                             ;   in Loop: Header=BB6_5133 Depth=2
	v_clz_i32_u32_e32 v0, v0
	s_delay_alu instid0(VALU_DEP_1) | instskip(SKIP_1) | instid1(VALU_DEP_2)
	v_min_u32_e32 v0, 32, v0
	v_mov_b32_e32 v85, v25
	v_subrev_nc_u32_e32 v3, 29, v0
	s_delay_alu instid0(VALU_DEP_1) | instskip(SKIP_1) | instid1(VALU_DEP_2)
	v_lshlrev_b64_e32 v[4:5], v3, v[84:85]
	v_sub_nc_u32_e32 v3, 30, v0
	v_and_b32_e32 v0, 3, v4
.LBB6_5851:                             ;   in Loop: Header=BB6_5133 Depth=2
	s_or_b32 exec_lo, exec_lo, s43
	v_bfe_i32 v4, v84, 0, 16
                                        ; implicit-def: $vgpr84
	s_delay_alu instid0(VALU_DEP_1) | instskip(NEXT) | instid1(VALU_DEP_1)
	v_and_b32_e32 v4, 0x80000000, v4
	v_lshl_add_u32 v3, v3, 23, v4
	s_delay_alu instid0(VALU_DEP_1) | instskip(NEXT) | instid1(VALU_DEP_1)
	v_lshl_or_b32 v0, v0, 21, v3
	v_add_nc_u32_e32 v3, 0x38000000, v0
                                        ; implicit-def: $vgpr0
.LBB6_5852:                             ;   in Loop: Header=BB6_5133 Depth=2
	s_and_not1_saveexec_b32 s42, s42
; %bb.5853:                             ;   in Loop: Header=BB6_5133 Depth=2
	v_cmp_lt_i16_e32 vcc_lo, -1, v84
	v_cndmask_b32_e32 v3, 0xff800000, v44, vcc_lo
	v_cmp_eq_u32_e32 vcc_lo, 0, v0
	s_delay_alu instid0(VALU_DEP_2)
	v_cndmask_b32_e32 v3, 0x7f800001, v3, vcc_lo
; %bb.5854:                             ;   in Loop: Header=BB6_5133 Depth=2
	s_or_b32 exec_lo, exec_lo, s42
.LBB6_5855:                             ;   in Loop: Header=BB6_5133 Depth=2
	s_delay_alu instid0(SALU_CYCLE_1)
	s_or_b32 exec_lo, exec_lo, s11
.LBB6_5856:                             ;   in Loop: Header=BB6_5133 Depth=2
	s_delay_alu instid0(SALU_CYCLE_1) | instskip(NEXT) | instid1(VALU_DEP_1)
	s_or_b32 exec_lo, exec_lo, s10
	v_dual_max_num_f32 v0, v3, v3 :: v_dual_max_num_f32 v1, v1, v1
	s_delay_alu instid0(VALU_DEP_1)
	v_min_num_f32_e32 v1, v1, v0
.LBB6_5857:                             ;   in Loop: Header=BB6_5133 Depth=2
	s_delay_alu instid0(VALU_DEP_1) | instskip(SKIP_2) | instid1(VALU_DEP_2)
	v_and_b32_e32 v4, 0x7f800000, v1
	v_mov_b32_e32 v5, v25
	v_and_b32_e32 v24, 0x7fffff, v1
                                        ; implicit-def: $vgpr19
	v_cmp_ne_u64_e32 vcc_lo, 0x7f800000, v[4:5]
	s_mov_b32 s10, exec_lo
	s_clause 0x3
	scratch_load_b64 v[32:33], off, s33 offset:236
	scratch_load_b64 v[48:49], off, s33 offset:228
	;; [unrolled: 1-line block ×4, first 2 shown]
	s_and_b32 s42, s10, vcc_lo
	s_delay_alu instid0(SALU_CYCLE_1)
	s_xor_b32 s11, s42, s10
	s_wait_xcnt 0x0
	s_mov_b32 exec_lo, s42
	s_cbranch_execz .LBB6_5875
; %bb.5858:                             ;   in Loop: Header=BB6_5133 Depth=2
	v_dual_mov_b32 v5, v25 :: v_dual_lshrrev_b32 v0, 24, v1
	v_and_b32_e32 v4, 0x7fffffff, v1
                                        ; implicit-def: $vgpr19
	s_mov_b32 s10, exec_lo
	s_delay_alu instid0(VALU_DEP_2) | instskip(NEXT) | instid1(VALU_DEP_2)
	v_and_b32_e32 v3, 0x80, v0
	v_cmpx_gt_u64_e32 0x47600001, v[4:5]
	s_xor_b32 s42, exec_lo, s10
	s_cbranch_execz .LBB6_5872
; %bb.5859:                             ;   in Loop: Header=BB6_5133 Depth=2
	v_mov_b32_e32 v19, 0
	s_mov_b32 s43, exec_lo
	v_cmpx_ne_u32_e32 0, v1
	s_cbranch_execz .LBB6_5871
; %bb.5860:                             ;   in Loop: Header=BB6_5133 Depth=2
	v_bfe_u32 v19, v1, 23, 8
	v_or_b32_e32 v1, 0x800000, v24
	s_delay_alu instid0(VALU_DEP_2) | instskip(SKIP_2) | instid1(VALU_DEP_2)
	v_cmp_gt_u32_e64 s10, 0x72, v19
	v_sub_nc_u32_e32 v0, 0x71, v19
	v_cmp_eq_u32_e32 vcc_lo, 0, v19
	v_cndmask_b32_e64 v0, 0, v0, s10
	s_delay_alu instid0(VALU_DEP_1) | instskip(NEXT) | instid1(VALU_DEP_1)
	v_cndmask_b32_e64 v21, v0, 0x70, vcc_lo
	v_dual_cndmask_b32 v24, v1, v24, vcc_lo :: v_dual_add_nc_u32 v0, 21, v21
	v_add_nc_u32_e32 v4, 20, v21
	s_delay_alu instid0(VALU_DEP_2) | instskip(NEXT) | instid1(VALU_DEP_2)
	v_lshlrev_b64_e64 v[0:1], v0, -1
	v_lshlrev_b64_e64 v[4:5], v4, 1
	s_delay_alu instid0(VALU_DEP_2) | instskip(NEXT) | instid1(VALU_DEP_3)
	v_bfi_b32 v1, v1, 0, 0
	v_bfi_b32 v0, v0, 0, v24
	s_delay_alu instid0(VALU_DEP_1) | instskip(SKIP_1) | instid1(VALU_DEP_1)
	v_cmp_eq_u64_e64 s10, v[0:1], v[4:5]
	v_lshrrev_b64 v[0:1], v21, v[24:25]
	v_mov_b64_e32 v[4:5], v[0:1]
	s_and_saveexec_b32 s44, s10
; %bb.5861:                             ;   in Loop: Header=BB6_5133 Depth=2
	v_bfe_u32 v24, v0, 21, 1
	s_delay_alu instid0(VALU_DEP_1) | instskip(NEXT) | instid1(VALU_DEP_1)
	v_add_nc_u64_e32 v[4:5], v[0:1], v[24:25]
	v_add_nc_u64_e32 v[4:5], -1, v[4:5]
; %bb.5862:                             ;   in Loop: Header=BB6_5133 Depth=2
	s_or_b32 exec_lo, exec_lo, s44
	v_add_nc_u32_e32 v1, 0xffffff81, v19
	v_lshrrev_b32_e32 v5, 23, v0
	s_mov_b32 s10, exec_lo
	s_delay_alu instid0(VALU_DEP_2) | instskip(NEXT) | instid1(VALU_DEP_1)
	v_cndmask_b32_e64 v1, v1, 0xffffff82, vcc_lo
	v_add3_u32 v5, v21, v1, v5
	v_and_b32_e32 v1, 0x1fffff, v4
                                        ; implicit-def: $vgpr4
	s_delay_alu instid0(VALU_DEP_1) | instskip(NEXT) | instid1(VALU_DEP_1)
	v_dual_add_nc_u32 v19, 14, v5 :: v_dual_add_nc_u32 v24, v1, v0
                                        ; implicit-def: $vgpr0_vgpr1
	v_cmpx_ne_u32_e32 0, v19
	s_xor_b32 s10, exec_lo, s10
; %bb.5863:                             ;   in Loop: Header=BB6_5133 Depth=2
	s_delay_alu instid0(VALU_DEP_2) | instskip(SKIP_1) | instid1(VALU_DEP_1)
	v_cmp_lt_u64_e32 vcc_lo, 0xffffff, v[24:25]
	v_add_nc_u32_e32 v0, 15, v5
	v_cndmask_b32_e32 v4, v19, v0, vcc_lo
	v_cndmask_b32_e64 v0, 0, 1, vcc_lo
	s_delay_alu instid0(VALU_DEP_1)
	v_lshrrev_b64 v[0:1], v0, v[24:25]
; %bb.5864:                             ;   in Loop: Header=BB6_5133 Depth=2
	s_and_not1_saveexec_b32 s10, s10
; %bb.5865:                             ;   in Loop: Header=BB6_5133 Depth=2
	v_mov_b64_e32 v[0:1], v[24:25]
	v_bfe_u32 v4, v24, 23, 1
; %bb.5866:                             ;   in Loop: Header=BB6_5133 Depth=2
	s_or_b32 exec_lo, exec_lo, s10
	s_delay_alu instid0(VALU_DEP_2) | instskip(NEXT) | instid1(VALU_DEP_2)
	v_lshrrev_b64 v[0:1], 21, v[0:1]
	v_cmp_gt_i32_e32 vcc_lo, 32, v4
	v_cmp_ne_u32_e64 s10, 0, v4
                                        ; implicit-def: $vgpr19
	s_delay_alu instid0(VALU_DEP_3) | instskip(NEXT) | instid1(VALU_DEP_1)
	v_dual_cndmask_b32 v1, 0, v1 :: v_dual_cndmask_b32 v0, 3, v0
	v_cmp_ne_u64_e32 vcc_lo, 0, v[0:1]
	s_or_b32 s10, s10, vcc_lo
	s_delay_alu instid0(SALU_CYCLE_1) | instskip(NEXT) | instid1(SALU_CYCLE_1)
	s_and_saveexec_b32 s44, s10
	s_xor_b32 s10, exec_lo, s44
; %bb.5867:                             ;   in Loop: Header=BB6_5133 Depth=2
	v_min_i32_e32 v1, 31, v4
	s_delay_alu instid0(VALU_DEP_1) | instskip(NEXT) | instid1(VALU_DEP_1)
	v_lshl_or_b32 v1, v1, 2, v3
                                        ; implicit-def: $vgpr3
	v_and_or_b32 v19, v0, 3, v1
; %bb.5868:                             ;   in Loop: Header=BB6_5133 Depth=2
	s_and_not1_saveexec_b32 s10, s10
; %bb.5869:                             ;   in Loop: Header=BB6_5133 Depth=2
	v_mov_b32_e32 v19, v3
; %bb.5870:                             ;   in Loop: Header=BB6_5133 Depth=2
	s_or_b32 exec_lo, exec_lo, s10
.LBB6_5871:                             ;   in Loop: Header=BB6_5133 Depth=2
	s_delay_alu instid0(SALU_CYCLE_1)
	s_or_b32 exec_lo, exec_lo, s43
                                        ; implicit-def: $vgpr3
.LBB6_5872:                             ;   in Loop: Header=BB6_5133 Depth=2
	s_and_not1_saveexec_b32 s10, s42
; %bb.5873:                             ;   in Loop: Header=BB6_5133 Depth=2
	v_or_b32_e32 v19, 0x7b, v3
; %bb.5874:                             ;   in Loop: Header=BB6_5133 Depth=2
	s_or_b32 exec_lo, exec_lo, s10
                                        ; implicit-def: $vgpr1
.LBB6_5875:                             ;   in Loop: Header=BB6_5133 Depth=2
	s_and_not1_saveexec_b32 s10, s11
	s_cbranch_execz .LBB6_5881
; %bb.5876:                             ;   in Loop: Header=BB6_5133 Depth=2
	s_mov_b32 s11, exec_lo
                                        ; implicit-def: $vgpr19
	v_cmpx_ne_u64_e32 0, v[24:25]
	s_xor_b32 s11, exec_lo, s11
; %bb.5877:                             ;   in Loop: Header=BB6_5133 Depth=2
	v_lshrrev_b32_e32 v0, 24, v1
                                        ; implicit-def: $vgpr1
	s_delay_alu instid0(VALU_DEP_1)
	v_or_b32_e32 v19, 0x7f, v0
; %bb.5878:                             ;   in Loop: Header=BB6_5133 Depth=2
	s_and_not1_saveexec_b32 s11, s11
; %bb.5879:                             ;   in Loop: Header=BB6_5133 Depth=2
	v_cmp_lt_i32_e32 vcc_lo, -1, v1
	v_cndmask_b32_e64 v19, -4, 0x7c, vcc_lo
; %bb.5880:                             ;   in Loop: Header=BB6_5133 Depth=2
	s_or_b32 exec_lo, exec_lo, s11
.LBB6_5881:                             ;   in Loop: Header=BB6_5133 Depth=2
	s_delay_alu instid0(SALU_CYCLE_1)
	s_or_b32 exec_lo, exec_lo, s10
	v_and_b32_e32 v0, 0xff, v52
	v_cmp_ne_u16_e64 s10, 0, v52
	s_and_not1_b32 vcc_lo, exec_lo, s15
	s_mov_b32 s11, -1
                                        ; implicit-def: $vgpr1
	s_cbranch_vccnz .LBB6_5903
; %bb.5882:                             ;   in Loop: Header=BB6_5133 Depth=2
	v_dual_mov_b32 v3, 0 :: v_dual_mov_b32 v1, 0
	s_and_saveexec_b32 s11, s10
	s_cbranch_execz .LBB6_5892
; %bb.5883:                             ;   in Loop: Header=BB6_5133 Depth=2
	v_bfrev_b32_e32 v1, 1
	s_mov_b32 s42, exec_lo
	v_cmpx_ne_u16_e32 0xff80, v52
	s_cbranch_execz .LBB6_5891
; %bb.5884:                             ;   in Loop: Header=BB6_5133 Depth=2
	v_and_b32_e32 v1, 0x7c, v0
	v_and_b32_e32 v4, 3, v0
	s_delay_alu instid0(VALU_DEP_2) | instskip(SKIP_1) | instid1(SALU_CYCLE_1)
	v_cmp_ne_u32_e32 vcc_lo, 0x7c, v1
                                        ; implicit-def: $vgpr1
	s_and_saveexec_b32 s43, vcc_lo
	s_xor_b32 s43, exec_lo, s43
	s_cbranch_execz .LBB6_5888
; %bb.5885:                             ;   in Loop: Header=BB6_5133 Depth=2
	v_bfe_u32 v1, v0, 2, 5
	s_mov_b32 s44, exec_lo
	s_delay_alu instid0(VALU_DEP_1)
	v_cmpx_eq_u32_e32 0, v1
	s_cbranch_execz .LBB6_5887
; %bb.5886:                             ;   in Loop: Header=BB6_5133 Depth=2
	v_clz_i32_u32_e32 v1, v4
	s_delay_alu instid0(VALU_DEP_1) | instskip(SKIP_1) | instid1(VALU_DEP_2)
	v_min_u32_e32 v1, 32, v1
	v_mov_b32_e32 v53, v25
	v_subrev_nc_u32_e32 v4, 29, v1
	v_sub_nc_u32_e32 v1, 30, v1
	s_delay_alu instid0(VALU_DEP_2) | instskip(NEXT) | instid1(VALU_DEP_1)
	v_lshlrev_b64_e32 v[4:5], v4, v[52:53]
	v_and_b32_e32 v4, 3, v4
.LBB6_5887:                             ;   in Loop: Header=BB6_5133 Depth=2
	s_or_b32 exec_lo, exec_lo, s44
	v_bfe_i32 v5, v52, 0, 16
	s_delay_alu instid0(VALU_DEP_1) | instskip(NEXT) | instid1(VALU_DEP_1)
	v_and_b32_e32 v5, 0x80000000, v5
	v_lshl_add_u32 v1, v1, 23, v5
	s_delay_alu instid0(VALU_DEP_1) | instskip(NEXT) | instid1(VALU_DEP_1)
	v_lshl_or_b32 v1, v4, 21, v1
                                        ; implicit-def: $vgpr4
	v_add_nc_u32_e32 v1, 0x38000000, v1
.LBB6_5888:                             ;   in Loop: Header=BB6_5133 Depth=2
	s_and_not1_saveexec_b32 s43, s43
; %bb.5889:                             ;   in Loop: Header=BB6_5133 Depth=2
	v_cmp_lt_i16_e32 vcc_lo, -1, v52
	v_cndmask_b32_e32 v1, 0xff800000, v44, vcc_lo
	v_cmp_eq_u32_e32 vcc_lo, 0, v4
	s_delay_alu instid0(VALU_DEP_2)
	v_cndmask_b32_e32 v1, 0x7f800001, v1, vcc_lo
; %bb.5890:                             ;   in Loop: Header=BB6_5133 Depth=2
	s_or_b32 exec_lo, exec_lo, s43
.LBB6_5891:                             ;   in Loop: Header=BB6_5133 Depth=2
	s_delay_alu instid0(SALU_CYCLE_1)
	s_or_b32 exec_lo, exec_lo, s42
.LBB6_5892:                             ;   in Loop: Header=BB6_5133 Depth=2
	s_delay_alu instid0(SALU_CYCLE_1) | instskip(NEXT) | instid1(SALU_CYCLE_1)
	s_or_b32 exec_lo, exec_lo, s11
	s_mov_b32 s11, exec_lo
	v_cmpx_ne_u16_e32 0, v68
	s_cbranch_execz .LBB6_5902
; %bb.5893:                             ;   in Loop: Header=BB6_5133 Depth=2
	v_bfrev_b32_e32 v3, 1
	s_mov_b32 s42, exec_lo
	v_cmpx_ne_u16_e32 0xff80, v68
	s_cbranch_execz .LBB6_5901
; %bb.5894:                             ;   in Loop: Header=BB6_5133 Depth=2
	v_and_b32_e32 v3, 0x7c, v68
	v_and_b32_e32 v4, 3, v68
	s_delay_alu instid0(VALU_DEP_2) | instskip(SKIP_1) | instid1(SALU_CYCLE_1)
	v_cmp_ne_u32_e32 vcc_lo, 0x7c, v3
                                        ; implicit-def: $vgpr3
	s_and_saveexec_b32 s43, vcc_lo
	s_xor_b32 s43, exec_lo, s43
	s_cbranch_execz .LBB6_5898
; %bb.5895:                             ;   in Loop: Header=BB6_5133 Depth=2
	v_and_b32_e32 v3, 0xff, v68
	s_mov_b32 s44, exec_lo
	s_delay_alu instid0(VALU_DEP_1) | instskip(NEXT) | instid1(VALU_DEP_1)
	v_bfe_u32 v3, v3, 2, 5
	v_cmpx_eq_u32_e32 0, v3
	s_cbranch_execz .LBB6_5897
; %bb.5896:                             ;   in Loop: Header=BB6_5133 Depth=2
	v_clz_i32_u32_e32 v3, v4
	s_delay_alu instid0(VALU_DEP_1) | instskip(SKIP_1) | instid1(VALU_DEP_2)
	v_min_u32_e32 v3, 32, v3
	v_mov_b32_e32 v69, v25
	v_subrev_nc_u32_e32 v4, 29, v3
	v_sub_nc_u32_e32 v3, 30, v3
	s_delay_alu instid0(VALU_DEP_2) | instskip(NEXT) | instid1(VALU_DEP_1)
	v_lshlrev_b64_e32 v[4:5], v4, v[68:69]
	v_and_b32_e32 v4, 3, v4
.LBB6_5897:                             ;   in Loop: Header=BB6_5133 Depth=2
	s_or_b32 exec_lo, exec_lo, s44
	v_bfe_i32 v5, v68, 0, 16
	s_delay_alu instid0(VALU_DEP_1) | instskip(NEXT) | instid1(VALU_DEP_1)
	v_and_b32_e32 v5, 0x80000000, v5
	v_lshl_add_u32 v3, v3, 23, v5
	s_delay_alu instid0(VALU_DEP_1) | instskip(NEXT) | instid1(VALU_DEP_1)
	v_lshl_or_b32 v3, v4, 21, v3
                                        ; implicit-def: $vgpr4
	v_add_nc_u32_e32 v3, 0x38000000, v3
.LBB6_5898:                             ;   in Loop: Header=BB6_5133 Depth=2
	s_and_not1_saveexec_b32 s43, s43
; %bb.5899:                             ;   in Loop: Header=BB6_5133 Depth=2
	v_cmp_lt_i16_e32 vcc_lo, -1, v68
	v_cndmask_b32_e32 v3, 0xff800000, v44, vcc_lo
	v_cmp_eq_u32_e32 vcc_lo, 0, v4
	s_delay_alu instid0(VALU_DEP_2)
	v_cndmask_b32_e32 v3, 0x7f800001, v3, vcc_lo
; %bb.5900:                             ;   in Loop: Header=BB6_5133 Depth=2
	s_or_b32 exec_lo, exec_lo, s43
.LBB6_5901:                             ;   in Loop: Header=BB6_5133 Depth=2
	s_delay_alu instid0(SALU_CYCLE_1)
	s_or_b32 exec_lo, exec_lo, s42
.LBB6_5902:                             ;   in Loop: Header=BB6_5133 Depth=2
	s_delay_alu instid0(SALU_CYCLE_1) | instskip(NEXT) | instid1(VALU_DEP_1)
	s_or_b32 exec_lo, exec_lo, s11
	v_dual_max_num_f32 v3, v3, v3 :: v_dual_max_num_f32 v1, v1, v1
	s_mov_b32 s11, 0
	s_delay_alu instid0(VALU_DEP_1)
	v_max_num_f32_e32 v1, v1, v3
.LBB6_5903:                             ;   in Loop: Header=BB6_5133 Depth=2
	s_and_b32 vcc_lo, exec_lo, s11
	s_cbranch_vccz .LBB6_5925
; %bb.5904:                             ;   in Loop: Header=BB6_5133 Depth=2
	v_dual_mov_b32 v3, 0 :: v_dual_mov_b32 v1, 0
	s_and_saveexec_b32 s11, s10
	s_cbranch_execz .LBB6_5914
; %bb.5905:                             ;   in Loop: Header=BB6_5133 Depth=2
	v_bfrev_b32_e32 v1, 1
	s_mov_b32 s10, exec_lo
	v_cmpx_ne_u16_e32 0xff80, v52
	s_cbranch_execz .LBB6_5913
; %bb.5906:                             ;   in Loop: Header=BB6_5133 Depth=2
	v_and_b32_e32 v1, 0x7c, v0
	v_and_b32_e32 v4, 3, v0
	s_delay_alu instid0(VALU_DEP_2) | instskip(SKIP_1) | instid1(SALU_CYCLE_1)
	v_cmp_ne_u32_e32 vcc_lo, 0x7c, v1
                                        ; implicit-def: $vgpr1
	s_and_saveexec_b32 s42, vcc_lo
	s_xor_b32 s42, exec_lo, s42
	s_cbranch_execz .LBB6_5910
; %bb.5907:                             ;   in Loop: Header=BB6_5133 Depth=2
	v_bfe_u32 v0, v0, 2, 5
	s_mov_b32 s43, exec_lo
	s_delay_alu instid0(VALU_DEP_1)
	v_cmpx_eq_u32_e32 0, v0
	s_cbranch_execz .LBB6_5909
; %bb.5908:                             ;   in Loop: Header=BB6_5133 Depth=2
	v_clz_i32_u32_e32 v0, v4
	s_delay_alu instid0(VALU_DEP_1) | instskip(SKIP_1) | instid1(VALU_DEP_2)
	v_min_u32_e32 v0, 32, v0
	v_mov_b32_e32 v53, v25
	v_subrev_nc_u32_e32 v1, 29, v0
	v_sub_nc_u32_e32 v0, 30, v0
	s_delay_alu instid0(VALU_DEP_2) | instskip(NEXT) | instid1(VALU_DEP_1)
	v_lshlrev_b64_e32 v[4:5], v1, v[52:53]
	v_and_b32_e32 v4, 3, v4
.LBB6_5909:                             ;   in Loop: Header=BB6_5133 Depth=2
	s_or_b32 exec_lo, exec_lo, s43
	v_bfe_i32 v1, v52, 0, 16
                                        ; implicit-def: $vgpr52
	s_delay_alu instid0(VALU_DEP_1) | instskip(NEXT) | instid1(VALU_DEP_1)
	v_and_b32_e32 v1, 0x80000000, v1
	v_lshl_add_u32 v0, v0, 23, v1
	s_delay_alu instid0(VALU_DEP_1) | instskip(NEXT) | instid1(VALU_DEP_1)
	v_lshl_or_b32 v0, v4, 21, v0
                                        ; implicit-def: $vgpr4
	v_add_nc_u32_e32 v1, 0x38000000, v0
.LBB6_5910:                             ;   in Loop: Header=BB6_5133 Depth=2
	s_and_not1_saveexec_b32 s42, s42
; %bb.5911:                             ;   in Loop: Header=BB6_5133 Depth=2
	v_cmp_lt_i16_e32 vcc_lo, -1, v52
	v_cndmask_b32_e32 v0, 0xff800000, v44, vcc_lo
	v_cmp_eq_u32_e32 vcc_lo, 0, v4
	s_delay_alu instid0(VALU_DEP_2)
	v_cndmask_b32_e32 v1, 0x7f800001, v0, vcc_lo
; %bb.5912:                             ;   in Loop: Header=BB6_5133 Depth=2
	s_or_b32 exec_lo, exec_lo, s42
.LBB6_5913:                             ;   in Loop: Header=BB6_5133 Depth=2
	s_delay_alu instid0(SALU_CYCLE_1)
	s_or_b32 exec_lo, exec_lo, s10
.LBB6_5914:                             ;   in Loop: Header=BB6_5133 Depth=2
	s_delay_alu instid0(SALU_CYCLE_1) | instskip(NEXT) | instid1(SALU_CYCLE_1)
	s_or_b32 exec_lo, exec_lo, s11
	s_mov_b32 s10, exec_lo
	v_cmpx_ne_u16_e32 0, v68
	s_cbranch_execz .LBB6_5924
; %bb.5915:                             ;   in Loop: Header=BB6_5133 Depth=2
	v_bfrev_b32_e32 v3, 1
	s_mov_b32 s11, exec_lo
	v_cmpx_ne_u16_e32 0xff80, v68
	s_cbranch_execz .LBB6_5923
; %bb.5916:                             ;   in Loop: Header=BB6_5133 Depth=2
	v_and_b32_e32 v3, 0x7c, v68
	v_and_b32_e32 v0, 3, v68
	s_delay_alu instid0(VALU_DEP_2) | instskip(SKIP_1) | instid1(SALU_CYCLE_1)
	v_cmp_ne_u32_e32 vcc_lo, 0x7c, v3
                                        ; implicit-def: $vgpr3
	s_and_saveexec_b32 s42, vcc_lo
	s_xor_b32 s42, exec_lo, s42
	s_cbranch_execz .LBB6_5920
; %bb.5917:                             ;   in Loop: Header=BB6_5133 Depth=2
	v_and_b32_e32 v3, 0xff, v68
	s_mov_b32 s43, exec_lo
	s_delay_alu instid0(VALU_DEP_1) | instskip(NEXT) | instid1(VALU_DEP_1)
	v_bfe_u32 v3, v3, 2, 5
	v_cmpx_eq_u32_e32 0, v3
	s_cbranch_execz .LBB6_5919
; %bb.5918:                             ;   in Loop: Header=BB6_5133 Depth=2
	v_clz_i32_u32_e32 v0, v0
	s_delay_alu instid0(VALU_DEP_1) | instskip(SKIP_1) | instid1(VALU_DEP_2)
	v_min_u32_e32 v0, 32, v0
	v_mov_b32_e32 v69, v25
	v_subrev_nc_u32_e32 v3, 29, v0
	s_delay_alu instid0(VALU_DEP_1) | instskip(SKIP_1) | instid1(VALU_DEP_2)
	v_lshlrev_b64_e32 v[4:5], v3, v[68:69]
	v_sub_nc_u32_e32 v3, 30, v0
	v_and_b32_e32 v0, 3, v4
.LBB6_5919:                             ;   in Loop: Header=BB6_5133 Depth=2
	s_or_b32 exec_lo, exec_lo, s43
	v_bfe_i32 v4, v68, 0, 16
                                        ; implicit-def: $vgpr68
	s_delay_alu instid0(VALU_DEP_1) | instskip(NEXT) | instid1(VALU_DEP_1)
	v_and_b32_e32 v4, 0x80000000, v4
	v_lshl_add_u32 v3, v3, 23, v4
	s_delay_alu instid0(VALU_DEP_1) | instskip(NEXT) | instid1(VALU_DEP_1)
	v_lshl_or_b32 v0, v0, 21, v3
	v_add_nc_u32_e32 v3, 0x38000000, v0
                                        ; implicit-def: $vgpr0
.LBB6_5920:                             ;   in Loop: Header=BB6_5133 Depth=2
	s_and_not1_saveexec_b32 s42, s42
; %bb.5921:                             ;   in Loop: Header=BB6_5133 Depth=2
	v_cmp_lt_i16_e32 vcc_lo, -1, v68
	v_cndmask_b32_e32 v3, 0xff800000, v44, vcc_lo
	v_cmp_eq_u32_e32 vcc_lo, 0, v0
	s_delay_alu instid0(VALU_DEP_2)
	v_cndmask_b32_e32 v3, 0x7f800001, v3, vcc_lo
; %bb.5922:                             ;   in Loop: Header=BB6_5133 Depth=2
	s_or_b32 exec_lo, exec_lo, s42
.LBB6_5923:                             ;   in Loop: Header=BB6_5133 Depth=2
	s_delay_alu instid0(SALU_CYCLE_1)
	s_or_b32 exec_lo, exec_lo, s11
.LBB6_5924:                             ;   in Loop: Header=BB6_5133 Depth=2
	s_delay_alu instid0(SALU_CYCLE_1) | instskip(NEXT) | instid1(VALU_DEP_1)
	s_or_b32 exec_lo, exec_lo, s10
	v_dual_max_num_f32 v0, v3, v3 :: v_dual_max_num_f32 v1, v1, v1
	s_delay_alu instid0(VALU_DEP_1)
	v_min_num_f32_e32 v1, v1, v0
.LBB6_5925:                             ;   in Loop: Header=BB6_5133 Depth=2
	s_delay_alu instid0(VALU_DEP_1) | instskip(SKIP_3) | instid1(VALU_DEP_2)
	v_and_b32_e32 v4, 0x7f800000, v1
	v_mov_b32_e32 v5, v25
	v_and_b32_e32 v24, 0x7fffff, v1
                                        ; implicit-def: $vgpr21
	s_mov_b32 s10, exec_lo
	v_cmpx_ne_u64_e32 0x7f800000, v[4:5]
	s_xor_b32 s11, exec_lo, s10
	s_cbranch_execz .LBB6_5943
; %bb.5926:                             ;   in Loop: Header=BB6_5133 Depth=2
	v_dual_mov_b32 v5, v25 :: v_dual_lshrrev_b32 v0, 24, v1
	v_and_b32_e32 v4, 0x7fffffff, v1
                                        ; implicit-def: $vgpr21
	s_mov_b32 s10, exec_lo
	s_delay_alu instid0(VALU_DEP_2) | instskip(NEXT) | instid1(VALU_DEP_2)
	v_and_b32_e32 v3, 0x80, v0
	v_cmpx_gt_u64_e32 0x47600001, v[4:5]
	s_xor_b32 s42, exec_lo, s10
	s_cbranch_execz .LBB6_5940
; %bb.5927:                             ;   in Loop: Header=BB6_5133 Depth=2
	v_mov_b32_e32 v21, 0
	s_mov_b32 s43, exec_lo
	v_cmpx_ne_u32_e32 0, v1
	s_cbranch_execz .LBB6_5939
; %bb.5928:                             ;   in Loop: Header=BB6_5133 Depth=2
	v_bfe_u32 v21, v1, 23, 8
	v_or_b32_e32 v1, 0x800000, v24
	s_delay_alu instid0(VALU_DEP_2) | instskip(SKIP_2) | instid1(VALU_DEP_2)
	v_cmp_gt_u32_e64 s10, 0x72, v21
	v_sub_nc_u32_e32 v0, 0x71, v21
	v_cmp_eq_u32_e32 vcc_lo, 0, v21
	v_cndmask_b32_e64 v0, 0, v0, s10
	s_delay_alu instid0(VALU_DEP_1) | instskip(NEXT) | instid1(VALU_DEP_1)
	v_cndmask_b32_e64 v23, v0, 0x70, vcc_lo
	v_dual_cndmask_b32 v24, v1, v24, vcc_lo :: v_dual_add_nc_u32 v0, 21, v23
	v_add_nc_u32_e32 v4, 20, v23
	s_delay_alu instid0(VALU_DEP_2) | instskip(NEXT) | instid1(VALU_DEP_2)
	v_lshlrev_b64_e64 v[0:1], v0, -1
	v_lshlrev_b64_e64 v[4:5], v4, 1
	s_delay_alu instid0(VALU_DEP_2) | instskip(NEXT) | instid1(VALU_DEP_3)
	v_bfi_b32 v1, v1, 0, 0
	v_bfi_b32 v0, v0, 0, v24
	s_delay_alu instid0(VALU_DEP_1) | instskip(SKIP_1) | instid1(VALU_DEP_1)
	v_cmp_eq_u64_e64 s10, v[0:1], v[4:5]
	v_lshrrev_b64 v[0:1], v23, v[24:25]
	v_mov_b64_e32 v[4:5], v[0:1]
	s_and_saveexec_b32 s44, s10
; %bb.5929:                             ;   in Loop: Header=BB6_5133 Depth=2
	v_bfe_u32 v24, v0, 21, 1
	s_delay_alu instid0(VALU_DEP_1) | instskip(NEXT) | instid1(VALU_DEP_1)
	v_add_nc_u64_e32 v[4:5], v[0:1], v[24:25]
	v_add_nc_u64_e32 v[4:5], -1, v[4:5]
; %bb.5930:                             ;   in Loop: Header=BB6_5133 Depth=2
	s_or_b32 exec_lo, exec_lo, s44
	v_add_nc_u32_e32 v1, 0xffffff81, v21
	v_lshrrev_b32_e32 v5, 23, v0
	s_mov_b32 s10, exec_lo
	s_delay_alu instid0(VALU_DEP_2) | instskip(NEXT) | instid1(VALU_DEP_1)
	v_cndmask_b32_e64 v1, v1, 0xffffff82, vcc_lo
	v_add3_u32 v5, v23, v1, v5
	v_and_b32_e32 v1, 0x1fffff, v4
                                        ; implicit-def: $vgpr4
	s_delay_alu instid0(VALU_DEP_1) | instskip(NEXT) | instid1(VALU_DEP_1)
	v_dual_add_nc_u32 v21, 14, v5 :: v_dual_add_nc_u32 v24, v1, v0
                                        ; implicit-def: $vgpr0_vgpr1
	v_cmpx_ne_u32_e32 0, v21
	s_xor_b32 s10, exec_lo, s10
; %bb.5931:                             ;   in Loop: Header=BB6_5133 Depth=2
	s_delay_alu instid0(VALU_DEP_2) | instskip(SKIP_1) | instid1(VALU_DEP_1)
	v_cmp_lt_u64_e32 vcc_lo, 0xffffff, v[24:25]
	v_add_nc_u32_e32 v0, 15, v5
	v_cndmask_b32_e32 v4, v21, v0, vcc_lo
	v_cndmask_b32_e64 v0, 0, 1, vcc_lo
	s_delay_alu instid0(VALU_DEP_1)
	v_lshrrev_b64 v[0:1], v0, v[24:25]
; %bb.5932:                             ;   in Loop: Header=BB6_5133 Depth=2
	s_and_not1_saveexec_b32 s10, s10
; %bb.5933:                             ;   in Loop: Header=BB6_5133 Depth=2
	v_mov_b64_e32 v[0:1], v[24:25]
	v_bfe_u32 v4, v24, 23, 1
; %bb.5934:                             ;   in Loop: Header=BB6_5133 Depth=2
	s_or_b32 exec_lo, exec_lo, s10
	s_delay_alu instid0(VALU_DEP_2) | instskip(NEXT) | instid1(VALU_DEP_2)
	v_lshrrev_b64 v[0:1], 21, v[0:1]
	v_cmp_gt_i32_e32 vcc_lo, 32, v4
	v_cmp_ne_u32_e64 s10, 0, v4
                                        ; implicit-def: $vgpr21
	s_delay_alu instid0(VALU_DEP_3) | instskip(NEXT) | instid1(VALU_DEP_1)
	v_dual_cndmask_b32 v1, 0, v1 :: v_dual_cndmask_b32 v0, 3, v0
	v_cmp_ne_u64_e32 vcc_lo, 0, v[0:1]
	s_or_b32 s10, s10, vcc_lo
	s_delay_alu instid0(SALU_CYCLE_1) | instskip(NEXT) | instid1(SALU_CYCLE_1)
	s_and_saveexec_b32 s44, s10
	s_xor_b32 s10, exec_lo, s44
; %bb.5935:                             ;   in Loop: Header=BB6_5133 Depth=2
	v_min_i32_e32 v1, 31, v4
	s_delay_alu instid0(VALU_DEP_1) | instskip(NEXT) | instid1(VALU_DEP_1)
	v_lshl_or_b32 v1, v1, 2, v3
                                        ; implicit-def: $vgpr3
	v_and_or_b32 v21, v0, 3, v1
; %bb.5936:                             ;   in Loop: Header=BB6_5133 Depth=2
	s_and_not1_saveexec_b32 s10, s10
; %bb.5937:                             ;   in Loop: Header=BB6_5133 Depth=2
	v_mov_b32_e32 v21, v3
; %bb.5938:                             ;   in Loop: Header=BB6_5133 Depth=2
	s_or_b32 exec_lo, exec_lo, s10
.LBB6_5939:                             ;   in Loop: Header=BB6_5133 Depth=2
	s_delay_alu instid0(SALU_CYCLE_1)
	s_or_b32 exec_lo, exec_lo, s43
                                        ; implicit-def: $vgpr3
.LBB6_5940:                             ;   in Loop: Header=BB6_5133 Depth=2
	s_and_not1_saveexec_b32 s10, s42
; %bb.5941:                             ;   in Loop: Header=BB6_5133 Depth=2
	v_or_b32_e32 v21, 0x7b, v3
; %bb.5942:                             ;   in Loop: Header=BB6_5133 Depth=2
	s_or_b32 exec_lo, exec_lo, s10
                                        ; implicit-def: $vgpr1
.LBB6_5943:                             ;   in Loop: Header=BB6_5133 Depth=2
	s_and_not1_saveexec_b32 s10, s11
	s_cbranch_execz .LBB6_5949
; %bb.5944:                             ;   in Loop: Header=BB6_5133 Depth=2
	s_mov_b32 s11, exec_lo
                                        ; implicit-def: $vgpr21
	v_cmpx_ne_u64_e32 0, v[24:25]
	s_xor_b32 s11, exec_lo, s11
; %bb.5945:                             ;   in Loop: Header=BB6_5133 Depth=2
	v_lshrrev_b32_e32 v0, 24, v1
                                        ; implicit-def: $vgpr1
	s_delay_alu instid0(VALU_DEP_1)
	v_or_b32_e32 v21, 0x7f, v0
; %bb.5946:                             ;   in Loop: Header=BB6_5133 Depth=2
	s_and_not1_saveexec_b32 s11, s11
; %bb.5947:                             ;   in Loop: Header=BB6_5133 Depth=2
	v_cmp_lt_i32_e32 vcc_lo, -1, v1
	v_cndmask_b32_e64 v21, -4, 0x7c, vcc_lo
; %bb.5948:                             ;   in Loop: Header=BB6_5133 Depth=2
	s_or_b32 exec_lo, exec_lo, s11
.LBB6_5949:                             ;   in Loop: Header=BB6_5133 Depth=2
	s_delay_alu instid0(SALU_CYCLE_1)
	s_or_b32 exec_lo, exec_lo, s10
	v_and_b32_e32 v0, 0xff, v66
	v_cmp_ne_u16_e64 s10, 0, v66
	s_and_not1_b32 vcc_lo, exec_lo, s15
	s_mov_b32 s11, -1
                                        ; implicit-def: $vgpr1
	s_cbranch_vccnz .LBB6_5971
; %bb.5950:                             ;   in Loop: Header=BB6_5133 Depth=2
	v_dual_mov_b32 v3, 0 :: v_dual_mov_b32 v1, 0
	s_and_saveexec_b32 s11, s10
	s_cbranch_execz .LBB6_5960
; %bb.5951:                             ;   in Loop: Header=BB6_5133 Depth=2
	v_bfrev_b32_e32 v1, 1
	s_mov_b32 s42, exec_lo
	v_cmpx_ne_u16_e32 0xff80, v66
	s_cbranch_execz .LBB6_5959
; %bb.5952:                             ;   in Loop: Header=BB6_5133 Depth=2
	v_and_b32_e32 v1, 0x7c, v0
	v_and_b32_e32 v4, 3, v0
	s_delay_alu instid0(VALU_DEP_2) | instskip(SKIP_1) | instid1(SALU_CYCLE_1)
	v_cmp_ne_u32_e32 vcc_lo, 0x7c, v1
                                        ; implicit-def: $vgpr1
	s_and_saveexec_b32 s43, vcc_lo
	s_xor_b32 s43, exec_lo, s43
	s_cbranch_execz .LBB6_5956
; %bb.5953:                             ;   in Loop: Header=BB6_5133 Depth=2
	v_bfe_u32 v1, v0, 2, 5
	s_mov_b32 s44, exec_lo
	s_delay_alu instid0(VALU_DEP_1)
	v_cmpx_eq_u32_e32 0, v1
	s_cbranch_execz .LBB6_5955
; %bb.5954:                             ;   in Loop: Header=BB6_5133 Depth=2
	v_clz_i32_u32_e32 v1, v4
	s_delay_alu instid0(VALU_DEP_1) | instskip(SKIP_1) | instid1(VALU_DEP_2)
	v_min_u32_e32 v1, 32, v1
	v_mov_b32_e32 v67, v25
	v_subrev_nc_u32_e32 v4, 29, v1
	v_sub_nc_u32_e32 v1, 30, v1
	s_delay_alu instid0(VALU_DEP_2) | instskip(NEXT) | instid1(VALU_DEP_1)
	v_lshlrev_b64_e32 v[4:5], v4, v[66:67]
	v_and_b32_e32 v4, 3, v4
.LBB6_5955:                             ;   in Loop: Header=BB6_5133 Depth=2
	s_or_b32 exec_lo, exec_lo, s44
	v_bfe_i32 v5, v66, 0, 16
	s_delay_alu instid0(VALU_DEP_1) | instskip(NEXT) | instid1(VALU_DEP_1)
	v_and_b32_e32 v5, 0x80000000, v5
	v_lshl_add_u32 v1, v1, 23, v5
	s_delay_alu instid0(VALU_DEP_1) | instskip(NEXT) | instid1(VALU_DEP_1)
	v_lshl_or_b32 v1, v4, 21, v1
                                        ; implicit-def: $vgpr4
	v_add_nc_u32_e32 v1, 0x38000000, v1
.LBB6_5956:                             ;   in Loop: Header=BB6_5133 Depth=2
	s_and_not1_saveexec_b32 s43, s43
; %bb.5957:                             ;   in Loop: Header=BB6_5133 Depth=2
	v_cmp_lt_i16_e32 vcc_lo, -1, v66
	v_cndmask_b32_e32 v1, 0xff800000, v44, vcc_lo
	v_cmp_eq_u32_e32 vcc_lo, 0, v4
	s_delay_alu instid0(VALU_DEP_2)
	v_cndmask_b32_e32 v1, 0x7f800001, v1, vcc_lo
; %bb.5958:                             ;   in Loop: Header=BB6_5133 Depth=2
	s_or_b32 exec_lo, exec_lo, s43
.LBB6_5959:                             ;   in Loop: Header=BB6_5133 Depth=2
	s_delay_alu instid0(SALU_CYCLE_1)
	s_or_b32 exec_lo, exec_lo, s42
.LBB6_5960:                             ;   in Loop: Header=BB6_5133 Depth=2
	s_delay_alu instid0(SALU_CYCLE_1) | instskip(NEXT) | instid1(SALU_CYCLE_1)
	s_or_b32 exec_lo, exec_lo, s11
	s_mov_b32 s11, exec_lo
	v_cmpx_ne_u16_e32 0, v30
	s_cbranch_execz .LBB6_5970
; %bb.5961:                             ;   in Loop: Header=BB6_5133 Depth=2
	v_bfrev_b32_e32 v3, 1
	s_mov_b32 s42, exec_lo
	v_cmpx_ne_u16_e32 0xff80, v30
	s_cbranch_execz .LBB6_5969
; %bb.5962:                             ;   in Loop: Header=BB6_5133 Depth=2
	v_and_b32_e32 v3, 0x7c, v30
	v_and_b32_e32 v4, 3, v30
	s_delay_alu instid0(VALU_DEP_2) | instskip(SKIP_1) | instid1(SALU_CYCLE_1)
	v_cmp_ne_u32_e32 vcc_lo, 0x7c, v3
                                        ; implicit-def: $vgpr3
	s_and_saveexec_b32 s43, vcc_lo
	s_xor_b32 s43, exec_lo, s43
	s_cbranch_execz .LBB6_5966
; %bb.5963:                             ;   in Loop: Header=BB6_5133 Depth=2
	v_and_b32_e32 v3, 0xff, v30
	s_mov_b32 s44, exec_lo
	s_delay_alu instid0(VALU_DEP_1) | instskip(NEXT) | instid1(VALU_DEP_1)
	v_bfe_u32 v3, v3, 2, 5
	v_cmpx_eq_u32_e32 0, v3
	s_cbranch_execz .LBB6_5965
; %bb.5964:                             ;   in Loop: Header=BB6_5133 Depth=2
	v_clz_i32_u32_e32 v3, v4
	s_delay_alu instid0(VALU_DEP_1) | instskip(SKIP_1) | instid1(VALU_DEP_2)
	v_min_u32_e32 v3, 32, v3
	v_mov_b32_e32 v31, v25
	v_subrev_nc_u32_e32 v4, 29, v3
	v_sub_nc_u32_e32 v3, 30, v3
	s_delay_alu instid0(VALU_DEP_2) | instskip(NEXT) | instid1(VALU_DEP_1)
	v_lshlrev_b64_e32 v[4:5], v4, v[30:31]
	v_and_b32_e32 v4, 3, v4
.LBB6_5965:                             ;   in Loop: Header=BB6_5133 Depth=2
	s_or_b32 exec_lo, exec_lo, s44
	v_bfe_i32 v5, v30, 0, 16
	s_delay_alu instid0(VALU_DEP_1) | instskip(NEXT) | instid1(VALU_DEP_1)
	v_and_b32_e32 v5, 0x80000000, v5
	v_lshl_add_u32 v3, v3, 23, v5
	s_delay_alu instid0(VALU_DEP_1) | instskip(NEXT) | instid1(VALU_DEP_1)
	v_lshl_or_b32 v3, v4, 21, v3
                                        ; implicit-def: $vgpr4
	v_add_nc_u32_e32 v3, 0x38000000, v3
.LBB6_5966:                             ;   in Loop: Header=BB6_5133 Depth=2
	s_and_not1_saveexec_b32 s43, s43
; %bb.5967:                             ;   in Loop: Header=BB6_5133 Depth=2
	v_cmp_lt_i16_e32 vcc_lo, -1, v30
	v_cndmask_b32_e32 v3, 0xff800000, v44, vcc_lo
	v_cmp_eq_u32_e32 vcc_lo, 0, v4
	s_delay_alu instid0(VALU_DEP_2)
	v_cndmask_b32_e32 v3, 0x7f800001, v3, vcc_lo
; %bb.5968:                             ;   in Loop: Header=BB6_5133 Depth=2
	s_or_b32 exec_lo, exec_lo, s43
.LBB6_5969:                             ;   in Loop: Header=BB6_5133 Depth=2
	s_delay_alu instid0(SALU_CYCLE_1)
	s_or_b32 exec_lo, exec_lo, s42
.LBB6_5970:                             ;   in Loop: Header=BB6_5133 Depth=2
	s_delay_alu instid0(SALU_CYCLE_1) | instskip(NEXT) | instid1(VALU_DEP_1)
	s_or_b32 exec_lo, exec_lo, s11
	v_dual_max_num_f32 v3, v3, v3 :: v_dual_max_num_f32 v1, v1, v1
	s_mov_b32 s11, 0
	s_delay_alu instid0(VALU_DEP_1)
	v_max_num_f32_e32 v1, v1, v3
.LBB6_5971:                             ;   in Loop: Header=BB6_5133 Depth=2
	s_and_b32 vcc_lo, exec_lo, s11
	s_cbranch_vccz .LBB6_5993
; %bb.5972:                             ;   in Loop: Header=BB6_5133 Depth=2
	v_dual_mov_b32 v3, 0 :: v_dual_mov_b32 v1, 0
	s_and_saveexec_b32 s11, s10
	s_cbranch_execz .LBB6_5982
; %bb.5973:                             ;   in Loop: Header=BB6_5133 Depth=2
	v_bfrev_b32_e32 v1, 1
	s_mov_b32 s10, exec_lo
	v_cmpx_ne_u16_e32 0xff80, v66
	s_cbranch_execz .LBB6_5981
; %bb.5974:                             ;   in Loop: Header=BB6_5133 Depth=2
	v_and_b32_e32 v1, 0x7c, v0
	v_and_b32_e32 v4, 3, v0
	s_delay_alu instid0(VALU_DEP_2) | instskip(SKIP_1) | instid1(SALU_CYCLE_1)
	v_cmp_ne_u32_e32 vcc_lo, 0x7c, v1
                                        ; implicit-def: $vgpr1
	s_and_saveexec_b32 s42, vcc_lo
	s_xor_b32 s42, exec_lo, s42
	s_cbranch_execz .LBB6_5978
; %bb.5975:                             ;   in Loop: Header=BB6_5133 Depth=2
	v_bfe_u32 v0, v0, 2, 5
	s_mov_b32 s43, exec_lo
	s_delay_alu instid0(VALU_DEP_1)
	v_cmpx_eq_u32_e32 0, v0
	s_cbranch_execz .LBB6_5977
; %bb.5976:                             ;   in Loop: Header=BB6_5133 Depth=2
	v_clz_i32_u32_e32 v0, v4
	s_delay_alu instid0(VALU_DEP_1) | instskip(SKIP_1) | instid1(VALU_DEP_2)
	v_min_u32_e32 v0, 32, v0
	v_mov_b32_e32 v67, v25
	v_subrev_nc_u32_e32 v1, 29, v0
	v_sub_nc_u32_e32 v0, 30, v0
	s_delay_alu instid0(VALU_DEP_2) | instskip(NEXT) | instid1(VALU_DEP_1)
	v_lshlrev_b64_e32 v[4:5], v1, v[66:67]
	v_and_b32_e32 v4, 3, v4
.LBB6_5977:                             ;   in Loop: Header=BB6_5133 Depth=2
	s_or_b32 exec_lo, exec_lo, s43
	v_bfe_i32 v1, v66, 0, 16
                                        ; implicit-def: $vgpr66
	s_delay_alu instid0(VALU_DEP_1) | instskip(NEXT) | instid1(VALU_DEP_1)
	v_and_b32_e32 v1, 0x80000000, v1
	v_lshl_add_u32 v0, v0, 23, v1
	s_delay_alu instid0(VALU_DEP_1) | instskip(NEXT) | instid1(VALU_DEP_1)
	v_lshl_or_b32 v0, v4, 21, v0
                                        ; implicit-def: $vgpr4
	v_add_nc_u32_e32 v1, 0x38000000, v0
.LBB6_5978:                             ;   in Loop: Header=BB6_5133 Depth=2
	s_and_not1_saveexec_b32 s42, s42
; %bb.5979:                             ;   in Loop: Header=BB6_5133 Depth=2
	v_cmp_lt_i16_e32 vcc_lo, -1, v66
	v_cndmask_b32_e32 v0, 0xff800000, v44, vcc_lo
	v_cmp_eq_u32_e32 vcc_lo, 0, v4
	s_delay_alu instid0(VALU_DEP_2)
	v_cndmask_b32_e32 v1, 0x7f800001, v0, vcc_lo
; %bb.5980:                             ;   in Loop: Header=BB6_5133 Depth=2
	s_or_b32 exec_lo, exec_lo, s42
.LBB6_5981:                             ;   in Loop: Header=BB6_5133 Depth=2
	s_delay_alu instid0(SALU_CYCLE_1)
	s_or_b32 exec_lo, exec_lo, s10
.LBB6_5982:                             ;   in Loop: Header=BB6_5133 Depth=2
	s_delay_alu instid0(SALU_CYCLE_1) | instskip(NEXT) | instid1(SALU_CYCLE_1)
	s_or_b32 exec_lo, exec_lo, s11
	s_mov_b32 s10, exec_lo
	v_cmpx_ne_u16_e32 0, v30
	s_cbranch_execz .LBB6_5992
; %bb.5983:                             ;   in Loop: Header=BB6_5133 Depth=2
	v_bfrev_b32_e32 v3, 1
	s_mov_b32 s11, exec_lo
	v_cmpx_ne_u16_e32 0xff80, v30
	s_cbranch_execz .LBB6_5991
; %bb.5984:                             ;   in Loop: Header=BB6_5133 Depth=2
	v_and_b32_e32 v3, 0x7c, v30
	v_and_b32_e32 v0, 3, v30
	s_delay_alu instid0(VALU_DEP_2) | instskip(SKIP_1) | instid1(SALU_CYCLE_1)
	v_cmp_ne_u32_e32 vcc_lo, 0x7c, v3
                                        ; implicit-def: $vgpr3
	s_and_saveexec_b32 s42, vcc_lo
	s_xor_b32 s42, exec_lo, s42
	s_cbranch_execz .LBB6_5988
; %bb.5985:                             ;   in Loop: Header=BB6_5133 Depth=2
	v_and_b32_e32 v3, 0xff, v30
	s_mov_b32 s43, exec_lo
	s_delay_alu instid0(VALU_DEP_1) | instskip(NEXT) | instid1(VALU_DEP_1)
	v_bfe_u32 v3, v3, 2, 5
	v_cmpx_eq_u32_e32 0, v3
	s_cbranch_execz .LBB6_5987
; %bb.5986:                             ;   in Loop: Header=BB6_5133 Depth=2
	v_clz_i32_u32_e32 v0, v0
	s_delay_alu instid0(VALU_DEP_1) | instskip(SKIP_1) | instid1(VALU_DEP_2)
	v_min_u32_e32 v0, 32, v0
	v_mov_b32_e32 v31, v25
	v_subrev_nc_u32_e32 v3, 29, v0
	s_delay_alu instid0(VALU_DEP_1) | instskip(SKIP_1) | instid1(VALU_DEP_2)
	v_lshlrev_b64_e32 v[4:5], v3, v[30:31]
	v_sub_nc_u32_e32 v3, 30, v0
	v_and_b32_e32 v0, 3, v4
.LBB6_5987:                             ;   in Loop: Header=BB6_5133 Depth=2
	s_or_b32 exec_lo, exec_lo, s43
	v_bfe_i32 v4, v30, 0, 16
                                        ; implicit-def: $vgpr30
	s_delay_alu instid0(VALU_DEP_1) | instskip(NEXT) | instid1(VALU_DEP_1)
	v_and_b32_e32 v4, 0x80000000, v4
	v_lshl_add_u32 v3, v3, 23, v4
	s_delay_alu instid0(VALU_DEP_1) | instskip(NEXT) | instid1(VALU_DEP_1)
	v_lshl_or_b32 v0, v0, 21, v3
	v_add_nc_u32_e32 v3, 0x38000000, v0
                                        ; implicit-def: $vgpr0
.LBB6_5988:                             ;   in Loop: Header=BB6_5133 Depth=2
	s_and_not1_saveexec_b32 s42, s42
; %bb.5989:                             ;   in Loop: Header=BB6_5133 Depth=2
	v_cmp_lt_i16_e32 vcc_lo, -1, v30
	v_cndmask_b32_e32 v3, 0xff800000, v44, vcc_lo
	v_cmp_eq_u32_e32 vcc_lo, 0, v0
	s_delay_alu instid0(VALU_DEP_2)
	v_cndmask_b32_e32 v3, 0x7f800001, v3, vcc_lo
; %bb.5990:                             ;   in Loop: Header=BB6_5133 Depth=2
	s_or_b32 exec_lo, exec_lo, s42
.LBB6_5991:                             ;   in Loop: Header=BB6_5133 Depth=2
	s_delay_alu instid0(SALU_CYCLE_1)
	s_or_b32 exec_lo, exec_lo, s11
.LBB6_5992:                             ;   in Loop: Header=BB6_5133 Depth=2
	s_delay_alu instid0(SALU_CYCLE_1) | instskip(NEXT) | instid1(VALU_DEP_1)
	s_or_b32 exec_lo, exec_lo, s10
	v_dual_max_num_f32 v0, v3, v3 :: v_dual_max_num_f32 v1, v1, v1
	s_delay_alu instid0(VALU_DEP_1)
	v_min_num_f32_e32 v1, v1, v0
.LBB6_5993:                             ;   in Loop: Header=BB6_5133 Depth=2
	s_delay_alu instid0(VALU_DEP_1) | instskip(SKIP_2) | instid1(VALU_DEP_2)
	v_and_b32_e32 v4, 0x7f800000, v1
	v_mov_b32_e32 v5, v25
	v_and_b32_e32 v24, 0x7fffff, v1
                                        ; implicit-def: $vgpr28
	v_cmp_ne_u64_e32 vcc_lo, 0x7f800000, v[4:5]
	s_mov_b32 s10, exec_lo
	scratch_load_b64 v[66:67], off, s33 offset:252 ; 8-byte Folded Reload
	s_and_b32 s42, s10, vcc_lo
	s_delay_alu instid0(SALU_CYCLE_1)
	s_xor_b32 s11, s42, s10
	s_wait_xcnt 0x0
	s_mov_b32 exec_lo, s42
	s_cbranch_execz .LBB6_6011
; %bb.5994:                             ;   in Loop: Header=BB6_5133 Depth=2
	v_dual_mov_b32 v5, v25 :: v_dual_lshrrev_b32 v0, 24, v1
	v_and_b32_e32 v4, 0x7fffffff, v1
                                        ; implicit-def: $vgpr28
	s_mov_b32 s10, exec_lo
	s_delay_alu instid0(VALU_DEP_2) | instskip(NEXT) | instid1(VALU_DEP_2)
	v_and_b32_e32 v3, 0x80, v0
	v_cmpx_gt_u64_e32 0x47600001, v[4:5]
	s_xor_b32 s42, exec_lo, s10
	s_cbranch_execz .LBB6_6008
; %bb.5995:                             ;   in Loop: Header=BB6_5133 Depth=2
	v_mov_b32_e32 v28, 0
	s_mov_b32 s43, exec_lo
	v_cmpx_ne_u32_e32 0, v1
	s_cbranch_execz .LBB6_6007
; %bb.5996:                             ;   in Loop: Header=BB6_5133 Depth=2
	v_bfe_u32 v23, v1, 23, 8
	v_or_b32_e32 v1, 0x800000, v24
	s_delay_alu instid0(VALU_DEP_2) | instskip(SKIP_2) | instid1(VALU_DEP_2)
	v_cmp_gt_u32_e64 s10, 0x72, v23
	v_sub_nc_u32_e32 v0, 0x71, v23
	v_cmp_eq_u32_e32 vcc_lo, 0, v23
	v_cndmask_b32_e64 v0, 0, v0, s10
	s_delay_alu instid0(VALU_DEP_1) | instskip(NEXT) | instid1(VALU_DEP_1)
	v_cndmask_b32_e64 v27, v0, 0x70, vcc_lo
	v_dual_cndmask_b32 v24, v1, v24, vcc_lo :: v_dual_add_nc_u32 v0, 21, v27
	v_add_nc_u32_e32 v4, 20, v27
	s_delay_alu instid0(VALU_DEP_2) | instskip(NEXT) | instid1(VALU_DEP_2)
	v_lshlrev_b64_e64 v[0:1], v0, -1
	v_lshlrev_b64_e64 v[4:5], v4, 1
	s_delay_alu instid0(VALU_DEP_2) | instskip(NEXT) | instid1(VALU_DEP_3)
	v_bfi_b32 v1, v1, 0, 0
	v_bfi_b32 v0, v0, 0, v24
	s_delay_alu instid0(VALU_DEP_1) | instskip(SKIP_1) | instid1(VALU_DEP_1)
	v_cmp_eq_u64_e64 s10, v[0:1], v[4:5]
	v_lshrrev_b64 v[0:1], v27, v[24:25]
	v_mov_b64_e32 v[4:5], v[0:1]
	s_and_saveexec_b32 s44, s10
; %bb.5997:                             ;   in Loop: Header=BB6_5133 Depth=2
	v_bfe_u32 v24, v0, 21, 1
	s_delay_alu instid0(VALU_DEP_1) | instskip(NEXT) | instid1(VALU_DEP_1)
	v_add_nc_u64_e32 v[4:5], v[0:1], v[24:25]
	v_add_nc_u64_e32 v[4:5], -1, v[4:5]
; %bb.5998:                             ;   in Loop: Header=BB6_5133 Depth=2
	s_or_b32 exec_lo, exec_lo, s44
	v_add_nc_u32_e32 v1, 0xffffff81, v23
	v_lshrrev_b32_e32 v5, 23, v0
	s_mov_b32 s10, exec_lo
	s_delay_alu instid0(VALU_DEP_2) | instskip(NEXT) | instid1(VALU_DEP_1)
	v_cndmask_b32_e64 v1, v1, 0xffffff82, vcc_lo
	v_add3_u32 v5, v27, v1, v5
	v_and_b32_e32 v1, 0x1fffff, v4
                                        ; implicit-def: $vgpr4
	s_delay_alu instid0(VALU_DEP_1) | instskip(NEXT) | instid1(VALU_DEP_1)
	v_dual_add_nc_u32 v23, 14, v5 :: v_dual_add_nc_u32 v24, v1, v0
                                        ; implicit-def: $vgpr0_vgpr1
	v_cmpx_ne_u32_e32 0, v23
	s_xor_b32 s10, exec_lo, s10
; %bb.5999:                             ;   in Loop: Header=BB6_5133 Depth=2
	s_delay_alu instid0(VALU_DEP_2) | instskip(SKIP_1) | instid1(VALU_DEP_1)
	v_cmp_lt_u64_e32 vcc_lo, 0xffffff, v[24:25]
	v_add_nc_u32_e32 v0, 15, v5
	v_cndmask_b32_e32 v4, v23, v0, vcc_lo
	v_cndmask_b32_e64 v0, 0, 1, vcc_lo
	s_delay_alu instid0(VALU_DEP_1)
	v_lshrrev_b64 v[0:1], v0, v[24:25]
; %bb.6000:                             ;   in Loop: Header=BB6_5133 Depth=2
	s_and_not1_saveexec_b32 s10, s10
; %bb.6001:                             ;   in Loop: Header=BB6_5133 Depth=2
	v_mov_b64_e32 v[0:1], v[24:25]
	v_bfe_u32 v4, v24, 23, 1
; %bb.6002:                             ;   in Loop: Header=BB6_5133 Depth=2
	s_or_b32 exec_lo, exec_lo, s10
	s_delay_alu instid0(VALU_DEP_2) | instskip(NEXT) | instid1(VALU_DEP_2)
	v_lshrrev_b64 v[0:1], 21, v[0:1]
	v_cmp_gt_i32_e32 vcc_lo, 32, v4
	v_cmp_ne_u32_e64 s10, 0, v4
                                        ; implicit-def: $vgpr28
	s_delay_alu instid0(VALU_DEP_3) | instskip(NEXT) | instid1(VALU_DEP_1)
	v_dual_cndmask_b32 v1, 0, v1 :: v_dual_cndmask_b32 v0, 3, v0
	v_cmp_ne_u64_e32 vcc_lo, 0, v[0:1]
	s_or_b32 s10, s10, vcc_lo
	s_delay_alu instid0(SALU_CYCLE_1) | instskip(NEXT) | instid1(SALU_CYCLE_1)
	s_and_saveexec_b32 s44, s10
	s_xor_b32 s10, exec_lo, s44
; %bb.6003:                             ;   in Loop: Header=BB6_5133 Depth=2
	v_min_i32_e32 v1, 31, v4
	s_delay_alu instid0(VALU_DEP_1) | instskip(NEXT) | instid1(VALU_DEP_1)
	v_lshl_or_b32 v1, v1, 2, v3
                                        ; implicit-def: $vgpr3
	v_and_or_b32 v28, v0, 3, v1
; %bb.6004:                             ;   in Loop: Header=BB6_5133 Depth=2
	s_and_not1_saveexec_b32 s10, s10
; %bb.6005:                             ;   in Loop: Header=BB6_5133 Depth=2
	v_mov_b32_e32 v28, v3
; %bb.6006:                             ;   in Loop: Header=BB6_5133 Depth=2
	s_or_b32 exec_lo, exec_lo, s10
.LBB6_6007:                             ;   in Loop: Header=BB6_5133 Depth=2
	s_delay_alu instid0(SALU_CYCLE_1)
	s_or_b32 exec_lo, exec_lo, s43
                                        ; implicit-def: $vgpr3
.LBB6_6008:                             ;   in Loop: Header=BB6_5133 Depth=2
	s_and_not1_saveexec_b32 s10, s42
; %bb.6009:                             ;   in Loop: Header=BB6_5133 Depth=2
	v_or_b32_e32 v28, 0x7b, v3
; %bb.6010:                             ;   in Loop: Header=BB6_5133 Depth=2
	s_or_b32 exec_lo, exec_lo, s10
                                        ; implicit-def: $vgpr1
.LBB6_6011:                             ;   in Loop: Header=BB6_5133 Depth=2
	s_and_not1_saveexec_b32 s10, s11
	s_cbranch_execz .LBB6_6017
; %bb.6012:                             ;   in Loop: Header=BB6_5133 Depth=2
	s_mov_b32 s11, exec_lo
                                        ; implicit-def: $vgpr28
	v_cmpx_ne_u64_e32 0, v[24:25]
	s_xor_b32 s11, exec_lo, s11
; %bb.6013:                             ;   in Loop: Header=BB6_5133 Depth=2
	v_lshrrev_b32_e32 v0, 24, v1
                                        ; implicit-def: $vgpr1
	s_delay_alu instid0(VALU_DEP_1)
	v_or_b32_e32 v28, 0x7f, v0
; %bb.6014:                             ;   in Loop: Header=BB6_5133 Depth=2
	s_and_not1_saveexec_b32 s11, s11
; %bb.6015:                             ;   in Loop: Header=BB6_5133 Depth=2
	v_cmp_lt_i32_e32 vcc_lo, -1, v1
	v_cndmask_b32_e64 v28, -4, 0x7c, vcc_lo
; %bb.6016:                             ;   in Loop: Header=BB6_5133 Depth=2
	s_or_b32 exec_lo, exec_lo, s11
.LBB6_6017:                             ;   in Loop: Header=BB6_5133 Depth=2
	s_delay_alu instid0(SALU_CYCLE_1)
	s_or_b32 exec_lo, exec_lo, s10
	v_and_b32_e32 v0, 0xff, v54
	v_cmp_ne_u16_e64 s10, 0, v54
	s_and_not1_b32 vcc_lo, exec_lo, s15
	s_mov_b32 s11, -1
                                        ; implicit-def: $vgpr1
	s_cbranch_vccnz .LBB6_6039
; %bb.6018:                             ;   in Loop: Header=BB6_5133 Depth=2
	v_dual_mov_b32 v3, 0 :: v_dual_mov_b32 v1, 0
	s_and_saveexec_b32 s11, s10
	s_cbranch_execz .LBB6_6028
; %bb.6019:                             ;   in Loop: Header=BB6_5133 Depth=2
	v_bfrev_b32_e32 v1, 1
	s_mov_b32 s42, exec_lo
	v_cmpx_ne_u16_e32 0xff80, v54
	s_cbranch_execz .LBB6_6027
; %bb.6020:                             ;   in Loop: Header=BB6_5133 Depth=2
	v_and_b32_e32 v1, 0x7c, v0
	v_and_b32_e32 v4, 3, v0
	s_delay_alu instid0(VALU_DEP_2) | instskip(SKIP_1) | instid1(SALU_CYCLE_1)
	v_cmp_ne_u32_e32 vcc_lo, 0x7c, v1
                                        ; implicit-def: $vgpr1
	s_and_saveexec_b32 s43, vcc_lo
	s_xor_b32 s43, exec_lo, s43
	s_cbranch_execz .LBB6_6024
; %bb.6021:                             ;   in Loop: Header=BB6_5133 Depth=2
	v_bfe_u32 v1, v0, 2, 5
	s_mov_b32 s44, exec_lo
	s_delay_alu instid0(VALU_DEP_1)
	v_cmpx_eq_u32_e32 0, v1
	s_cbranch_execz .LBB6_6023
; %bb.6022:                             ;   in Loop: Header=BB6_5133 Depth=2
	v_clz_i32_u32_e32 v1, v4
	s_delay_alu instid0(VALU_DEP_1) | instskip(SKIP_1) | instid1(VALU_DEP_2)
	v_min_u32_e32 v1, 32, v1
	v_mov_b32_e32 v55, v25
	v_subrev_nc_u32_e32 v4, 29, v1
	v_sub_nc_u32_e32 v1, 30, v1
	s_delay_alu instid0(VALU_DEP_2) | instskip(NEXT) | instid1(VALU_DEP_1)
	v_lshlrev_b64_e32 v[4:5], v4, v[54:55]
	v_and_b32_e32 v4, 3, v4
.LBB6_6023:                             ;   in Loop: Header=BB6_5133 Depth=2
	s_or_b32 exec_lo, exec_lo, s44
	v_bfe_i32 v5, v54, 0, 16
	s_delay_alu instid0(VALU_DEP_1) | instskip(NEXT) | instid1(VALU_DEP_1)
	v_and_b32_e32 v5, 0x80000000, v5
	v_lshl_add_u32 v1, v1, 23, v5
	s_delay_alu instid0(VALU_DEP_1) | instskip(NEXT) | instid1(VALU_DEP_1)
	v_lshl_or_b32 v1, v4, 21, v1
                                        ; implicit-def: $vgpr4
	v_add_nc_u32_e32 v1, 0x38000000, v1
.LBB6_6024:                             ;   in Loop: Header=BB6_5133 Depth=2
	s_and_not1_saveexec_b32 s43, s43
; %bb.6025:                             ;   in Loop: Header=BB6_5133 Depth=2
	v_cmp_lt_i16_e32 vcc_lo, -1, v54
	v_cndmask_b32_e32 v1, 0xff800000, v44, vcc_lo
	v_cmp_eq_u32_e32 vcc_lo, 0, v4
	s_delay_alu instid0(VALU_DEP_2)
	v_cndmask_b32_e32 v1, 0x7f800001, v1, vcc_lo
; %bb.6026:                             ;   in Loop: Header=BB6_5133 Depth=2
	s_or_b32 exec_lo, exec_lo, s43
.LBB6_6027:                             ;   in Loop: Header=BB6_5133 Depth=2
	s_delay_alu instid0(SALU_CYCLE_1)
	s_or_b32 exec_lo, exec_lo, s42
.LBB6_6028:                             ;   in Loop: Header=BB6_5133 Depth=2
	s_delay_alu instid0(SALU_CYCLE_1) | instskip(NEXT) | instid1(SALU_CYCLE_1)
	s_or_b32 exec_lo, exec_lo, s11
	s_mov_b32 s11, exec_lo
	v_cmpx_ne_u16_e32 0, v98
	s_cbranch_execz .LBB6_6038
; %bb.6029:                             ;   in Loop: Header=BB6_5133 Depth=2
	v_bfrev_b32_e32 v3, 1
	s_mov_b32 s42, exec_lo
	v_cmpx_ne_u16_e32 0xff80, v98
	s_cbranch_execz .LBB6_6037
; %bb.6030:                             ;   in Loop: Header=BB6_5133 Depth=2
	v_and_b32_e32 v3, 0x7c, v98
	v_and_b32_e32 v4, 3, v98
	s_delay_alu instid0(VALU_DEP_2) | instskip(SKIP_1) | instid1(SALU_CYCLE_1)
	v_cmp_ne_u32_e32 vcc_lo, 0x7c, v3
                                        ; implicit-def: $vgpr3
	s_and_saveexec_b32 s43, vcc_lo
	s_xor_b32 s43, exec_lo, s43
	s_cbranch_execz .LBB6_6034
; %bb.6031:                             ;   in Loop: Header=BB6_5133 Depth=2
	v_and_b32_e32 v3, 0xff, v98
	s_mov_b32 s44, exec_lo
	s_delay_alu instid0(VALU_DEP_1) | instskip(NEXT) | instid1(VALU_DEP_1)
	v_bfe_u32 v3, v3, 2, 5
	v_cmpx_eq_u32_e32 0, v3
	s_cbranch_execz .LBB6_6033
; %bb.6032:                             ;   in Loop: Header=BB6_5133 Depth=2
	v_clz_i32_u32_e32 v3, v4
	s_delay_alu instid0(VALU_DEP_1) | instskip(SKIP_1) | instid1(VALU_DEP_2)
	v_min_u32_e32 v3, 32, v3
	v_mov_b32_e32 v99, v25
	v_subrev_nc_u32_e32 v4, 29, v3
	v_sub_nc_u32_e32 v3, 30, v3
	s_delay_alu instid0(VALU_DEP_2) | instskip(NEXT) | instid1(VALU_DEP_1)
	v_lshlrev_b64_e32 v[4:5], v4, v[98:99]
	v_and_b32_e32 v4, 3, v4
.LBB6_6033:                             ;   in Loop: Header=BB6_5133 Depth=2
	s_or_b32 exec_lo, exec_lo, s44
	v_bfe_i32 v5, v98, 0, 16
	s_delay_alu instid0(VALU_DEP_1) | instskip(NEXT) | instid1(VALU_DEP_1)
	v_and_b32_e32 v5, 0x80000000, v5
	v_lshl_add_u32 v3, v3, 23, v5
	s_delay_alu instid0(VALU_DEP_1) | instskip(NEXT) | instid1(VALU_DEP_1)
	v_lshl_or_b32 v3, v4, 21, v3
                                        ; implicit-def: $vgpr4
	v_add_nc_u32_e32 v3, 0x38000000, v3
.LBB6_6034:                             ;   in Loop: Header=BB6_5133 Depth=2
	s_and_not1_saveexec_b32 s43, s43
; %bb.6035:                             ;   in Loop: Header=BB6_5133 Depth=2
	v_cmp_lt_i16_e32 vcc_lo, -1, v98
	v_cndmask_b32_e32 v3, 0xff800000, v44, vcc_lo
	v_cmp_eq_u32_e32 vcc_lo, 0, v4
	s_delay_alu instid0(VALU_DEP_2)
	v_cndmask_b32_e32 v3, 0x7f800001, v3, vcc_lo
; %bb.6036:                             ;   in Loop: Header=BB6_5133 Depth=2
	s_or_b32 exec_lo, exec_lo, s43
.LBB6_6037:                             ;   in Loop: Header=BB6_5133 Depth=2
	s_delay_alu instid0(SALU_CYCLE_1)
	s_or_b32 exec_lo, exec_lo, s42
.LBB6_6038:                             ;   in Loop: Header=BB6_5133 Depth=2
	s_delay_alu instid0(SALU_CYCLE_1) | instskip(NEXT) | instid1(VALU_DEP_1)
	s_or_b32 exec_lo, exec_lo, s11
	v_dual_max_num_f32 v3, v3, v3 :: v_dual_max_num_f32 v1, v1, v1
	s_mov_b32 s11, 0
	s_delay_alu instid0(VALU_DEP_1)
	v_max_num_f32_e32 v1, v1, v3
.LBB6_6039:                             ;   in Loop: Header=BB6_5133 Depth=2
	s_and_b32 vcc_lo, exec_lo, s11
	s_cbranch_vccz .LBB6_6061
; %bb.6040:                             ;   in Loop: Header=BB6_5133 Depth=2
	v_dual_mov_b32 v3, 0 :: v_dual_mov_b32 v1, 0
	s_and_saveexec_b32 s11, s10
	s_cbranch_execz .LBB6_6050
; %bb.6041:                             ;   in Loop: Header=BB6_5133 Depth=2
	v_bfrev_b32_e32 v1, 1
	s_mov_b32 s10, exec_lo
	v_cmpx_ne_u16_e32 0xff80, v54
	s_cbranch_execz .LBB6_6049
; %bb.6042:                             ;   in Loop: Header=BB6_5133 Depth=2
	v_and_b32_e32 v1, 0x7c, v0
	v_and_b32_e32 v4, 3, v0
	s_delay_alu instid0(VALU_DEP_2) | instskip(SKIP_1) | instid1(SALU_CYCLE_1)
	v_cmp_ne_u32_e32 vcc_lo, 0x7c, v1
                                        ; implicit-def: $vgpr1
	s_and_saveexec_b32 s42, vcc_lo
	s_xor_b32 s42, exec_lo, s42
	s_cbranch_execz .LBB6_6046
; %bb.6043:                             ;   in Loop: Header=BB6_5133 Depth=2
	v_bfe_u32 v0, v0, 2, 5
	s_mov_b32 s43, exec_lo
	s_delay_alu instid0(VALU_DEP_1)
	v_cmpx_eq_u32_e32 0, v0
	s_cbranch_execz .LBB6_6045
; %bb.6044:                             ;   in Loop: Header=BB6_5133 Depth=2
	v_clz_i32_u32_e32 v0, v4
	s_delay_alu instid0(VALU_DEP_1) | instskip(SKIP_1) | instid1(VALU_DEP_2)
	v_min_u32_e32 v0, 32, v0
	v_mov_b32_e32 v55, v25
	v_subrev_nc_u32_e32 v1, 29, v0
	v_sub_nc_u32_e32 v0, 30, v0
	s_delay_alu instid0(VALU_DEP_2) | instskip(NEXT) | instid1(VALU_DEP_1)
	v_lshlrev_b64_e32 v[4:5], v1, v[54:55]
	v_and_b32_e32 v4, 3, v4
.LBB6_6045:                             ;   in Loop: Header=BB6_5133 Depth=2
	s_or_b32 exec_lo, exec_lo, s43
	v_bfe_i32 v1, v54, 0, 16
                                        ; implicit-def: $vgpr54
	s_delay_alu instid0(VALU_DEP_1) | instskip(NEXT) | instid1(VALU_DEP_1)
	v_and_b32_e32 v1, 0x80000000, v1
	v_lshl_add_u32 v0, v0, 23, v1
	s_delay_alu instid0(VALU_DEP_1) | instskip(NEXT) | instid1(VALU_DEP_1)
	v_lshl_or_b32 v0, v4, 21, v0
                                        ; implicit-def: $vgpr4
	v_add_nc_u32_e32 v1, 0x38000000, v0
.LBB6_6046:                             ;   in Loop: Header=BB6_5133 Depth=2
	s_and_not1_saveexec_b32 s42, s42
; %bb.6047:                             ;   in Loop: Header=BB6_5133 Depth=2
	v_cmp_lt_i16_e32 vcc_lo, -1, v54
	v_cndmask_b32_e32 v0, 0xff800000, v44, vcc_lo
	v_cmp_eq_u32_e32 vcc_lo, 0, v4
	s_delay_alu instid0(VALU_DEP_2)
	v_cndmask_b32_e32 v1, 0x7f800001, v0, vcc_lo
; %bb.6048:                             ;   in Loop: Header=BB6_5133 Depth=2
	s_or_b32 exec_lo, exec_lo, s42
.LBB6_6049:                             ;   in Loop: Header=BB6_5133 Depth=2
	s_delay_alu instid0(SALU_CYCLE_1)
	s_or_b32 exec_lo, exec_lo, s10
.LBB6_6050:                             ;   in Loop: Header=BB6_5133 Depth=2
	s_delay_alu instid0(SALU_CYCLE_1) | instskip(NEXT) | instid1(SALU_CYCLE_1)
	s_or_b32 exec_lo, exec_lo, s11
	s_mov_b32 s10, exec_lo
	v_cmpx_ne_u16_e32 0, v98
	s_cbranch_execz .LBB6_6060
; %bb.6051:                             ;   in Loop: Header=BB6_5133 Depth=2
	v_bfrev_b32_e32 v3, 1
	s_mov_b32 s11, exec_lo
	v_cmpx_ne_u16_e32 0xff80, v98
	s_cbranch_execz .LBB6_6059
; %bb.6052:                             ;   in Loop: Header=BB6_5133 Depth=2
	v_and_b32_e32 v3, 0x7c, v98
	v_and_b32_e32 v0, 3, v98
	s_delay_alu instid0(VALU_DEP_2) | instskip(SKIP_1) | instid1(SALU_CYCLE_1)
	v_cmp_ne_u32_e32 vcc_lo, 0x7c, v3
                                        ; implicit-def: $vgpr3
	s_and_saveexec_b32 s42, vcc_lo
	s_xor_b32 s42, exec_lo, s42
	s_cbranch_execz .LBB6_6056
; %bb.6053:                             ;   in Loop: Header=BB6_5133 Depth=2
	v_and_b32_e32 v3, 0xff, v98
	s_mov_b32 s43, exec_lo
	s_delay_alu instid0(VALU_DEP_1) | instskip(NEXT) | instid1(VALU_DEP_1)
	v_bfe_u32 v3, v3, 2, 5
	v_cmpx_eq_u32_e32 0, v3
	s_cbranch_execz .LBB6_6055
; %bb.6054:                             ;   in Loop: Header=BB6_5133 Depth=2
	v_clz_i32_u32_e32 v0, v0
	s_delay_alu instid0(VALU_DEP_1) | instskip(SKIP_1) | instid1(VALU_DEP_2)
	v_min_u32_e32 v0, 32, v0
	v_mov_b32_e32 v99, v25
	v_subrev_nc_u32_e32 v3, 29, v0
	s_delay_alu instid0(VALU_DEP_1) | instskip(SKIP_1) | instid1(VALU_DEP_2)
	v_lshlrev_b64_e32 v[4:5], v3, v[98:99]
	v_sub_nc_u32_e32 v3, 30, v0
	v_and_b32_e32 v0, 3, v4
.LBB6_6055:                             ;   in Loop: Header=BB6_5133 Depth=2
	s_or_b32 exec_lo, exec_lo, s43
	v_bfe_i32 v4, v98, 0, 16
                                        ; implicit-def: $vgpr98
	s_delay_alu instid0(VALU_DEP_1) | instskip(NEXT) | instid1(VALU_DEP_1)
	v_and_b32_e32 v4, 0x80000000, v4
	v_lshl_add_u32 v3, v3, 23, v4
	s_delay_alu instid0(VALU_DEP_1) | instskip(NEXT) | instid1(VALU_DEP_1)
	v_lshl_or_b32 v0, v0, 21, v3
	v_add_nc_u32_e32 v3, 0x38000000, v0
                                        ; implicit-def: $vgpr0
.LBB6_6056:                             ;   in Loop: Header=BB6_5133 Depth=2
	s_and_not1_saveexec_b32 s42, s42
; %bb.6057:                             ;   in Loop: Header=BB6_5133 Depth=2
	v_cmp_lt_i16_e32 vcc_lo, -1, v98
	v_cndmask_b32_e32 v3, 0xff800000, v44, vcc_lo
	v_cmp_eq_u32_e32 vcc_lo, 0, v0
	s_delay_alu instid0(VALU_DEP_2)
	v_cndmask_b32_e32 v3, 0x7f800001, v3, vcc_lo
; %bb.6058:                             ;   in Loop: Header=BB6_5133 Depth=2
	s_or_b32 exec_lo, exec_lo, s42
.LBB6_6059:                             ;   in Loop: Header=BB6_5133 Depth=2
	s_delay_alu instid0(SALU_CYCLE_1)
	s_or_b32 exec_lo, exec_lo, s11
.LBB6_6060:                             ;   in Loop: Header=BB6_5133 Depth=2
	s_delay_alu instid0(SALU_CYCLE_1) | instskip(NEXT) | instid1(VALU_DEP_1)
	s_or_b32 exec_lo, exec_lo, s10
	v_dual_max_num_f32 v0, v3, v3 :: v_dual_max_num_f32 v1, v1, v1
	s_delay_alu instid0(VALU_DEP_1)
	v_min_num_f32_e32 v1, v1, v0
.LBB6_6061:                             ;   in Loop: Header=BB6_5133 Depth=2
	s_delay_alu instid0(VALU_DEP_1) | instskip(SKIP_2) | instid1(VALU_DEP_2)
	v_and_b32_e32 v4, 0x7f800000, v1
	v_mov_b32_e32 v5, v25
	v_and_b32_e32 v24, 0x7fffff, v1
	v_cmp_ne_u64_e32 vcc_lo, 0x7f800000, v[4:5]
                                        ; implicit-def: $vgpr4
	s_and_saveexec_b32 s10, vcc_lo
	s_delay_alu instid0(SALU_CYCLE_1)
	s_xor_b32 s11, exec_lo, s10
	s_cbranch_execz .LBB6_6079
; %bb.6062:                             ;   in Loop: Header=BB6_5133 Depth=2
	v_and_b32_e32 v4, 0x7fffffff, v1
	v_dual_mov_b32 v5, v25 :: v_dual_lshrrev_b32 v0, 24, v1
	s_delay_alu instid0(VALU_DEP_1) | instskip(NEXT) | instid1(VALU_DEP_2)
	v_cmp_gt_u64_e32 vcc_lo, 0x47600001, v[4:5]
	v_and_b32_e32 v3, 0x80, v0
                                        ; implicit-def: $vgpr4
	s_and_saveexec_b32 s10, vcc_lo
	s_delay_alu instid0(SALU_CYCLE_1)
	s_xor_b32 s42, exec_lo, s10
	s_cbranch_execz .LBB6_6076
; %bb.6063:                             ;   in Loop: Header=BB6_5133 Depth=2
	v_mov_b32_e32 v4, 0
	s_mov_b32 s43, exec_lo
	v_cmpx_ne_u32_e32 0, v1
	s_cbranch_execz .LBB6_6075
; %bb.6064:                             ;   in Loop: Header=BB6_5133 Depth=2
	v_bfe_u32 v23, v1, 23, 8
	v_or_b32_e32 v4, 0x800000, v24
	s_delay_alu instid0(VALU_DEP_2) | instskip(SKIP_1) | instid1(VALU_DEP_2)
	v_sub_nc_u32_e32 v0, 0x71, v23
	v_cmp_gt_u32_e32 vcc_lo, 0x72, v23
	v_cndmask_b32_e32 v0, 0, v0, vcc_lo
	v_cmp_eq_u32_e32 vcc_lo, 0, v23
	s_delay_alu instid0(VALU_DEP_2) | instskip(NEXT) | instid1(VALU_DEP_1)
	v_cndmask_b32_e64 v27, v0, 0x70, vcc_lo
	v_dual_cndmask_b32 v24, v4, v24, vcc_lo :: v_dual_add_nc_u32 v0, 21, v27
	v_add_nc_u32_e32 v5, 20, v27
	s_delay_alu instid0(VALU_DEP_2) | instskip(NEXT) | instid1(VALU_DEP_2)
	v_lshlrev_b64_e64 v[0:1], v0, -1
	v_lshlrev_b64_e64 v[4:5], v5, 1
	s_delay_alu instid0(VALU_DEP_2) | instskip(NEXT) | instid1(VALU_DEP_3)
	v_bfi_b32 v31, v1, 0, 0
	v_bfi_b32 v30, v0, 0, v24
	v_lshrrev_b64 v[0:1], v27, v[24:25]
	s_delay_alu instid0(VALU_DEP_2) | instskip(NEXT) | instid1(VALU_DEP_2)
	v_cmp_eq_u64_e64 s10, v[30:31], v[4:5]
	v_mov_b64_e32 v[4:5], v[0:1]
	s_and_saveexec_b32 s44, s10
; %bb.6065:                             ;   in Loop: Header=BB6_5133 Depth=2
	v_bfe_u32 v24, v0, 21, 1
	s_delay_alu instid0(VALU_DEP_1) | instskip(NEXT) | instid1(VALU_DEP_1)
	v_add_nc_u64_e32 v[4:5], v[0:1], v[24:25]
	v_add_nc_u64_e32 v[4:5], -1, v[4:5]
; %bb.6066:                             ;   in Loop: Header=BB6_5133 Depth=2
	s_or_b32 exec_lo, exec_lo, s44
	v_add_nc_u32_e32 v1, 0xffffff81, v23
	v_lshrrev_b32_e32 v5, 23, v0
	s_mov_b32 s10, exec_lo
	s_delay_alu instid0(VALU_DEP_2) | instskip(NEXT) | instid1(VALU_DEP_1)
	v_cndmask_b32_e64 v1, v1, 0xffffff82, vcc_lo
	v_add3_u32 v23, v27, v1, v5
	v_and_b32_e32 v1, 0x1fffff, v4
                                        ; implicit-def: $vgpr5
	s_delay_alu instid0(VALU_DEP_1) | instskip(NEXT) | instid1(VALU_DEP_1)
	v_dual_add_nc_u32 v4, 14, v23 :: v_dual_add_nc_u32 v24, v1, v0
                                        ; implicit-def: $vgpr0_vgpr1
	v_cmpx_ne_u32_e32 0, v4
	s_xor_b32 s10, exec_lo, s10
; %bb.6067:                             ;   in Loop: Header=BB6_5133 Depth=2
	s_delay_alu instid0(VALU_DEP_2) | instskip(SKIP_1) | instid1(VALU_DEP_1)
	v_cmp_lt_u64_e32 vcc_lo, 0xffffff, v[24:25]
	v_add_nc_u32_e32 v0, 15, v23
	v_cndmask_b32_e32 v5, v4, v0, vcc_lo
	v_cndmask_b32_e64 v0, 0, 1, vcc_lo
	s_delay_alu instid0(VALU_DEP_1)
	v_lshrrev_b64 v[0:1], v0, v[24:25]
; %bb.6068:                             ;   in Loop: Header=BB6_5133 Depth=2
	s_and_not1_saveexec_b32 s10, s10
; %bb.6069:                             ;   in Loop: Header=BB6_5133 Depth=2
	v_mov_b64_e32 v[0:1], v[24:25]
	v_bfe_u32 v5, v24, 23, 1
; %bb.6070:                             ;   in Loop: Header=BB6_5133 Depth=2
	s_or_b32 exec_lo, exec_lo, s10
	s_delay_alu instid0(VALU_DEP_2) | instskip(NEXT) | instid1(VALU_DEP_2)
	v_lshrrev_b64 v[0:1], 21, v[0:1]
	v_cmp_gt_i32_e32 vcc_lo, 32, v5
	v_cmp_ne_u32_e64 s10, 0, v5
                                        ; implicit-def: $vgpr4
	s_delay_alu instid0(VALU_DEP_3) | instskip(NEXT) | instid1(VALU_DEP_1)
	v_dual_cndmask_b32 v1, 0, v1 :: v_dual_cndmask_b32 v0, 3, v0
	v_cmp_ne_u64_e32 vcc_lo, 0, v[0:1]
	s_or_b32 s10, s10, vcc_lo
	s_delay_alu instid0(SALU_CYCLE_1) | instskip(NEXT) | instid1(SALU_CYCLE_1)
	s_and_saveexec_b32 s44, s10
	s_xor_b32 s10, exec_lo, s44
; %bb.6071:                             ;   in Loop: Header=BB6_5133 Depth=2
	v_min_i32_e32 v1, 31, v5
	s_delay_alu instid0(VALU_DEP_1) | instskip(NEXT) | instid1(VALU_DEP_1)
	v_lshl_or_b32 v1, v1, 2, v3
                                        ; implicit-def: $vgpr3
	v_and_or_b32 v4, v0, 3, v1
; %bb.6072:                             ;   in Loop: Header=BB6_5133 Depth=2
	s_and_not1_saveexec_b32 s10, s10
; %bb.6073:                             ;   in Loop: Header=BB6_5133 Depth=2
	v_mov_b32_e32 v4, v3
; %bb.6074:                             ;   in Loop: Header=BB6_5133 Depth=2
	s_or_b32 exec_lo, exec_lo, s10
.LBB6_6075:                             ;   in Loop: Header=BB6_5133 Depth=2
	s_delay_alu instid0(SALU_CYCLE_1)
	s_or_b32 exec_lo, exec_lo, s43
                                        ; implicit-def: $vgpr3
.LBB6_6076:                             ;   in Loop: Header=BB6_5133 Depth=2
	s_and_not1_saveexec_b32 s10, s42
; %bb.6077:                             ;   in Loop: Header=BB6_5133 Depth=2
	v_or_b32_e32 v4, 0x7b, v3
; %bb.6078:                             ;   in Loop: Header=BB6_5133 Depth=2
	s_or_b32 exec_lo, exec_lo, s10
                                        ; implicit-def: $vgpr1
.LBB6_6079:                             ;   in Loop: Header=BB6_5133 Depth=2
	s_and_not1_saveexec_b32 s10, s11
	s_cbranch_execz .LBB6_6085
; %bb.6080:                             ;   in Loop: Header=BB6_5133 Depth=2
	s_mov_b32 s11, exec_lo
                                        ; implicit-def: $vgpr4
	v_cmpx_ne_u64_e32 0, v[24:25]
	s_xor_b32 s11, exec_lo, s11
; %bb.6081:                             ;   in Loop: Header=BB6_5133 Depth=2
	v_lshrrev_b32_e32 v0, 24, v1
                                        ; implicit-def: $vgpr1
	s_delay_alu instid0(VALU_DEP_1)
	v_or_b32_e32 v4, 0x7f, v0
; %bb.6082:                             ;   in Loop: Header=BB6_5133 Depth=2
	s_and_not1_saveexec_b32 s11, s11
; %bb.6083:                             ;   in Loop: Header=BB6_5133 Depth=2
	v_cmp_lt_i32_e32 vcc_lo, -1, v1
	v_cndmask_b32_e64 v4, -4, 0x7c, vcc_lo
; %bb.6084:                             ;   in Loop: Header=BB6_5133 Depth=2
	s_or_b32 exec_lo, exec_lo, s11
.LBB6_6085:                             ;   in Loop: Header=BB6_5133 Depth=2
	s_delay_alu instid0(SALU_CYCLE_1)
	s_or_b32 exec_lo, exec_lo, s10
	v_and_b32_e32 v0, 0xff, v2
	v_cmp_ne_u16_e64 s10, 0, v2
	s_and_not1_b32 vcc_lo, exec_lo, s15
	s_mov_b32 s11, -1
                                        ; implicit-def: $vgpr1
	s_cbranch_vccnz .LBB6_6107
; %bb.6086:                             ;   in Loop: Header=BB6_5133 Depth=2
	v_dual_mov_b32 v5, 0 :: v_dual_mov_b32 v1, 0
	s_and_saveexec_b32 s11, s10
	s_cbranch_execz .LBB6_6096
; %bb.6087:                             ;   in Loop: Header=BB6_5133 Depth=2
	v_bfrev_b32_e32 v1, 1
	s_mov_b32 s42, exec_lo
	v_cmpx_ne_u16_e32 0xff80, v2
	s_cbranch_execz .LBB6_6095
; %bb.6088:                             ;   in Loop: Header=BB6_5133 Depth=2
	v_and_b32_e32 v1, 0x7c, v0
	v_and_b32_e32 v3, 3, v0
	s_delay_alu instid0(VALU_DEP_2) | instskip(SKIP_1) | instid1(SALU_CYCLE_1)
	v_cmp_ne_u32_e32 vcc_lo, 0x7c, v1
                                        ; implicit-def: $vgpr1
	s_and_saveexec_b32 s43, vcc_lo
	s_xor_b32 s43, exec_lo, s43
	s_cbranch_execz .LBB6_6092
; %bb.6089:                             ;   in Loop: Header=BB6_5133 Depth=2
	v_bfe_u32 v1, v0, 2, 5
	s_mov_b32 s44, exec_lo
	s_delay_alu instid0(VALU_DEP_1)
	v_cmpx_eq_u32_e32 0, v1
	s_cbranch_execz .LBB6_6091
; %bb.6090:                             ;   in Loop: Header=BB6_5133 Depth=2
	v_clz_i32_u32_e32 v1, v3
	s_delay_alu instid0(VALU_DEP_1) | instskip(SKIP_1) | instid1(VALU_DEP_2)
	v_min_u32_e32 v1, 32, v1
	v_mov_b32_e32 v3, v25
	v_subrev_nc_u32_e32 v23, 29, v1
	v_sub_nc_u32_e32 v1, 30, v1
	s_delay_alu instid0(VALU_DEP_2) | instskip(NEXT) | instid1(VALU_DEP_1)
	v_lshlrev_b64_e32 v[30:31], v23, v[2:3]
	v_and_b32_e32 v3, 3, v30
.LBB6_6091:                             ;   in Loop: Header=BB6_5133 Depth=2
	s_or_b32 exec_lo, exec_lo, s44
	v_bfe_i32 v23, v2, 0, 16
	s_delay_alu instid0(VALU_DEP_1) | instskip(NEXT) | instid1(VALU_DEP_1)
	v_and_b32_e32 v23, 0x80000000, v23
	v_lshl_add_u32 v1, v1, 23, v23
	s_delay_alu instid0(VALU_DEP_1) | instskip(NEXT) | instid1(VALU_DEP_1)
	v_lshl_or_b32 v1, v3, 21, v1
                                        ; implicit-def: $vgpr3
	v_add_nc_u32_e32 v1, 0x38000000, v1
.LBB6_6092:                             ;   in Loop: Header=BB6_5133 Depth=2
	s_and_not1_saveexec_b32 s43, s43
; %bb.6093:                             ;   in Loop: Header=BB6_5133 Depth=2
	v_cmp_lt_i16_e32 vcc_lo, -1, v2
	v_cndmask_b32_e32 v1, 0xff800000, v44, vcc_lo
	v_cmp_eq_u32_e32 vcc_lo, 0, v3
	s_delay_alu instid0(VALU_DEP_2)
	v_cndmask_b32_e32 v1, 0x7f800001, v1, vcc_lo
; %bb.6094:                             ;   in Loop: Header=BB6_5133 Depth=2
	s_or_b32 exec_lo, exec_lo, s43
.LBB6_6095:                             ;   in Loop: Header=BB6_5133 Depth=2
	s_delay_alu instid0(SALU_CYCLE_1)
	s_or_b32 exec_lo, exec_lo, s42
.LBB6_6096:                             ;   in Loop: Header=BB6_5133 Depth=2
	s_delay_alu instid0(SALU_CYCLE_1) | instskip(NEXT) | instid1(SALU_CYCLE_1)
	s_or_b32 exec_lo, exec_lo, s11
	s_mov_b32 s11, exec_lo
	v_cmpx_ne_u16_e32 0, v124
	s_cbranch_execz .LBB6_6106
; %bb.6097:                             ;   in Loop: Header=BB6_5133 Depth=2
	v_bfrev_b32_e32 v5, 1
	s_mov_b32 s42, exec_lo
	v_cmpx_ne_u16_e32 0xff80, v124
	s_cbranch_execz .LBB6_6105
; %bb.6098:                             ;   in Loop: Header=BB6_5133 Depth=2
	v_and_b32_e32 v5, 0x7c, v124
	v_and_b32_e32 v3, 3, v124
	s_delay_alu instid0(VALU_DEP_2) | instskip(SKIP_1) | instid1(SALU_CYCLE_1)
	v_cmp_ne_u32_e32 vcc_lo, 0x7c, v5
                                        ; implicit-def: $vgpr5
	s_and_saveexec_b32 s43, vcc_lo
	s_xor_b32 s43, exec_lo, s43
	s_cbranch_execz .LBB6_6102
; %bb.6099:                             ;   in Loop: Header=BB6_5133 Depth=2
	v_and_b32_e32 v5, 0xff, v124
	s_mov_b32 s44, exec_lo
	s_delay_alu instid0(VALU_DEP_1) | instskip(NEXT) | instid1(VALU_DEP_1)
	v_bfe_u32 v5, v5, 2, 5
	v_cmpx_eq_u32_e32 0, v5
; %bb.6100:                             ;   in Loop: Header=BB6_5133 Depth=2
	v_clz_i32_u32_e32 v3, v3
	s_delay_alu instid0(VALU_DEP_1) | instskip(SKIP_1) | instid1(VALU_DEP_2)
	v_min_u32_e32 v3, 32, v3
	v_mov_b32_e32 v125, v25
	v_subrev_nc_u32_e32 v5, 29, v3
	s_delay_alu instid0(VALU_DEP_1) | instskip(NEXT) | instid1(VALU_DEP_1)
	v_lshlrev_b64_e32 v[30:31], v5, v[124:125]
	v_dual_sub_nc_u32 v5, 30, v3 :: v_dual_bitop2_b32 v3, 3, v30 bitop3:0x40
; %bb.6101:                             ;   in Loop: Header=BB6_5133 Depth=2
	s_or_b32 exec_lo, exec_lo, s44
	v_bfe_i32 v23, v124, 0, 16
	s_delay_alu instid0(VALU_DEP_1) | instskip(NEXT) | instid1(VALU_DEP_1)
	v_and_b32_e32 v23, 0x80000000, v23
	v_lshl_add_u32 v5, v5, 23, v23
	s_delay_alu instid0(VALU_DEP_1) | instskip(NEXT) | instid1(VALU_DEP_1)
	v_lshl_or_b32 v3, v3, 21, v5
	v_add_nc_u32_e32 v5, 0x38000000, v3
                                        ; implicit-def: $vgpr3
.LBB6_6102:                             ;   in Loop: Header=BB6_5133 Depth=2
	s_and_not1_saveexec_b32 s43, s43
; %bb.6103:                             ;   in Loop: Header=BB6_5133 Depth=2
	v_cmp_lt_i16_e32 vcc_lo, -1, v124
	v_cndmask_b32_e32 v5, 0xff800000, v44, vcc_lo
	v_cmp_eq_u32_e32 vcc_lo, 0, v3
	s_delay_alu instid0(VALU_DEP_2)
	v_cndmask_b32_e32 v5, 0x7f800001, v5, vcc_lo
; %bb.6104:                             ;   in Loop: Header=BB6_5133 Depth=2
	s_or_b32 exec_lo, exec_lo, s43
.LBB6_6105:                             ;   in Loop: Header=BB6_5133 Depth=2
	s_delay_alu instid0(SALU_CYCLE_1)
	s_or_b32 exec_lo, exec_lo, s42
.LBB6_6106:                             ;   in Loop: Header=BB6_5133 Depth=2
	s_delay_alu instid0(SALU_CYCLE_1) | instskip(NEXT) | instid1(VALU_DEP_1)
	s_or_b32 exec_lo, exec_lo, s11
	v_max_num_f32_e32 v3, v5, v5
	v_max_num_f32_e32 v1, v1, v1
	s_mov_b32 s11, 0
	s_delay_alu instid0(VALU_DEP_1)
	v_max_num_f32_e32 v1, v1, v3
.LBB6_6107:                             ;   in Loop: Header=BB6_5133 Depth=2
	s_and_b32 vcc_lo, exec_lo, s11
	s_cbranch_vccz .LBB6_6129
; %bb.6108:                             ;   in Loop: Header=BB6_5133 Depth=2
	v_dual_mov_b32 v5, 0 :: v_dual_mov_b32 v1, 0
	s_and_saveexec_b32 s11, s10
	s_cbranch_execz .LBB6_6118
; %bb.6109:                             ;   in Loop: Header=BB6_5133 Depth=2
	v_bfrev_b32_e32 v1, 1
	s_mov_b32 s10, exec_lo
	v_cmpx_ne_u16_e32 0xff80, v2
	s_cbranch_execz .LBB6_6117
; %bb.6110:                             ;   in Loop: Header=BB6_5133 Depth=2
	v_and_b32_e32 v1, 0x7c, v0
	v_and_b32_e32 v3, 3, v0
	s_delay_alu instid0(VALU_DEP_2) | instskip(SKIP_1) | instid1(SALU_CYCLE_1)
	v_cmp_ne_u32_e32 vcc_lo, 0x7c, v1
                                        ; implicit-def: $vgpr1
	s_and_saveexec_b32 s42, vcc_lo
	s_xor_b32 s42, exec_lo, s42
	s_cbranch_execz .LBB6_6114
; %bb.6111:                             ;   in Loop: Header=BB6_5133 Depth=2
	v_bfe_u32 v0, v0, 2, 5
	s_mov_b32 s43, exec_lo
	s_delay_alu instid0(VALU_DEP_1)
	v_cmpx_eq_u32_e32 0, v0
	s_cbranch_execz .LBB6_6113
; %bb.6112:                             ;   in Loop: Header=BB6_5133 Depth=2
	v_clz_i32_u32_e32 v0, v3
	s_delay_alu instid0(VALU_DEP_1) | instskip(SKIP_1) | instid1(VALU_DEP_2)
	v_min_u32_e32 v0, 32, v0
	v_mov_b32_e32 v3, v25
	v_subrev_nc_u32_e32 v1, 29, v0
	v_sub_nc_u32_e32 v0, 30, v0
	s_delay_alu instid0(VALU_DEP_2) | instskip(NEXT) | instid1(VALU_DEP_1)
	v_lshlrev_b64_e32 v[30:31], v1, v[2:3]
	v_and_b32_e32 v3, 3, v30
.LBB6_6113:                             ;   in Loop: Header=BB6_5133 Depth=2
	s_or_b32 exec_lo, exec_lo, s43
	v_bfe_i32 v1, v2, 0, 16
                                        ; implicit-def: $vgpr2
	s_delay_alu instid0(VALU_DEP_1) | instskip(NEXT) | instid1(VALU_DEP_1)
	v_and_b32_e32 v1, 0x80000000, v1
	v_lshl_add_u32 v0, v0, 23, v1
	s_delay_alu instid0(VALU_DEP_1) | instskip(NEXT) | instid1(VALU_DEP_1)
	v_lshl_or_b32 v0, v3, 21, v0
                                        ; implicit-def: $vgpr3
	v_add_nc_u32_e32 v1, 0x38000000, v0
.LBB6_6114:                             ;   in Loop: Header=BB6_5133 Depth=2
	s_and_not1_saveexec_b32 s42, s42
; %bb.6115:                             ;   in Loop: Header=BB6_5133 Depth=2
	v_cmp_lt_i16_e32 vcc_lo, -1, v2
	v_cndmask_b32_e32 v0, 0xff800000, v44, vcc_lo
	v_cmp_eq_u32_e32 vcc_lo, 0, v3
	s_delay_alu instid0(VALU_DEP_2)
	v_cndmask_b32_e32 v1, 0x7f800001, v0, vcc_lo
; %bb.6116:                             ;   in Loop: Header=BB6_5133 Depth=2
	s_or_b32 exec_lo, exec_lo, s42
.LBB6_6117:                             ;   in Loop: Header=BB6_5133 Depth=2
	s_delay_alu instid0(SALU_CYCLE_1)
	s_or_b32 exec_lo, exec_lo, s10
.LBB6_6118:                             ;   in Loop: Header=BB6_5133 Depth=2
	s_delay_alu instid0(SALU_CYCLE_1) | instskip(NEXT) | instid1(SALU_CYCLE_1)
	s_or_b32 exec_lo, exec_lo, s11
	s_mov_b32 s10, exec_lo
	v_cmpx_ne_u16_e32 0, v124
	s_cbranch_execz .LBB6_6128
; %bb.6119:                             ;   in Loop: Header=BB6_5133 Depth=2
	v_bfrev_b32_e32 v5, 1
	s_mov_b32 s11, exec_lo
	v_cmpx_ne_u16_e32 0xff80, v124
	s_cbranch_execz .LBB6_6127
; %bb.6120:                             ;   in Loop: Header=BB6_5133 Depth=2
	v_and_b32_e32 v2, 0x7c, v124
	v_and_b32_e32 v0, 3, v124
	s_mov_b32 s42, exec_lo
                                        ; implicit-def: $vgpr5
	s_delay_alu instid0(VALU_DEP_2)
	v_cmpx_ne_u32_e32 0x7c, v2
	s_xor_b32 s42, exec_lo, s42
	s_cbranch_execz .LBB6_6124
; %bb.6121:                             ;   in Loop: Header=BB6_5133 Depth=2
	v_and_b32_e32 v2, 0xff, v124
	s_mov_b32 s43, exec_lo
	s_delay_alu instid0(VALU_DEP_1) | instskip(NEXT) | instid1(VALU_DEP_1)
	v_bfe_u32 v2, v2, 2, 5
	v_cmpx_eq_u32_e32 0, v2
; %bb.6122:                             ;   in Loop: Header=BB6_5133 Depth=2
	v_clz_i32_u32_e32 v0, v0
	s_delay_alu instid0(VALU_DEP_1) | instskip(SKIP_1) | instid1(VALU_DEP_2)
	v_min_u32_e32 v0, 32, v0
	v_mov_b32_e32 v125, v25
	v_subrev_nc_u32_e32 v2, 29, v0
	s_delay_alu instid0(VALU_DEP_1) | instskip(NEXT) | instid1(VALU_DEP_1)
	v_lshlrev_b64_e32 v[30:31], v2, v[124:125]
	v_dual_sub_nc_u32 v2, 30, v0 :: v_dual_bitop2_b32 v0, 3, v30 bitop3:0x40
; %bb.6123:                             ;   in Loop: Header=BB6_5133 Depth=2
	s_or_b32 exec_lo, exec_lo, s43
	v_bfe_i32 v3, v124, 0, 16
                                        ; implicit-def: $vgpr124
	s_delay_alu instid0(VALU_DEP_1) | instskip(NEXT) | instid1(VALU_DEP_1)
	v_and_b32_e32 v3, 0x80000000, v3
	v_lshl_add_u32 v2, v2, 23, v3
	s_delay_alu instid0(VALU_DEP_1) | instskip(NEXT) | instid1(VALU_DEP_1)
	v_lshl_or_b32 v0, v0, 21, v2
	v_add_nc_u32_e32 v5, 0x38000000, v0
                                        ; implicit-def: $vgpr0
.LBB6_6124:                             ;   in Loop: Header=BB6_5133 Depth=2
	s_and_not1_saveexec_b32 s42, s42
; %bb.6125:                             ;   in Loop: Header=BB6_5133 Depth=2
	v_cmp_lt_i16_e32 vcc_lo, -1, v124
	v_cndmask_b32_e32 v2, 0xff800000, v44, vcc_lo
	v_cmp_eq_u32_e32 vcc_lo, 0, v0
	s_delay_alu instid0(VALU_DEP_2)
	v_cndmask_b32_e32 v5, 0x7f800001, v2, vcc_lo
; %bb.6126:                             ;   in Loop: Header=BB6_5133 Depth=2
	s_or_b32 exec_lo, exec_lo, s42
.LBB6_6127:                             ;   in Loop: Header=BB6_5133 Depth=2
	s_delay_alu instid0(SALU_CYCLE_1)
	s_or_b32 exec_lo, exec_lo, s11
.LBB6_6128:                             ;   in Loop: Header=BB6_5133 Depth=2
	s_delay_alu instid0(SALU_CYCLE_1) | instskip(NEXT) | instid1(VALU_DEP_1)
	s_or_b32 exec_lo, exec_lo, s10
	v_max_num_f32_e32 v0, v5, v5
	v_max_num_f32_e32 v1, v1, v1
	s_delay_alu instid0(VALU_DEP_1)
	v_min_num_f32_e32 v1, v1, v0
.LBB6_6129:                             ;   in Loop: Header=BB6_5133 Depth=2
	s_delay_alu instid0(VALU_DEP_1) | instskip(SKIP_3) | instid1(VALU_DEP_2)
	v_and_b32_e32 v2, 0x7f800000, v1
	v_mov_b32_e32 v3, v25
	v_and_b32_e32 v24, 0x7fffff, v1
                                        ; implicit-def: $vgpr5
	s_mov_b32 s10, exec_lo
	v_cmpx_ne_u64_e32 0x7f800000, v[2:3]
	s_xor_b32 s11, exec_lo, s10
	s_cbranch_execz .LBB6_6147
; %bb.6130:                             ;   in Loop: Header=BB6_5133 Depth=2
	v_dual_mov_b32 v3, v25 :: v_dual_lshrrev_b32 v0, 24, v1
	v_and_b32_e32 v2, 0x7fffffff, v1
                                        ; implicit-def: $vgpr5
	s_mov_b32 s10, exec_lo
	s_delay_alu instid0(VALU_DEP_2) | instskip(NEXT) | instid1(VALU_DEP_2)
	v_and_b32_e32 v23, 0x80, v0
	v_cmpx_gt_u64_e32 0x47600001, v[2:3]
	s_xor_b32 s42, exec_lo, s10
	s_cbranch_execz .LBB6_6144
; %bb.6131:                             ;   in Loop: Header=BB6_5133 Depth=2
	v_mov_b32_e32 v5, 0
	s_mov_b32 s43, exec_lo
	v_cmpx_ne_u32_e32 0, v1
	s_cbranch_execz .LBB6_6143
; %bb.6132:                             ;   in Loop: Header=BB6_5133 Depth=2
	v_bfe_u32 v5, v1, 23, 8
	v_or_b32_e32 v2, 0x800000, v24
	s_delay_alu instid0(VALU_DEP_2) | instskip(SKIP_1) | instid1(VALU_DEP_2)
	v_sub_nc_u32_e32 v0, 0x71, v5
	v_cmp_gt_u32_e32 vcc_lo, 0x72, v5
	v_cndmask_b32_e32 v0, 0, v0, vcc_lo
	v_cmp_eq_u32_e32 vcc_lo, 0, v5
	s_delay_alu instid0(VALU_DEP_2) | instskip(NEXT) | instid1(VALU_DEP_1)
	v_cndmask_b32_e64 v27, v0, 0x70, vcc_lo
	v_dual_cndmask_b32 v24, v2, v24, vcc_lo :: v_dual_add_nc_u32 v0, 21, v27
	v_add_nc_u32_e32 v3, 20, v27
	s_delay_alu instid0(VALU_DEP_2) | instskip(NEXT) | instid1(VALU_DEP_2)
	v_lshlrev_b64_e64 v[0:1], v0, -1
	v_lshlrev_b64_e64 v[2:3], v3, 1
	s_delay_alu instid0(VALU_DEP_2) | instskip(NEXT) | instid1(VALU_DEP_3)
	v_bfi_b32 v31, v1, 0, 0
	v_bfi_b32 v30, v0, 0, v24
	v_lshrrev_b64 v[0:1], v27, v[24:25]
	s_delay_alu instid0(VALU_DEP_2) | instskip(NEXT) | instid1(VALU_DEP_2)
	v_cmp_eq_u64_e64 s10, v[30:31], v[2:3]
	v_mov_b64_e32 v[2:3], v[0:1]
	s_and_saveexec_b32 s44, s10
; %bb.6133:                             ;   in Loop: Header=BB6_5133 Depth=2
	v_bfe_u32 v24, v0, 21, 1
	s_delay_alu instid0(VALU_DEP_1) | instskip(NEXT) | instid1(VALU_DEP_1)
	v_add_nc_u64_e32 v[2:3], v[0:1], v[24:25]
	v_add_nc_u64_e32 v[2:3], -1, v[2:3]
; %bb.6134:                             ;   in Loop: Header=BB6_5133 Depth=2
	s_or_b32 exec_lo, exec_lo, s44
	v_add_nc_u32_e32 v1, 0xffffff81, v5
	v_lshrrev_b32_e32 v3, 23, v0
	s_mov_b32 s10, exec_lo
	s_delay_alu instid0(VALU_DEP_2) | instskip(NEXT) | instid1(VALU_DEP_1)
	v_cndmask_b32_e64 v1, v1, 0xffffff82, vcc_lo
	v_add3_u32 v3, v27, v1, v3
	v_and_b32_e32 v1, 0x1fffff, v2
                                        ; implicit-def: $vgpr2
	s_delay_alu instid0(VALU_DEP_1) | instskip(NEXT) | instid1(VALU_DEP_1)
	v_dual_add_nc_u32 v5, 14, v3 :: v_dual_add_nc_u32 v24, v1, v0
                                        ; implicit-def: $vgpr0_vgpr1
	v_cmpx_ne_u32_e32 0, v5
	s_xor_b32 s10, exec_lo, s10
; %bb.6135:                             ;   in Loop: Header=BB6_5133 Depth=2
	s_delay_alu instid0(VALU_DEP_2) | instskip(SKIP_1) | instid1(VALU_DEP_1)
	v_cmp_lt_u64_e32 vcc_lo, 0xffffff, v[24:25]
	v_add_nc_u32_e32 v0, 15, v3
	v_cndmask_b32_e32 v2, v5, v0, vcc_lo
	v_cndmask_b32_e64 v0, 0, 1, vcc_lo
	s_delay_alu instid0(VALU_DEP_1)
	v_lshrrev_b64 v[0:1], v0, v[24:25]
; %bb.6136:                             ;   in Loop: Header=BB6_5133 Depth=2
	s_and_not1_saveexec_b32 s10, s10
; %bb.6137:                             ;   in Loop: Header=BB6_5133 Depth=2
	v_mov_b64_e32 v[0:1], v[24:25]
	v_bfe_u32 v2, v24, 23, 1
; %bb.6138:                             ;   in Loop: Header=BB6_5133 Depth=2
	s_or_b32 exec_lo, exec_lo, s10
	s_delay_alu instid0(VALU_DEP_2) | instskip(NEXT) | instid1(VALU_DEP_2)
	v_lshrrev_b64 v[0:1], 21, v[0:1]
	v_cmp_gt_i32_e32 vcc_lo, 32, v2
	v_cmp_ne_u32_e64 s10, 0, v2
                                        ; implicit-def: $vgpr5
	s_delay_alu instid0(VALU_DEP_3) | instskip(NEXT) | instid1(VALU_DEP_1)
	v_dual_cndmask_b32 v1, 0, v1 :: v_dual_cndmask_b32 v0, 3, v0
	v_cmp_ne_u64_e32 vcc_lo, 0, v[0:1]
	s_or_b32 s10, s10, vcc_lo
	s_delay_alu instid0(SALU_CYCLE_1) | instskip(NEXT) | instid1(SALU_CYCLE_1)
	s_and_saveexec_b32 s44, s10
	s_xor_b32 s10, exec_lo, s44
; %bb.6139:                             ;   in Loop: Header=BB6_5133 Depth=2
	v_min_i32_e32 v1, 31, v2
	s_delay_alu instid0(VALU_DEP_1) | instskip(NEXT) | instid1(VALU_DEP_1)
	v_lshl_or_b32 v1, v1, 2, v23
                                        ; implicit-def: $vgpr23
	v_and_or_b32 v5, v0, 3, v1
; %bb.6140:                             ;   in Loop: Header=BB6_5133 Depth=2
	s_and_not1_saveexec_b32 s10, s10
; %bb.6141:                             ;   in Loop: Header=BB6_5133 Depth=2
	v_mov_b32_e32 v5, v23
; %bb.6142:                             ;   in Loop: Header=BB6_5133 Depth=2
	s_or_b32 exec_lo, exec_lo, s10
.LBB6_6143:                             ;   in Loop: Header=BB6_5133 Depth=2
	s_delay_alu instid0(SALU_CYCLE_1)
	s_or_b32 exec_lo, exec_lo, s43
                                        ; implicit-def: $vgpr23
.LBB6_6144:                             ;   in Loop: Header=BB6_5133 Depth=2
	s_and_not1_saveexec_b32 s10, s42
; %bb.6145:                             ;   in Loop: Header=BB6_5133 Depth=2
	v_or_b32_e32 v5, 0x7b, v23
; %bb.6146:                             ;   in Loop: Header=BB6_5133 Depth=2
	s_or_b32 exec_lo, exec_lo, s10
                                        ; implicit-def: $vgpr1
.LBB6_6147:                             ;   in Loop: Header=BB6_5133 Depth=2
	s_and_not1_saveexec_b32 s10, s11
	s_cbranch_execz .LBB6_6153
; %bb.6148:                             ;   in Loop: Header=BB6_5133 Depth=2
	s_mov_b32 s11, exec_lo
                                        ; implicit-def: $vgpr5
	v_cmpx_ne_u64_e32 0, v[24:25]
	s_xor_b32 s11, exec_lo, s11
; %bb.6149:                             ;   in Loop: Header=BB6_5133 Depth=2
	v_lshrrev_b32_e32 v0, 24, v1
                                        ; implicit-def: $vgpr1
	s_delay_alu instid0(VALU_DEP_1)
	v_or_b32_e32 v5, 0x7f, v0
; %bb.6150:                             ;   in Loop: Header=BB6_5133 Depth=2
	s_and_not1_saveexec_b32 s11, s11
; %bb.6151:                             ;   in Loop: Header=BB6_5133 Depth=2
	v_cmp_lt_i32_e32 vcc_lo, -1, v1
	v_cndmask_b32_e64 v5, -4, 0x7c, vcc_lo
; %bb.6152:                             ;   in Loop: Header=BB6_5133 Depth=2
	s_or_b32 exec_lo, exec_lo, s11
.LBB6_6153:                             ;   in Loop: Header=BB6_5133 Depth=2
	s_delay_alu instid0(SALU_CYCLE_1)
	s_or_b32 exec_lo, exec_lo, s10
	v_and_b32_e32 v0, 0xff, v122
	v_cmp_ne_u16_e64 s10, 0, v122
	s_and_not1_b32 vcc_lo, exec_lo, s15
	s_mov_b32 s11, -1
                                        ; implicit-def: $vgpr1
	s_cbranch_vccnz .LBB6_6175
; %bb.6154:                             ;   in Loop: Header=BB6_5133 Depth=2
	v_dual_mov_b32 v2, 0 :: v_dual_mov_b32 v1, 0
	s_and_saveexec_b32 s11, s10
	s_cbranch_execz .LBB6_6164
; %bb.6155:                             ;   in Loop: Header=BB6_5133 Depth=2
	v_bfrev_b32_e32 v1, 1
	s_mov_b32 s42, exec_lo
	v_cmpx_ne_u16_e32 0xff80, v122
	s_cbranch_execz .LBB6_6163
; %bb.6156:                             ;   in Loop: Header=BB6_5133 Depth=2
	v_and_b32_e32 v1, 0x7c, v0
	v_and_b32_e32 v3, 3, v0
	s_delay_alu instid0(VALU_DEP_2) | instskip(SKIP_1) | instid1(SALU_CYCLE_1)
	v_cmp_ne_u32_e32 vcc_lo, 0x7c, v1
                                        ; implicit-def: $vgpr1
	s_and_saveexec_b32 s43, vcc_lo
	s_xor_b32 s43, exec_lo, s43
	s_cbranch_execz .LBB6_6160
; %bb.6157:                             ;   in Loop: Header=BB6_5133 Depth=2
	v_bfe_u32 v1, v0, 2, 5
	s_mov_b32 s44, exec_lo
	s_delay_alu instid0(VALU_DEP_1)
	v_cmpx_eq_u32_e32 0, v1
	s_cbranch_execz .LBB6_6159
; %bb.6158:                             ;   in Loop: Header=BB6_5133 Depth=2
	v_clz_i32_u32_e32 v1, v3
	s_delay_alu instid0(VALU_DEP_1) | instskip(SKIP_1) | instid1(VALU_DEP_2)
	v_min_u32_e32 v1, 32, v1
	v_mov_b32_e32 v123, v25
	v_subrev_nc_u32_e32 v3, 29, v1
	v_sub_nc_u32_e32 v1, 30, v1
	s_delay_alu instid0(VALU_DEP_2) | instskip(NEXT) | instid1(VALU_DEP_1)
	v_lshlrev_b64_e32 v[30:31], v3, v[122:123]
	v_and_b32_e32 v3, 3, v30
.LBB6_6159:                             ;   in Loop: Header=BB6_5133 Depth=2
	s_or_b32 exec_lo, exec_lo, s44
	v_bfe_i32 v23, v122, 0, 16
	s_delay_alu instid0(VALU_DEP_1) | instskip(NEXT) | instid1(VALU_DEP_1)
	v_and_b32_e32 v23, 0x80000000, v23
	v_lshl_add_u32 v1, v1, 23, v23
	s_delay_alu instid0(VALU_DEP_1) | instskip(NEXT) | instid1(VALU_DEP_1)
	v_lshl_or_b32 v1, v3, 21, v1
                                        ; implicit-def: $vgpr3
	v_add_nc_u32_e32 v1, 0x38000000, v1
.LBB6_6160:                             ;   in Loop: Header=BB6_5133 Depth=2
	s_and_not1_saveexec_b32 s43, s43
; %bb.6161:                             ;   in Loop: Header=BB6_5133 Depth=2
	v_cmp_lt_i16_e32 vcc_lo, -1, v122
	v_cndmask_b32_e32 v1, 0xff800000, v44, vcc_lo
	v_cmp_eq_u32_e32 vcc_lo, 0, v3
	s_delay_alu instid0(VALU_DEP_2)
	v_cndmask_b32_e32 v1, 0x7f800001, v1, vcc_lo
; %bb.6162:                             ;   in Loop: Header=BB6_5133 Depth=2
	s_or_b32 exec_lo, exec_lo, s43
.LBB6_6163:                             ;   in Loop: Header=BB6_5133 Depth=2
	s_delay_alu instid0(SALU_CYCLE_1)
	s_or_b32 exec_lo, exec_lo, s42
.LBB6_6164:                             ;   in Loop: Header=BB6_5133 Depth=2
	s_delay_alu instid0(SALU_CYCLE_1) | instskip(NEXT) | instid1(SALU_CYCLE_1)
	s_or_b32 exec_lo, exec_lo, s11
	s_mov_b32 s11, exec_lo
	v_cmpx_ne_u16_e32 0, v120
	s_cbranch_execz .LBB6_6174
; %bb.6165:                             ;   in Loop: Header=BB6_5133 Depth=2
	v_bfrev_b32_e32 v2, 1
	s_mov_b32 s42, exec_lo
	v_cmpx_ne_u16_e32 0xff80, v120
	s_cbranch_execz .LBB6_6173
; %bb.6166:                             ;   in Loop: Header=BB6_5133 Depth=2
	v_and_b32_e32 v2, 0x7c, v120
	v_and_b32_e32 v3, 3, v120
	s_delay_alu instid0(VALU_DEP_2) | instskip(SKIP_1) | instid1(SALU_CYCLE_1)
	v_cmp_ne_u32_e32 vcc_lo, 0x7c, v2
                                        ; implicit-def: $vgpr2
	s_and_saveexec_b32 s43, vcc_lo
	s_xor_b32 s43, exec_lo, s43
	s_cbranch_execz .LBB6_6170
; %bb.6167:                             ;   in Loop: Header=BB6_5133 Depth=2
	v_and_b32_e32 v2, 0xff, v120
	s_mov_b32 s44, exec_lo
	s_delay_alu instid0(VALU_DEP_1) | instskip(NEXT) | instid1(VALU_DEP_1)
	v_bfe_u32 v2, v2, 2, 5
	v_cmpx_eq_u32_e32 0, v2
	s_cbranch_execz .LBB6_6169
; %bb.6168:                             ;   in Loop: Header=BB6_5133 Depth=2
	v_clz_i32_u32_e32 v2, v3
	s_delay_alu instid0(VALU_DEP_1) | instskip(SKIP_1) | instid1(VALU_DEP_2)
	v_min_u32_e32 v2, 32, v2
	v_mov_b32_e32 v121, v25
	v_subrev_nc_u32_e32 v3, 29, v2
	v_sub_nc_u32_e32 v2, 30, v2
	s_delay_alu instid0(VALU_DEP_2) | instskip(NEXT) | instid1(VALU_DEP_1)
	v_lshlrev_b64_e32 v[30:31], v3, v[120:121]
	v_and_b32_e32 v3, 3, v30
.LBB6_6169:                             ;   in Loop: Header=BB6_5133 Depth=2
	s_or_b32 exec_lo, exec_lo, s44
	v_bfe_i32 v23, v120, 0, 16
	s_delay_alu instid0(VALU_DEP_1) | instskip(NEXT) | instid1(VALU_DEP_1)
	v_and_b32_e32 v23, 0x80000000, v23
	v_lshl_add_u32 v2, v2, 23, v23
	s_delay_alu instid0(VALU_DEP_1) | instskip(NEXT) | instid1(VALU_DEP_1)
	v_lshl_or_b32 v2, v3, 21, v2
                                        ; implicit-def: $vgpr3
	v_add_nc_u32_e32 v2, 0x38000000, v2
.LBB6_6170:                             ;   in Loop: Header=BB6_5133 Depth=2
	s_and_not1_saveexec_b32 s43, s43
; %bb.6171:                             ;   in Loop: Header=BB6_5133 Depth=2
	v_cmp_lt_i16_e32 vcc_lo, -1, v120
	v_cndmask_b32_e32 v2, 0xff800000, v44, vcc_lo
	v_cmp_eq_u32_e32 vcc_lo, 0, v3
	s_delay_alu instid0(VALU_DEP_2)
	v_cndmask_b32_e32 v2, 0x7f800001, v2, vcc_lo
; %bb.6172:                             ;   in Loop: Header=BB6_5133 Depth=2
	s_or_b32 exec_lo, exec_lo, s43
.LBB6_6173:                             ;   in Loop: Header=BB6_5133 Depth=2
	s_delay_alu instid0(SALU_CYCLE_1)
	s_or_b32 exec_lo, exec_lo, s42
.LBB6_6174:                             ;   in Loop: Header=BB6_5133 Depth=2
	s_delay_alu instid0(SALU_CYCLE_1) | instskip(NEXT) | instid1(VALU_DEP_1)
	s_or_b32 exec_lo, exec_lo, s11
	v_dual_max_num_f32 v2, v2, v2 :: v_dual_max_num_f32 v1, v1, v1
	s_mov_b32 s11, 0
	s_delay_alu instid0(VALU_DEP_1)
	v_max_num_f32_e32 v1, v1, v2
.LBB6_6175:                             ;   in Loop: Header=BB6_5133 Depth=2
	s_and_b32 vcc_lo, exec_lo, s11
	s_cbranch_vccz .LBB6_6197
; %bb.6176:                             ;   in Loop: Header=BB6_5133 Depth=2
	v_dual_mov_b32 v2, 0 :: v_dual_mov_b32 v1, 0
	s_and_saveexec_b32 s11, s10
	s_cbranch_execz .LBB6_6186
; %bb.6177:                             ;   in Loop: Header=BB6_5133 Depth=2
	v_bfrev_b32_e32 v1, 1
	s_mov_b32 s10, exec_lo
	v_cmpx_ne_u16_e32 0xff80, v122
	s_cbranch_execz .LBB6_6185
; %bb.6178:                             ;   in Loop: Header=BB6_5133 Depth=2
	v_and_b32_e32 v1, 0x7c, v0
	v_and_b32_e32 v3, 3, v0
	s_delay_alu instid0(VALU_DEP_2) | instskip(SKIP_1) | instid1(SALU_CYCLE_1)
	v_cmp_ne_u32_e32 vcc_lo, 0x7c, v1
                                        ; implicit-def: $vgpr1
	s_and_saveexec_b32 s42, vcc_lo
	s_xor_b32 s42, exec_lo, s42
	s_cbranch_execz .LBB6_6182
; %bb.6179:                             ;   in Loop: Header=BB6_5133 Depth=2
	v_bfe_u32 v0, v0, 2, 5
	s_mov_b32 s43, exec_lo
	s_delay_alu instid0(VALU_DEP_1)
	v_cmpx_eq_u32_e32 0, v0
	s_cbranch_execz .LBB6_6181
; %bb.6180:                             ;   in Loop: Header=BB6_5133 Depth=2
	v_clz_i32_u32_e32 v0, v3
	s_delay_alu instid0(VALU_DEP_1) | instskip(SKIP_1) | instid1(VALU_DEP_2)
	v_min_u32_e32 v0, 32, v0
	v_mov_b32_e32 v123, v25
	v_subrev_nc_u32_e32 v1, 29, v0
	v_sub_nc_u32_e32 v0, 30, v0
	s_delay_alu instid0(VALU_DEP_2) | instskip(NEXT) | instid1(VALU_DEP_1)
	v_lshlrev_b64_e32 v[30:31], v1, v[122:123]
	v_and_b32_e32 v3, 3, v30
.LBB6_6181:                             ;   in Loop: Header=BB6_5133 Depth=2
	s_or_b32 exec_lo, exec_lo, s43
	v_bfe_i32 v1, v122, 0, 16
                                        ; implicit-def: $vgpr122
	s_delay_alu instid0(VALU_DEP_1) | instskip(NEXT) | instid1(VALU_DEP_1)
	v_and_b32_e32 v1, 0x80000000, v1
	v_lshl_add_u32 v0, v0, 23, v1
	s_delay_alu instid0(VALU_DEP_1) | instskip(NEXT) | instid1(VALU_DEP_1)
	v_lshl_or_b32 v0, v3, 21, v0
                                        ; implicit-def: $vgpr3
	v_add_nc_u32_e32 v1, 0x38000000, v0
.LBB6_6182:                             ;   in Loop: Header=BB6_5133 Depth=2
	s_and_not1_saveexec_b32 s42, s42
; %bb.6183:                             ;   in Loop: Header=BB6_5133 Depth=2
	v_cmp_lt_i16_e32 vcc_lo, -1, v122
	v_cndmask_b32_e32 v0, 0xff800000, v44, vcc_lo
	v_cmp_eq_u32_e32 vcc_lo, 0, v3
	s_delay_alu instid0(VALU_DEP_2)
	v_cndmask_b32_e32 v1, 0x7f800001, v0, vcc_lo
; %bb.6184:                             ;   in Loop: Header=BB6_5133 Depth=2
	s_or_b32 exec_lo, exec_lo, s42
.LBB6_6185:                             ;   in Loop: Header=BB6_5133 Depth=2
	s_delay_alu instid0(SALU_CYCLE_1)
	s_or_b32 exec_lo, exec_lo, s10
.LBB6_6186:                             ;   in Loop: Header=BB6_5133 Depth=2
	s_delay_alu instid0(SALU_CYCLE_1) | instskip(NEXT) | instid1(SALU_CYCLE_1)
	s_or_b32 exec_lo, exec_lo, s11
	s_mov_b32 s10, exec_lo
	v_cmpx_ne_u16_e32 0, v120
	s_cbranch_execz .LBB6_6196
; %bb.6187:                             ;   in Loop: Header=BB6_5133 Depth=2
	v_bfrev_b32_e32 v2, 1
	s_mov_b32 s11, exec_lo
	v_cmpx_ne_u16_e32 0xff80, v120
	s_cbranch_execz .LBB6_6195
; %bb.6188:                             ;   in Loop: Header=BB6_5133 Depth=2
	v_and_b32_e32 v2, 0x7c, v120
	v_and_b32_e32 v0, 3, v120
	s_delay_alu instid0(VALU_DEP_2) | instskip(SKIP_1) | instid1(SALU_CYCLE_1)
	v_cmp_ne_u32_e32 vcc_lo, 0x7c, v2
                                        ; implicit-def: $vgpr2
	s_and_saveexec_b32 s42, vcc_lo
	s_xor_b32 s42, exec_lo, s42
	s_cbranch_execz .LBB6_6192
; %bb.6189:                             ;   in Loop: Header=BB6_5133 Depth=2
	v_and_b32_e32 v2, 0xff, v120
	s_mov_b32 s43, exec_lo
	s_delay_alu instid0(VALU_DEP_1) | instskip(NEXT) | instid1(VALU_DEP_1)
	v_bfe_u32 v2, v2, 2, 5
	v_cmpx_eq_u32_e32 0, v2
; %bb.6190:                             ;   in Loop: Header=BB6_5133 Depth=2
	v_clz_i32_u32_e32 v0, v0
	s_delay_alu instid0(VALU_DEP_1) | instskip(SKIP_1) | instid1(VALU_DEP_2)
	v_min_u32_e32 v0, 32, v0
	v_mov_b32_e32 v121, v25
	v_subrev_nc_u32_e32 v2, 29, v0
	s_delay_alu instid0(VALU_DEP_1) | instskip(NEXT) | instid1(VALU_DEP_1)
	v_lshlrev_b64_e32 v[30:31], v2, v[120:121]
	v_dual_sub_nc_u32 v2, 30, v0 :: v_dual_bitop2_b32 v0, 3, v30 bitop3:0x40
; %bb.6191:                             ;   in Loop: Header=BB6_5133 Depth=2
	s_or_b32 exec_lo, exec_lo, s43
	v_bfe_i32 v3, v120, 0, 16
                                        ; implicit-def: $vgpr120
	s_delay_alu instid0(VALU_DEP_1) | instskip(NEXT) | instid1(VALU_DEP_1)
	v_and_b32_e32 v3, 0x80000000, v3
	v_lshl_add_u32 v2, v2, 23, v3
	s_delay_alu instid0(VALU_DEP_1) | instskip(NEXT) | instid1(VALU_DEP_1)
	v_lshl_or_b32 v0, v0, 21, v2
	v_add_nc_u32_e32 v2, 0x38000000, v0
                                        ; implicit-def: $vgpr0
.LBB6_6192:                             ;   in Loop: Header=BB6_5133 Depth=2
	s_and_not1_saveexec_b32 s42, s42
; %bb.6193:                             ;   in Loop: Header=BB6_5133 Depth=2
	v_cmp_lt_i16_e32 vcc_lo, -1, v120
	v_cndmask_b32_e32 v2, 0xff800000, v44, vcc_lo
	v_cmp_eq_u32_e32 vcc_lo, 0, v0
	s_delay_alu instid0(VALU_DEP_2)
	v_cndmask_b32_e32 v2, 0x7f800001, v2, vcc_lo
; %bb.6194:                             ;   in Loop: Header=BB6_5133 Depth=2
	s_or_b32 exec_lo, exec_lo, s42
.LBB6_6195:                             ;   in Loop: Header=BB6_5133 Depth=2
	s_delay_alu instid0(SALU_CYCLE_1)
	s_or_b32 exec_lo, exec_lo, s11
.LBB6_6196:                             ;   in Loop: Header=BB6_5133 Depth=2
	s_delay_alu instid0(SALU_CYCLE_1) | instskip(NEXT) | instid1(VALU_DEP_1)
	s_or_b32 exec_lo, exec_lo, s10
	v_dual_max_num_f32 v0, v2, v2 :: v_dual_max_num_f32 v1, v1, v1
	s_delay_alu instid0(VALU_DEP_1)
	v_min_num_f32_e32 v1, v1, v0
.LBB6_6197:                             ;   in Loop: Header=BB6_5133 Depth=2
	s_delay_alu instid0(VALU_DEP_1) | instskip(SKIP_3) | instid1(VALU_DEP_2)
	v_and_b32_e32 v2, 0x7f800000, v1
	v_mov_b32_e32 v3, v25
	v_and_b32_e32 v24, 0x7fffff, v1
                                        ; implicit-def: $vgpr30
	s_mov_b32 s10, exec_lo
	v_cmpx_ne_u64_e32 0x7f800000, v[2:3]
	s_xor_b32 s11, exec_lo, s10
	s_cbranch_execz .LBB6_6215
; %bb.6198:                             ;   in Loop: Header=BB6_5133 Depth=2
	v_dual_mov_b32 v3, v25 :: v_dual_lshrrev_b32 v0, 24, v1
	v_and_b32_e32 v2, 0x7fffffff, v1
                                        ; implicit-def: $vgpr30
	s_mov_b32 s10, exec_lo
	s_delay_alu instid0(VALU_DEP_2) | instskip(NEXT) | instid1(VALU_DEP_2)
	v_and_b32_e32 v23, 0x80, v0
	v_cmpx_gt_u64_e32 0x47600001, v[2:3]
	s_xor_b32 s42, exec_lo, s10
	s_cbranch_execz .LBB6_6212
; %bb.6199:                             ;   in Loop: Header=BB6_5133 Depth=2
	v_mov_b32_e32 v30, 0
	s_mov_b32 s43, exec_lo
	v_cmpx_ne_u32_e32 0, v1
	s_cbranch_execz .LBB6_6211
; %bb.6200:                             ;   in Loop: Header=BB6_5133 Depth=2
	v_bfe_u32 v27, v1, 23, 8
	v_or_b32_e32 v2, 0x800000, v24
	s_delay_alu instid0(VALU_DEP_2) | instskip(SKIP_1) | instid1(VALU_DEP_2)
	v_sub_nc_u32_e32 v0, 0x71, v27
	v_cmp_gt_u32_e32 vcc_lo, 0x72, v27
	v_cndmask_b32_e32 v0, 0, v0, vcc_lo
	v_cmp_eq_u32_e32 vcc_lo, 0, v27
	s_delay_alu instid0(VALU_DEP_2) | instskip(NEXT) | instid1(VALU_DEP_1)
	v_cndmask_b32_e64 v30, v0, 0x70, vcc_lo
	v_dual_cndmask_b32 v24, v2, v24, vcc_lo :: v_dual_add_nc_u32 v0, 21, v30
	v_add_nc_u32_e32 v3, 20, v30
	s_delay_alu instid0(VALU_DEP_2) | instskip(NEXT) | instid1(VALU_DEP_2)
	v_lshlrev_b64_e64 v[0:1], v0, -1
	v_lshlrev_b64_e64 v[2:3], v3, 1
	s_delay_alu instid0(VALU_DEP_2) | instskip(NEXT) | instid1(VALU_DEP_3)
	v_bfi_b32 v53, v1, 0, 0
	v_bfi_b32 v52, v0, 0, v24
	v_lshrrev_b64 v[0:1], v30, v[24:25]
	s_delay_alu instid0(VALU_DEP_2) | instskip(NEXT) | instid1(VALU_DEP_2)
	v_cmp_eq_u64_e64 s10, v[52:53], v[2:3]
	v_mov_b64_e32 v[2:3], v[0:1]
	s_and_saveexec_b32 s44, s10
; %bb.6201:                             ;   in Loop: Header=BB6_5133 Depth=2
	v_bfe_u32 v24, v0, 21, 1
	s_delay_alu instid0(VALU_DEP_1) | instskip(NEXT) | instid1(VALU_DEP_1)
	v_add_nc_u64_e32 v[2:3], v[0:1], v[24:25]
	v_add_nc_u64_e32 v[2:3], -1, v[2:3]
; %bb.6202:                             ;   in Loop: Header=BB6_5133 Depth=2
	s_or_b32 exec_lo, exec_lo, s44
	v_add_nc_u32_e32 v1, 0xffffff81, v27
	v_lshrrev_b32_e32 v3, 23, v0
	s_mov_b32 s10, exec_lo
	s_delay_alu instid0(VALU_DEP_2) | instskip(NEXT) | instid1(VALU_DEP_1)
	v_cndmask_b32_e64 v1, v1, 0xffffff82, vcc_lo
	v_add3_u32 v3, v30, v1, v3
	v_and_b32_e32 v1, 0x1fffff, v2
                                        ; implicit-def: $vgpr2
	s_delay_alu instid0(VALU_DEP_1) | instskip(NEXT) | instid1(VALU_DEP_1)
	v_dual_add_nc_u32 v27, 14, v3 :: v_dual_add_nc_u32 v24, v1, v0
                                        ; implicit-def: $vgpr0_vgpr1
	v_cmpx_ne_u32_e32 0, v27
	s_xor_b32 s10, exec_lo, s10
; %bb.6203:                             ;   in Loop: Header=BB6_5133 Depth=2
	s_delay_alu instid0(VALU_DEP_2) | instskip(SKIP_1) | instid1(VALU_DEP_1)
	v_cmp_lt_u64_e32 vcc_lo, 0xffffff, v[24:25]
	v_add_nc_u32_e32 v0, 15, v3
	v_cndmask_b32_e32 v2, v27, v0, vcc_lo
	v_cndmask_b32_e64 v0, 0, 1, vcc_lo
	s_delay_alu instid0(VALU_DEP_1)
	v_lshrrev_b64 v[0:1], v0, v[24:25]
; %bb.6204:                             ;   in Loop: Header=BB6_5133 Depth=2
	s_and_not1_saveexec_b32 s10, s10
; %bb.6205:                             ;   in Loop: Header=BB6_5133 Depth=2
	v_mov_b64_e32 v[0:1], v[24:25]
	v_bfe_u32 v2, v24, 23, 1
; %bb.6206:                             ;   in Loop: Header=BB6_5133 Depth=2
	s_or_b32 exec_lo, exec_lo, s10
	s_delay_alu instid0(VALU_DEP_2) | instskip(NEXT) | instid1(VALU_DEP_2)
	v_lshrrev_b64 v[0:1], 21, v[0:1]
	v_cmp_gt_i32_e32 vcc_lo, 32, v2
	v_cmp_ne_u32_e64 s10, 0, v2
                                        ; implicit-def: $vgpr30
	s_delay_alu instid0(VALU_DEP_3) | instskip(NEXT) | instid1(VALU_DEP_1)
	v_dual_cndmask_b32 v1, 0, v1 :: v_dual_cndmask_b32 v0, 3, v0
	v_cmp_ne_u64_e32 vcc_lo, 0, v[0:1]
	s_or_b32 s10, s10, vcc_lo
	s_delay_alu instid0(SALU_CYCLE_1) | instskip(NEXT) | instid1(SALU_CYCLE_1)
	s_and_saveexec_b32 s44, s10
	s_xor_b32 s10, exec_lo, s44
; %bb.6207:                             ;   in Loop: Header=BB6_5133 Depth=2
	v_min_i32_e32 v1, 31, v2
	s_delay_alu instid0(VALU_DEP_1) | instskip(NEXT) | instid1(VALU_DEP_1)
	v_lshl_or_b32 v1, v1, 2, v23
                                        ; implicit-def: $vgpr23
	v_and_or_b32 v30, v0, 3, v1
; %bb.6208:                             ;   in Loop: Header=BB6_5133 Depth=2
	s_and_not1_saveexec_b32 s10, s10
; %bb.6209:                             ;   in Loop: Header=BB6_5133 Depth=2
	v_mov_b32_e32 v30, v23
; %bb.6210:                             ;   in Loop: Header=BB6_5133 Depth=2
	s_or_b32 exec_lo, exec_lo, s10
.LBB6_6211:                             ;   in Loop: Header=BB6_5133 Depth=2
	s_delay_alu instid0(SALU_CYCLE_1)
	s_or_b32 exec_lo, exec_lo, s43
                                        ; implicit-def: $vgpr23
.LBB6_6212:                             ;   in Loop: Header=BB6_5133 Depth=2
	s_and_not1_saveexec_b32 s10, s42
; %bb.6213:                             ;   in Loop: Header=BB6_5133 Depth=2
	v_or_b32_e32 v30, 0x7b, v23
; %bb.6214:                             ;   in Loop: Header=BB6_5133 Depth=2
	s_or_b32 exec_lo, exec_lo, s10
                                        ; implicit-def: $vgpr1
.LBB6_6215:                             ;   in Loop: Header=BB6_5133 Depth=2
	s_and_not1_saveexec_b32 s10, s11
	s_cbranch_execz .LBB6_6221
; %bb.6216:                             ;   in Loop: Header=BB6_5133 Depth=2
	s_mov_b32 s11, exec_lo
                                        ; implicit-def: $vgpr30
	v_cmpx_ne_u64_e32 0, v[24:25]
	s_xor_b32 s11, exec_lo, s11
; %bb.6217:                             ;   in Loop: Header=BB6_5133 Depth=2
	v_lshrrev_b32_e32 v0, 24, v1
                                        ; implicit-def: $vgpr1
	s_delay_alu instid0(VALU_DEP_1)
	v_or_b32_e32 v30, 0x7f, v0
; %bb.6218:                             ;   in Loop: Header=BB6_5133 Depth=2
	s_and_not1_saveexec_b32 s11, s11
; %bb.6219:                             ;   in Loop: Header=BB6_5133 Depth=2
	v_cmp_lt_i32_e32 vcc_lo, -1, v1
	v_cndmask_b32_e64 v30, -4, 0x7c, vcc_lo
; %bb.6220:                             ;   in Loop: Header=BB6_5133 Depth=2
	s_or_b32 exec_lo, exec_lo, s11
.LBB6_6221:                             ;   in Loop: Header=BB6_5133 Depth=2
	s_delay_alu instid0(SALU_CYCLE_1)
	s_or_b32 exec_lo, exec_lo, s10
	v_and_b32_e32 v0, 0xff, v110
	v_cmp_ne_u16_e64 s10, 0, v110
	s_and_not1_b32 vcc_lo, exec_lo, s15
	s_mov_b32 s11, -1
                                        ; implicit-def: $vgpr1
	s_cbranch_vccnz .LBB6_6243
; %bb.6222:                             ;   in Loop: Header=BB6_5133 Depth=2
	v_dual_mov_b32 v2, 0 :: v_dual_mov_b32 v1, 0
	s_and_saveexec_b32 s11, s10
	s_cbranch_execz .LBB6_6232
; %bb.6223:                             ;   in Loop: Header=BB6_5133 Depth=2
	v_bfrev_b32_e32 v1, 1
	s_mov_b32 s42, exec_lo
	v_cmpx_ne_u16_e32 0xff80, v110
	s_cbranch_execz .LBB6_6231
; %bb.6224:                             ;   in Loop: Header=BB6_5133 Depth=2
	v_and_b32_e32 v1, 0x7c, v0
	v_and_b32_e32 v3, 3, v0
	s_delay_alu instid0(VALU_DEP_2) | instskip(SKIP_1) | instid1(SALU_CYCLE_1)
	v_cmp_ne_u32_e32 vcc_lo, 0x7c, v1
                                        ; implicit-def: $vgpr1
	s_and_saveexec_b32 s43, vcc_lo
	s_xor_b32 s43, exec_lo, s43
	s_cbranch_execz .LBB6_6228
; %bb.6225:                             ;   in Loop: Header=BB6_5133 Depth=2
	v_bfe_u32 v1, v0, 2, 5
	s_mov_b32 s44, exec_lo
	s_delay_alu instid0(VALU_DEP_1)
	v_cmpx_eq_u32_e32 0, v1
	s_cbranch_execz .LBB6_6227
; %bb.6226:                             ;   in Loop: Header=BB6_5133 Depth=2
	v_clz_i32_u32_e32 v1, v3
	s_delay_alu instid0(VALU_DEP_1) | instskip(SKIP_1) | instid1(VALU_DEP_2)
	v_min_u32_e32 v1, 32, v1
	v_mov_b32_e32 v111, v25
	v_subrev_nc_u32_e32 v3, 29, v1
	v_sub_nc_u32_e32 v1, 30, v1
	s_delay_alu instid0(VALU_DEP_2) | instskip(NEXT) | instid1(VALU_DEP_1)
	v_lshlrev_b64_e32 v[52:53], v3, v[110:111]
	v_and_b32_e32 v3, 3, v52
.LBB6_6227:                             ;   in Loop: Header=BB6_5133 Depth=2
	s_or_b32 exec_lo, exec_lo, s44
	v_bfe_i32 v23, v110, 0, 16
	s_delay_alu instid0(VALU_DEP_1) | instskip(NEXT) | instid1(VALU_DEP_1)
	v_and_b32_e32 v23, 0x80000000, v23
	v_lshl_add_u32 v1, v1, 23, v23
	s_delay_alu instid0(VALU_DEP_1) | instskip(NEXT) | instid1(VALU_DEP_1)
	v_lshl_or_b32 v1, v3, 21, v1
                                        ; implicit-def: $vgpr3
	v_add_nc_u32_e32 v1, 0x38000000, v1
.LBB6_6228:                             ;   in Loop: Header=BB6_5133 Depth=2
	s_and_not1_saveexec_b32 s43, s43
; %bb.6229:                             ;   in Loop: Header=BB6_5133 Depth=2
	v_cmp_lt_i16_e32 vcc_lo, -1, v110
	v_cndmask_b32_e32 v1, 0xff800000, v44, vcc_lo
	v_cmp_eq_u32_e32 vcc_lo, 0, v3
	s_delay_alu instid0(VALU_DEP_2)
	v_cndmask_b32_e32 v1, 0x7f800001, v1, vcc_lo
; %bb.6230:                             ;   in Loop: Header=BB6_5133 Depth=2
	s_or_b32 exec_lo, exec_lo, s43
.LBB6_6231:                             ;   in Loop: Header=BB6_5133 Depth=2
	s_delay_alu instid0(SALU_CYCLE_1)
	s_or_b32 exec_lo, exec_lo, s42
.LBB6_6232:                             ;   in Loop: Header=BB6_5133 Depth=2
	s_delay_alu instid0(SALU_CYCLE_1) | instskip(NEXT) | instid1(SALU_CYCLE_1)
	s_or_b32 exec_lo, exec_lo, s11
	s_mov_b32 s11, exec_lo
	v_cmpx_ne_u16_e32 0, v108
	s_cbranch_execz .LBB6_6242
; %bb.6233:                             ;   in Loop: Header=BB6_5133 Depth=2
	v_bfrev_b32_e32 v2, 1
	s_mov_b32 s42, exec_lo
	v_cmpx_ne_u16_e32 0xff80, v108
	s_cbranch_execz .LBB6_6241
; %bb.6234:                             ;   in Loop: Header=BB6_5133 Depth=2
	v_and_b32_e32 v2, 0x7c, v108
	v_and_b32_e32 v3, 3, v108
	s_delay_alu instid0(VALU_DEP_2) | instskip(SKIP_1) | instid1(SALU_CYCLE_1)
	v_cmp_ne_u32_e32 vcc_lo, 0x7c, v2
                                        ; implicit-def: $vgpr2
	s_and_saveexec_b32 s43, vcc_lo
	s_xor_b32 s43, exec_lo, s43
	s_cbranch_execz .LBB6_6238
; %bb.6235:                             ;   in Loop: Header=BB6_5133 Depth=2
	v_and_b32_e32 v2, 0xff, v108
	s_mov_b32 s44, exec_lo
	s_delay_alu instid0(VALU_DEP_1) | instskip(NEXT) | instid1(VALU_DEP_1)
	v_bfe_u32 v2, v2, 2, 5
	v_cmpx_eq_u32_e32 0, v2
	s_cbranch_execz .LBB6_6237
; %bb.6236:                             ;   in Loop: Header=BB6_5133 Depth=2
	v_clz_i32_u32_e32 v2, v3
	s_delay_alu instid0(VALU_DEP_1) | instskip(SKIP_1) | instid1(VALU_DEP_2)
	v_min_u32_e32 v2, 32, v2
	v_mov_b32_e32 v109, v25
	v_subrev_nc_u32_e32 v3, 29, v2
	v_sub_nc_u32_e32 v2, 30, v2
	s_delay_alu instid0(VALU_DEP_2) | instskip(NEXT) | instid1(VALU_DEP_1)
	v_lshlrev_b64_e32 v[52:53], v3, v[108:109]
	v_and_b32_e32 v3, 3, v52
.LBB6_6237:                             ;   in Loop: Header=BB6_5133 Depth=2
	s_or_b32 exec_lo, exec_lo, s44
	v_bfe_i32 v23, v108, 0, 16
	s_delay_alu instid0(VALU_DEP_1) | instskip(NEXT) | instid1(VALU_DEP_1)
	v_and_b32_e32 v23, 0x80000000, v23
	v_lshl_add_u32 v2, v2, 23, v23
	s_delay_alu instid0(VALU_DEP_1) | instskip(NEXT) | instid1(VALU_DEP_1)
	v_lshl_or_b32 v2, v3, 21, v2
                                        ; implicit-def: $vgpr3
	v_add_nc_u32_e32 v2, 0x38000000, v2
.LBB6_6238:                             ;   in Loop: Header=BB6_5133 Depth=2
	s_and_not1_saveexec_b32 s43, s43
; %bb.6239:                             ;   in Loop: Header=BB6_5133 Depth=2
	v_cmp_lt_i16_e32 vcc_lo, -1, v108
	v_cndmask_b32_e32 v2, 0xff800000, v44, vcc_lo
	v_cmp_eq_u32_e32 vcc_lo, 0, v3
	s_delay_alu instid0(VALU_DEP_2)
	v_cndmask_b32_e32 v2, 0x7f800001, v2, vcc_lo
; %bb.6240:                             ;   in Loop: Header=BB6_5133 Depth=2
	s_or_b32 exec_lo, exec_lo, s43
.LBB6_6241:                             ;   in Loop: Header=BB6_5133 Depth=2
	s_delay_alu instid0(SALU_CYCLE_1)
	s_or_b32 exec_lo, exec_lo, s42
.LBB6_6242:                             ;   in Loop: Header=BB6_5133 Depth=2
	s_delay_alu instid0(SALU_CYCLE_1) | instskip(NEXT) | instid1(VALU_DEP_1)
	s_or_b32 exec_lo, exec_lo, s11
	v_dual_max_num_f32 v2, v2, v2 :: v_dual_max_num_f32 v1, v1, v1
	s_mov_b32 s11, 0
	s_delay_alu instid0(VALU_DEP_1)
	v_max_num_f32_e32 v1, v1, v2
.LBB6_6243:                             ;   in Loop: Header=BB6_5133 Depth=2
	s_and_b32 vcc_lo, exec_lo, s11
	s_cbranch_vccz .LBB6_6265
; %bb.6244:                             ;   in Loop: Header=BB6_5133 Depth=2
	v_dual_mov_b32 v2, 0 :: v_dual_mov_b32 v1, 0
	s_and_saveexec_b32 s11, s10
	s_cbranch_execz .LBB6_6254
; %bb.6245:                             ;   in Loop: Header=BB6_5133 Depth=2
	v_bfrev_b32_e32 v1, 1
	s_mov_b32 s10, exec_lo
	v_cmpx_ne_u16_e32 0xff80, v110
	s_cbranch_execz .LBB6_6253
; %bb.6246:                             ;   in Loop: Header=BB6_5133 Depth=2
	v_and_b32_e32 v1, 0x7c, v0
	v_and_b32_e32 v3, 3, v0
	s_delay_alu instid0(VALU_DEP_2) | instskip(SKIP_1) | instid1(SALU_CYCLE_1)
	v_cmp_ne_u32_e32 vcc_lo, 0x7c, v1
                                        ; implicit-def: $vgpr1
	s_and_saveexec_b32 s42, vcc_lo
	s_xor_b32 s42, exec_lo, s42
	s_cbranch_execz .LBB6_6250
; %bb.6247:                             ;   in Loop: Header=BB6_5133 Depth=2
	v_bfe_u32 v0, v0, 2, 5
	s_mov_b32 s43, exec_lo
	s_delay_alu instid0(VALU_DEP_1)
	v_cmpx_eq_u32_e32 0, v0
	s_cbranch_execz .LBB6_6249
; %bb.6248:                             ;   in Loop: Header=BB6_5133 Depth=2
	v_clz_i32_u32_e32 v0, v3
	s_delay_alu instid0(VALU_DEP_1) | instskip(SKIP_1) | instid1(VALU_DEP_2)
	v_min_u32_e32 v0, 32, v0
	v_mov_b32_e32 v111, v25
	v_subrev_nc_u32_e32 v1, 29, v0
	v_sub_nc_u32_e32 v0, 30, v0
	s_delay_alu instid0(VALU_DEP_2) | instskip(NEXT) | instid1(VALU_DEP_1)
	v_lshlrev_b64_e32 v[52:53], v1, v[110:111]
	v_and_b32_e32 v3, 3, v52
.LBB6_6249:                             ;   in Loop: Header=BB6_5133 Depth=2
	s_or_b32 exec_lo, exec_lo, s43
	v_bfe_i32 v1, v110, 0, 16
                                        ; implicit-def: $vgpr110
	s_delay_alu instid0(VALU_DEP_1) | instskip(NEXT) | instid1(VALU_DEP_1)
	v_and_b32_e32 v1, 0x80000000, v1
	v_lshl_add_u32 v0, v0, 23, v1
	s_delay_alu instid0(VALU_DEP_1) | instskip(NEXT) | instid1(VALU_DEP_1)
	v_lshl_or_b32 v0, v3, 21, v0
                                        ; implicit-def: $vgpr3
	v_add_nc_u32_e32 v1, 0x38000000, v0
.LBB6_6250:                             ;   in Loop: Header=BB6_5133 Depth=2
	s_and_not1_saveexec_b32 s42, s42
; %bb.6251:                             ;   in Loop: Header=BB6_5133 Depth=2
	v_cmp_lt_i16_e32 vcc_lo, -1, v110
	v_cndmask_b32_e32 v0, 0xff800000, v44, vcc_lo
	v_cmp_eq_u32_e32 vcc_lo, 0, v3
	s_delay_alu instid0(VALU_DEP_2)
	v_cndmask_b32_e32 v1, 0x7f800001, v0, vcc_lo
; %bb.6252:                             ;   in Loop: Header=BB6_5133 Depth=2
	s_or_b32 exec_lo, exec_lo, s42
.LBB6_6253:                             ;   in Loop: Header=BB6_5133 Depth=2
	s_delay_alu instid0(SALU_CYCLE_1)
	s_or_b32 exec_lo, exec_lo, s10
.LBB6_6254:                             ;   in Loop: Header=BB6_5133 Depth=2
	s_delay_alu instid0(SALU_CYCLE_1) | instskip(NEXT) | instid1(SALU_CYCLE_1)
	s_or_b32 exec_lo, exec_lo, s11
	s_mov_b32 s10, exec_lo
	v_cmpx_ne_u16_e32 0, v108
	s_cbranch_execz .LBB6_6264
; %bb.6255:                             ;   in Loop: Header=BB6_5133 Depth=2
	v_bfrev_b32_e32 v2, 1
	s_mov_b32 s11, exec_lo
	v_cmpx_ne_u16_e32 0xff80, v108
	s_cbranch_execz .LBB6_6263
; %bb.6256:                             ;   in Loop: Header=BB6_5133 Depth=2
	v_and_b32_e32 v2, 0x7c, v108
	v_and_b32_e32 v0, 3, v108
	s_delay_alu instid0(VALU_DEP_2) | instskip(SKIP_1) | instid1(SALU_CYCLE_1)
	v_cmp_ne_u32_e32 vcc_lo, 0x7c, v2
                                        ; implicit-def: $vgpr2
	s_and_saveexec_b32 s42, vcc_lo
	s_xor_b32 s42, exec_lo, s42
	s_cbranch_execz .LBB6_6260
; %bb.6257:                             ;   in Loop: Header=BB6_5133 Depth=2
	v_and_b32_e32 v2, 0xff, v108
	s_mov_b32 s43, exec_lo
	s_delay_alu instid0(VALU_DEP_1) | instskip(NEXT) | instid1(VALU_DEP_1)
	v_bfe_u32 v2, v2, 2, 5
	v_cmpx_eq_u32_e32 0, v2
	s_cbranch_execz .LBB6_6259
; %bb.6258:                             ;   in Loop: Header=BB6_5133 Depth=2
	v_clz_i32_u32_e32 v0, v0
	s_delay_alu instid0(VALU_DEP_1) | instskip(SKIP_1) | instid1(VALU_DEP_2)
	v_min_u32_e32 v0, 32, v0
	v_mov_b32_e32 v109, v25
	v_subrev_nc_u32_e32 v2, 29, v0
	s_delay_alu instid0(VALU_DEP_1) | instskip(SKIP_1) | instid1(VALU_DEP_2)
	v_lshlrev_b64_e32 v[52:53], v2, v[108:109]
	v_sub_nc_u32_e32 v2, 30, v0
	v_and_b32_e32 v0, 3, v52
.LBB6_6259:                             ;   in Loop: Header=BB6_5133 Depth=2
	s_or_b32 exec_lo, exec_lo, s43
	v_bfe_i32 v3, v108, 0, 16
                                        ; implicit-def: $vgpr108
	s_delay_alu instid0(VALU_DEP_1) | instskip(NEXT) | instid1(VALU_DEP_1)
	v_and_b32_e32 v3, 0x80000000, v3
	v_lshl_add_u32 v2, v2, 23, v3
	s_delay_alu instid0(VALU_DEP_1) | instskip(NEXT) | instid1(VALU_DEP_1)
	v_lshl_or_b32 v0, v0, 21, v2
	v_add_nc_u32_e32 v2, 0x38000000, v0
                                        ; implicit-def: $vgpr0
.LBB6_6260:                             ;   in Loop: Header=BB6_5133 Depth=2
	s_and_not1_saveexec_b32 s42, s42
; %bb.6261:                             ;   in Loop: Header=BB6_5133 Depth=2
	v_cmp_lt_i16_e32 vcc_lo, -1, v108
	v_cndmask_b32_e32 v2, 0xff800000, v44, vcc_lo
	v_cmp_eq_u32_e32 vcc_lo, 0, v0
	s_delay_alu instid0(VALU_DEP_2)
	v_cndmask_b32_e32 v2, 0x7f800001, v2, vcc_lo
; %bb.6262:                             ;   in Loop: Header=BB6_5133 Depth=2
	s_or_b32 exec_lo, exec_lo, s42
.LBB6_6263:                             ;   in Loop: Header=BB6_5133 Depth=2
	s_delay_alu instid0(SALU_CYCLE_1)
	s_or_b32 exec_lo, exec_lo, s11
.LBB6_6264:                             ;   in Loop: Header=BB6_5133 Depth=2
	s_delay_alu instid0(SALU_CYCLE_1) | instskip(NEXT) | instid1(VALU_DEP_1)
	s_or_b32 exec_lo, exec_lo, s10
	v_dual_max_num_f32 v0, v2, v2 :: v_dual_max_num_f32 v1, v1, v1
	s_delay_alu instid0(VALU_DEP_1)
	v_min_num_f32_e32 v1, v1, v0
.LBB6_6265:                             ;   in Loop: Header=BB6_5133 Depth=2
	s_delay_alu instid0(VALU_DEP_1) | instskip(SKIP_3) | instid1(VALU_DEP_2)
	v_and_b32_e32 v2, 0x7f800000, v1
	v_mov_b32_e32 v3, v25
	v_and_b32_e32 v24, 0x7fffff, v1
                                        ; implicit-def: $vgpr31
	s_mov_b32 s10, exec_lo
	v_cmpx_ne_u64_e32 0x7f800000, v[2:3]
	s_xor_b32 s11, exec_lo, s10
	s_cbranch_execz .LBB6_6283
; %bb.6266:                             ;   in Loop: Header=BB6_5133 Depth=2
	v_dual_mov_b32 v3, v25 :: v_dual_lshrrev_b32 v0, 24, v1
	v_and_b32_e32 v2, 0x7fffffff, v1
                                        ; implicit-def: $vgpr31
	s_mov_b32 s10, exec_lo
	s_delay_alu instid0(VALU_DEP_2) | instskip(NEXT) | instid1(VALU_DEP_2)
	v_and_b32_e32 v23, 0x80, v0
	v_cmpx_gt_u64_e32 0x47600001, v[2:3]
	s_xor_b32 s42, exec_lo, s10
	s_cbranch_execz .LBB6_6280
; %bb.6267:                             ;   in Loop: Header=BB6_5133 Depth=2
	v_mov_b32_e32 v31, 0
	s_mov_b32 s43, exec_lo
	v_cmpx_ne_u32_e32 0, v1
	s_cbranch_execz .LBB6_6279
; %bb.6268:                             ;   in Loop: Header=BB6_5133 Depth=2
	v_bfe_u32 v27, v1, 23, 8
	v_or_b32_e32 v2, 0x800000, v24
	s_delay_alu instid0(VALU_DEP_2) | instskip(SKIP_1) | instid1(VALU_DEP_2)
	v_sub_nc_u32_e32 v0, 0x71, v27
	v_cmp_gt_u32_e32 vcc_lo, 0x72, v27
	v_cndmask_b32_e32 v0, 0, v0, vcc_lo
	v_cmp_eq_u32_e32 vcc_lo, 0, v27
	s_delay_alu instid0(VALU_DEP_2) | instskip(NEXT) | instid1(VALU_DEP_1)
	v_cndmask_b32_e64 v31, v0, 0x70, vcc_lo
	v_dual_cndmask_b32 v24, v2, v24, vcc_lo :: v_dual_add_nc_u32 v0, 21, v31
	v_add_nc_u32_e32 v3, 20, v31
	s_delay_alu instid0(VALU_DEP_2) | instskip(NEXT) | instid1(VALU_DEP_2)
	v_lshlrev_b64_e64 v[0:1], v0, -1
	v_lshlrev_b64_e64 v[2:3], v3, 1
	s_delay_alu instid0(VALU_DEP_2) | instskip(NEXT) | instid1(VALU_DEP_3)
	v_bfi_b32 v53, v1, 0, 0
	v_bfi_b32 v52, v0, 0, v24
	v_lshrrev_b64 v[0:1], v31, v[24:25]
	s_delay_alu instid0(VALU_DEP_2) | instskip(NEXT) | instid1(VALU_DEP_2)
	v_cmp_eq_u64_e64 s10, v[52:53], v[2:3]
	v_mov_b64_e32 v[2:3], v[0:1]
	s_and_saveexec_b32 s44, s10
; %bb.6269:                             ;   in Loop: Header=BB6_5133 Depth=2
	v_bfe_u32 v24, v0, 21, 1
	s_delay_alu instid0(VALU_DEP_1) | instskip(NEXT) | instid1(VALU_DEP_1)
	v_add_nc_u64_e32 v[2:3], v[0:1], v[24:25]
	v_add_nc_u64_e32 v[2:3], -1, v[2:3]
; %bb.6270:                             ;   in Loop: Header=BB6_5133 Depth=2
	s_or_b32 exec_lo, exec_lo, s44
	v_add_nc_u32_e32 v1, 0xffffff81, v27
	v_lshrrev_b32_e32 v3, 23, v0
	s_mov_b32 s10, exec_lo
	s_delay_alu instid0(VALU_DEP_2) | instskip(NEXT) | instid1(VALU_DEP_1)
	v_cndmask_b32_e64 v1, v1, 0xffffff82, vcc_lo
	v_add3_u32 v3, v31, v1, v3
	v_and_b32_e32 v1, 0x1fffff, v2
                                        ; implicit-def: $vgpr2
	s_delay_alu instid0(VALU_DEP_1) | instskip(NEXT) | instid1(VALU_DEP_1)
	v_dual_add_nc_u32 v27, 14, v3 :: v_dual_add_nc_u32 v24, v1, v0
                                        ; implicit-def: $vgpr0_vgpr1
	v_cmpx_ne_u32_e32 0, v27
	s_xor_b32 s10, exec_lo, s10
; %bb.6271:                             ;   in Loop: Header=BB6_5133 Depth=2
	s_delay_alu instid0(VALU_DEP_2) | instskip(SKIP_1) | instid1(VALU_DEP_1)
	v_cmp_lt_u64_e32 vcc_lo, 0xffffff, v[24:25]
	v_add_nc_u32_e32 v0, 15, v3
	v_cndmask_b32_e32 v2, v27, v0, vcc_lo
	v_cndmask_b32_e64 v0, 0, 1, vcc_lo
	s_delay_alu instid0(VALU_DEP_1)
	v_lshrrev_b64 v[0:1], v0, v[24:25]
; %bb.6272:                             ;   in Loop: Header=BB6_5133 Depth=2
	s_and_not1_saveexec_b32 s10, s10
; %bb.6273:                             ;   in Loop: Header=BB6_5133 Depth=2
	v_mov_b64_e32 v[0:1], v[24:25]
	v_bfe_u32 v2, v24, 23, 1
; %bb.6274:                             ;   in Loop: Header=BB6_5133 Depth=2
	s_or_b32 exec_lo, exec_lo, s10
	s_delay_alu instid0(VALU_DEP_2) | instskip(NEXT) | instid1(VALU_DEP_2)
	v_lshrrev_b64 v[0:1], 21, v[0:1]
	v_cmp_gt_i32_e32 vcc_lo, 32, v2
	v_cmp_ne_u32_e64 s10, 0, v2
                                        ; implicit-def: $vgpr31
	s_delay_alu instid0(VALU_DEP_3) | instskip(NEXT) | instid1(VALU_DEP_1)
	v_dual_cndmask_b32 v1, 0, v1 :: v_dual_cndmask_b32 v0, 3, v0
	v_cmp_ne_u64_e32 vcc_lo, 0, v[0:1]
	s_or_b32 s10, s10, vcc_lo
	s_delay_alu instid0(SALU_CYCLE_1) | instskip(NEXT) | instid1(SALU_CYCLE_1)
	s_and_saveexec_b32 s44, s10
	s_xor_b32 s10, exec_lo, s44
; %bb.6275:                             ;   in Loop: Header=BB6_5133 Depth=2
	v_min_i32_e32 v1, 31, v2
	s_delay_alu instid0(VALU_DEP_1) | instskip(NEXT) | instid1(VALU_DEP_1)
	v_lshl_or_b32 v1, v1, 2, v23
                                        ; implicit-def: $vgpr23
	v_and_or_b32 v31, v0, 3, v1
; %bb.6276:                             ;   in Loop: Header=BB6_5133 Depth=2
	s_and_not1_saveexec_b32 s10, s10
; %bb.6277:                             ;   in Loop: Header=BB6_5133 Depth=2
	v_mov_b32_e32 v31, v23
; %bb.6278:                             ;   in Loop: Header=BB6_5133 Depth=2
	s_or_b32 exec_lo, exec_lo, s10
.LBB6_6279:                             ;   in Loop: Header=BB6_5133 Depth=2
	s_delay_alu instid0(SALU_CYCLE_1)
	s_or_b32 exec_lo, exec_lo, s43
                                        ; implicit-def: $vgpr23
.LBB6_6280:                             ;   in Loop: Header=BB6_5133 Depth=2
	s_and_not1_saveexec_b32 s10, s42
; %bb.6281:                             ;   in Loop: Header=BB6_5133 Depth=2
	v_or_b32_e32 v31, 0x7b, v23
; %bb.6282:                             ;   in Loop: Header=BB6_5133 Depth=2
	s_or_b32 exec_lo, exec_lo, s10
                                        ; implicit-def: $vgpr1
.LBB6_6283:                             ;   in Loop: Header=BB6_5133 Depth=2
	s_and_not1_saveexec_b32 s10, s11
	s_cbranch_execz .LBB6_6289
; %bb.6284:                             ;   in Loop: Header=BB6_5133 Depth=2
	s_mov_b32 s11, exec_lo
                                        ; implicit-def: $vgpr31
	v_cmpx_ne_u64_e32 0, v[24:25]
	s_xor_b32 s11, exec_lo, s11
; %bb.6285:                             ;   in Loop: Header=BB6_5133 Depth=2
	v_lshrrev_b32_e32 v0, 24, v1
                                        ; implicit-def: $vgpr1
	s_delay_alu instid0(VALU_DEP_1)
	v_or_b32_e32 v31, 0x7f, v0
; %bb.6286:                             ;   in Loop: Header=BB6_5133 Depth=2
	s_and_not1_saveexec_b32 s11, s11
; %bb.6287:                             ;   in Loop: Header=BB6_5133 Depth=2
	v_cmp_lt_i32_e32 vcc_lo, -1, v1
	v_cndmask_b32_e64 v31, -4, 0x7c, vcc_lo
; %bb.6288:                             ;   in Loop: Header=BB6_5133 Depth=2
	s_or_b32 exec_lo, exec_lo, s11
.LBB6_6289:                             ;   in Loop: Header=BB6_5133 Depth=2
	s_delay_alu instid0(SALU_CYCLE_1)
	s_or_b32 exec_lo, exec_lo, s10
	v_and_b32_e32 v0, 0xff, v106
	v_cmp_ne_u16_e64 s10, 0, v106
	s_and_not1_b32 vcc_lo, exec_lo, s15
	s_mov_b32 s11, -1
                                        ; implicit-def: $vgpr1
	s_cbranch_vccnz .LBB6_6311
; %bb.6290:                             ;   in Loop: Header=BB6_5133 Depth=2
	v_dual_mov_b32 v2, 0 :: v_dual_mov_b32 v1, 0
	s_and_saveexec_b32 s11, s10
	s_cbranch_execz .LBB6_6300
; %bb.6291:                             ;   in Loop: Header=BB6_5133 Depth=2
	v_bfrev_b32_e32 v1, 1
	s_mov_b32 s42, exec_lo
	v_cmpx_ne_u16_e32 0xff80, v106
	s_cbranch_execz .LBB6_6299
; %bb.6292:                             ;   in Loop: Header=BB6_5133 Depth=2
	v_and_b32_e32 v1, 0x7c, v0
	v_and_b32_e32 v3, 3, v0
	s_delay_alu instid0(VALU_DEP_2) | instskip(SKIP_1) | instid1(SALU_CYCLE_1)
	v_cmp_ne_u32_e32 vcc_lo, 0x7c, v1
                                        ; implicit-def: $vgpr1
	s_and_saveexec_b32 s43, vcc_lo
	s_xor_b32 s43, exec_lo, s43
	s_cbranch_execz .LBB6_6296
; %bb.6293:                             ;   in Loop: Header=BB6_5133 Depth=2
	v_bfe_u32 v1, v0, 2, 5
	s_mov_b32 s44, exec_lo
	s_delay_alu instid0(VALU_DEP_1)
	v_cmpx_eq_u32_e32 0, v1
	s_cbranch_execz .LBB6_6295
; %bb.6294:                             ;   in Loop: Header=BB6_5133 Depth=2
	v_clz_i32_u32_e32 v1, v3
	s_delay_alu instid0(VALU_DEP_1) | instskip(SKIP_1) | instid1(VALU_DEP_2)
	v_min_u32_e32 v1, 32, v1
	v_mov_b32_e32 v107, v25
	v_subrev_nc_u32_e32 v3, 29, v1
	v_sub_nc_u32_e32 v1, 30, v1
	s_delay_alu instid0(VALU_DEP_2) | instskip(NEXT) | instid1(VALU_DEP_1)
	v_lshlrev_b64_e32 v[52:53], v3, v[106:107]
	v_and_b32_e32 v3, 3, v52
.LBB6_6295:                             ;   in Loop: Header=BB6_5133 Depth=2
	s_or_b32 exec_lo, exec_lo, s44
	v_bfe_i32 v23, v106, 0, 16
	s_delay_alu instid0(VALU_DEP_1) | instskip(NEXT) | instid1(VALU_DEP_1)
	v_and_b32_e32 v23, 0x80000000, v23
	v_lshl_add_u32 v1, v1, 23, v23
	s_delay_alu instid0(VALU_DEP_1) | instskip(NEXT) | instid1(VALU_DEP_1)
	v_lshl_or_b32 v1, v3, 21, v1
                                        ; implicit-def: $vgpr3
	v_add_nc_u32_e32 v1, 0x38000000, v1
.LBB6_6296:                             ;   in Loop: Header=BB6_5133 Depth=2
	s_and_not1_saveexec_b32 s43, s43
; %bb.6297:                             ;   in Loop: Header=BB6_5133 Depth=2
	v_cmp_lt_i16_e32 vcc_lo, -1, v106
	v_cndmask_b32_e32 v1, 0xff800000, v44, vcc_lo
	v_cmp_eq_u32_e32 vcc_lo, 0, v3
	s_delay_alu instid0(VALU_DEP_2)
	v_cndmask_b32_e32 v1, 0x7f800001, v1, vcc_lo
; %bb.6298:                             ;   in Loop: Header=BB6_5133 Depth=2
	s_or_b32 exec_lo, exec_lo, s43
.LBB6_6299:                             ;   in Loop: Header=BB6_5133 Depth=2
	s_delay_alu instid0(SALU_CYCLE_1)
	s_or_b32 exec_lo, exec_lo, s42
.LBB6_6300:                             ;   in Loop: Header=BB6_5133 Depth=2
	s_delay_alu instid0(SALU_CYCLE_1) | instskip(NEXT) | instid1(SALU_CYCLE_1)
	s_or_b32 exec_lo, exec_lo, s11
	s_mov_b32 s11, exec_lo
	v_cmpx_ne_u16_e32 0, v104
	s_cbranch_execz .LBB6_6310
; %bb.6301:                             ;   in Loop: Header=BB6_5133 Depth=2
	v_bfrev_b32_e32 v2, 1
	s_mov_b32 s42, exec_lo
	v_cmpx_ne_u16_e32 0xff80, v104
	s_cbranch_execz .LBB6_6309
; %bb.6302:                             ;   in Loop: Header=BB6_5133 Depth=2
	v_and_b32_e32 v2, 0x7c, v104
	v_and_b32_e32 v3, 3, v104
	s_delay_alu instid0(VALU_DEP_2) | instskip(SKIP_1) | instid1(SALU_CYCLE_1)
	v_cmp_ne_u32_e32 vcc_lo, 0x7c, v2
                                        ; implicit-def: $vgpr2
	s_and_saveexec_b32 s43, vcc_lo
	s_xor_b32 s43, exec_lo, s43
	s_cbranch_execz .LBB6_6306
; %bb.6303:                             ;   in Loop: Header=BB6_5133 Depth=2
	v_and_b32_e32 v2, 0xff, v104
	s_mov_b32 s44, exec_lo
	s_delay_alu instid0(VALU_DEP_1) | instskip(NEXT) | instid1(VALU_DEP_1)
	v_bfe_u32 v2, v2, 2, 5
	v_cmpx_eq_u32_e32 0, v2
	s_cbranch_execz .LBB6_6305
; %bb.6304:                             ;   in Loop: Header=BB6_5133 Depth=2
	v_clz_i32_u32_e32 v2, v3
	s_delay_alu instid0(VALU_DEP_1) | instskip(SKIP_1) | instid1(VALU_DEP_2)
	v_min_u32_e32 v2, 32, v2
	v_mov_b32_e32 v105, v25
	v_subrev_nc_u32_e32 v3, 29, v2
	v_sub_nc_u32_e32 v2, 30, v2
	s_delay_alu instid0(VALU_DEP_2) | instskip(NEXT) | instid1(VALU_DEP_1)
	v_lshlrev_b64_e32 v[52:53], v3, v[104:105]
	v_and_b32_e32 v3, 3, v52
.LBB6_6305:                             ;   in Loop: Header=BB6_5133 Depth=2
	s_or_b32 exec_lo, exec_lo, s44
	v_bfe_i32 v23, v104, 0, 16
	s_delay_alu instid0(VALU_DEP_1) | instskip(NEXT) | instid1(VALU_DEP_1)
	v_and_b32_e32 v23, 0x80000000, v23
	v_lshl_add_u32 v2, v2, 23, v23
	s_delay_alu instid0(VALU_DEP_1) | instskip(NEXT) | instid1(VALU_DEP_1)
	v_lshl_or_b32 v2, v3, 21, v2
                                        ; implicit-def: $vgpr3
	v_add_nc_u32_e32 v2, 0x38000000, v2
.LBB6_6306:                             ;   in Loop: Header=BB6_5133 Depth=2
	s_and_not1_saveexec_b32 s43, s43
; %bb.6307:                             ;   in Loop: Header=BB6_5133 Depth=2
	v_cmp_lt_i16_e32 vcc_lo, -1, v104
	v_cndmask_b32_e32 v2, 0xff800000, v44, vcc_lo
	v_cmp_eq_u32_e32 vcc_lo, 0, v3
	s_delay_alu instid0(VALU_DEP_2)
	v_cndmask_b32_e32 v2, 0x7f800001, v2, vcc_lo
; %bb.6308:                             ;   in Loop: Header=BB6_5133 Depth=2
	s_or_b32 exec_lo, exec_lo, s43
.LBB6_6309:                             ;   in Loop: Header=BB6_5133 Depth=2
	s_delay_alu instid0(SALU_CYCLE_1)
	s_or_b32 exec_lo, exec_lo, s42
.LBB6_6310:                             ;   in Loop: Header=BB6_5133 Depth=2
	s_delay_alu instid0(SALU_CYCLE_1) | instskip(NEXT) | instid1(VALU_DEP_1)
	s_or_b32 exec_lo, exec_lo, s11
	v_dual_max_num_f32 v2, v2, v2 :: v_dual_max_num_f32 v1, v1, v1
	s_mov_b32 s11, 0
	s_delay_alu instid0(VALU_DEP_1)
	v_max_num_f32_e32 v1, v1, v2
.LBB6_6311:                             ;   in Loop: Header=BB6_5133 Depth=2
	s_and_b32 vcc_lo, exec_lo, s11
	s_cbranch_vccz .LBB6_6333
; %bb.6312:                             ;   in Loop: Header=BB6_5133 Depth=2
	v_dual_mov_b32 v2, 0 :: v_dual_mov_b32 v1, 0
	s_and_saveexec_b32 s11, s10
	s_cbranch_execz .LBB6_6322
; %bb.6313:                             ;   in Loop: Header=BB6_5133 Depth=2
	v_bfrev_b32_e32 v1, 1
	s_mov_b32 s10, exec_lo
	v_cmpx_ne_u16_e32 0xff80, v106
	s_cbranch_execz .LBB6_6321
; %bb.6314:                             ;   in Loop: Header=BB6_5133 Depth=2
	v_and_b32_e32 v1, 0x7c, v0
	v_and_b32_e32 v3, 3, v0
	s_delay_alu instid0(VALU_DEP_2) | instskip(SKIP_1) | instid1(SALU_CYCLE_1)
	v_cmp_ne_u32_e32 vcc_lo, 0x7c, v1
                                        ; implicit-def: $vgpr1
	s_and_saveexec_b32 s42, vcc_lo
	s_xor_b32 s42, exec_lo, s42
	s_cbranch_execz .LBB6_6318
; %bb.6315:                             ;   in Loop: Header=BB6_5133 Depth=2
	v_bfe_u32 v0, v0, 2, 5
	s_mov_b32 s43, exec_lo
	s_delay_alu instid0(VALU_DEP_1)
	v_cmpx_eq_u32_e32 0, v0
	s_cbranch_execz .LBB6_6317
; %bb.6316:                             ;   in Loop: Header=BB6_5133 Depth=2
	v_clz_i32_u32_e32 v0, v3
	s_delay_alu instid0(VALU_DEP_1) | instskip(SKIP_1) | instid1(VALU_DEP_2)
	v_min_u32_e32 v0, 32, v0
	v_mov_b32_e32 v107, v25
	v_subrev_nc_u32_e32 v1, 29, v0
	v_sub_nc_u32_e32 v0, 30, v0
	s_delay_alu instid0(VALU_DEP_2) | instskip(NEXT) | instid1(VALU_DEP_1)
	v_lshlrev_b64_e32 v[52:53], v1, v[106:107]
	v_and_b32_e32 v3, 3, v52
.LBB6_6317:                             ;   in Loop: Header=BB6_5133 Depth=2
	s_or_b32 exec_lo, exec_lo, s43
	v_bfe_i32 v1, v106, 0, 16
                                        ; implicit-def: $vgpr106
	s_delay_alu instid0(VALU_DEP_1) | instskip(NEXT) | instid1(VALU_DEP_1)
	v_and_b32_e32 v1, 0x80000000, v1
	v_lshl_add_u32 v0, v0, 23, v1
	s_delay_alu instid0(VALU_DEP_1) | instskip(NEXT) | instid1(VALU_DEP_1)
	v_lshl_or_b32 v0, v3, 21, v0
                                        ; implicit-def: $vgpr3
	v_add_nc_u32_e32 v1, 0x38000000, v0
.LBB6_6318:                             ;   in Loop: Header=BB6_5133 Depth=2
	s_and_not1_saveexec_b32 s42, s42
; %bb.6319:                             ;   in Loop: Header=BB6_5133 Depth=2
	v_cmp_lt_i16_e32 vcc_lo, -1, v106
	v_cndmask_b32_e32 v0, 0xff800000, v44, vcc_lo
	v_cmp_eq_u32_e32 vcc_lo, 0, v3
	s_delay_alu instid0(VALU_DEP_2)
	v_cndmask_b32_e32 v1, 0x7f800001, v0, vcc_lo
; %bb.6320:                             ;   in Loop: Header=BB6_5133 Depth=2
	s_or_b32 exec_lo, exec_lo, s42
.LBB6_6321:                             ;   in Loop: Header=BB6_5133 Depth=2
	s_delay_alu instid0(SALU_CYCLE_1)
	s_or_b32 exec_lo, exec_lo, s10
.LBB6_6322:                             ;   in Loop: Header=BB6_5133 Depth=2
	s_delay_alu instid0(SALU_CYCLE_1) | instskip(NEXT) | instid1(SALU_CYCLE_1)
	s_or_b32 exec_lo, exec_lo, s11
	s_mov_b32 s10, exec_lo
	v_cmpx_ne_u16_e32 0, v104
	s_cbranch_execz .LBB6_6332
; %bb.6323:                             ;   in Loop: Header=BB6_5133 Depth=2
	v_bfrev_b32_e32 v2, 1
	s_mov_b32 s11, exec_lo
	v_cmpx_ne_u16_e32 0xff80, v104
	s_cbranch_execz .LBB6_6331
; %bb.6324:                             ;   in Loop: Header=BB6_5133 Depth=2
	v_and_b32_e32 v2, 0x7c, v104
	v_and_b32_e32 v0, 3, v104
	s_delay_alu instid0(VALU_DEP_2) | instskip(SKIP_1) | instid1(SALU_CYCLE_1)
	v_cmp_ne_u32_e32 vcc_lo, 0x7c, v2
                                        ; implicit-def: $vgpr2
	s_and_saveexec_b32 s42, vcc_lo
	s_xor_b32 s42, exec_lo, s42
	s_cbranch_execz .LBB6_6328
; %bb.6325:                             ;   in Loop: Header=BB6_5133 Depth=2
	v_and_b32_e32 v2, 0xff, v104
	s_mov_b32 s43, exec_lo
	s_delay_alu instid0(VALU_DEP_1) | instskip(NEXT) | instid1(VALU_DEP_1)
	v_bfe_u32 v2, v2, 2, 5
	v_cmpx_eq_u32_e32 0, v2
	s_cbranch_execz .LBB6_6327
; %bb.6326:                             ;   in Loop: Header=BB6_5133 Depth=2
	v_clz_i32_u32_e32 v0, v0
	s_delay_alu instid0(VALU_DEP_1) | instskip(SKIP_1) | instid1(VALU_DEP_2)
	v_min_u32_e32 v0, 32, v0
	v_mov_b32_e32 v105, v25
	v_subrev_nc_u32_e32 v2, 29, v0
	s_delay_alu instid0(VALU_DEP_1) | instskip(SKIP_1) | instid1(VALU_DEP_2)
	v_lshlrev_b64_e32 v[52:53], v2, v[104:105]
	v_sub_nc_u32_e32 v2, 30, v0
	v_and_b32_e32 v0, 3, v52
.LBB6_6327:                             ;   in Loop: Header=BB6_5133 Depth=2
	s_or_b32 exec_lo, exec_lo, s43
	v_bfe_i32 v3, v104, 0, 16
                                        ; implicit-def: $vgpr104
	s_delay_alu instid0(VALU_DEP_1) | instskip(NEXT) | instid1(VALU_DEP_1)
	v_and_b32_e32 v3, 0x80000000, v3
	v_lshl_add_u32 v2, v2, 23, v3
	s_delay_alu instid0(VALU_DEP_1) | instskip(NEXT) | instid1(VALU_DEP_1)
	v_lshl_or_b32 v0, v0, 21, v2
	v_add_nc_u32_e32 v2, 0x38000000, v0
                                        ; implicit-def: $vgpr0
.LBB6_6328:                             ;   in Loop: Header=BB6_5133 Depth=2
	s_and_not1_saveexec_b32 s42, s42
; %bb.6329:                             ;   in Loop: Header=BB6_5133 Depth=2
	v_cmp_lt_i16_e32 vcc_lo, -1, v104
	v_cndmask_b32_e32 v2, 0xff800000, v44, vcc_lo
	v_cmp_eq_u32_e32 vcc_lo, 0, v0
	s_delay_alu instid0(VALU_DEP_2)
	v_cndmask_b32_e32 v2, 0x7f800001, v2, vcc_lo
; %bb.6330:                             ;   in Loop: Header=BB6_5133 Depth=2
	s_or_b32 exec_lo, exec_lo, s42
.LBB6_6331:                             ;   in Loop: Header=BB6_5133 Depth=2
	s_delay_alu instid0(SALU_CYCLE_1)
	s_or_b32 exec_lo, exec_lo, s11
.LBB6_6332:                             ;   in Loop: Header=BB6_5133 Depth=2
	s_delay_alu instid0(SALU_CYCLE_1) | instskip(NEXT) | instid1(VALU_DEP_1)
	s_or_b32 exec_lo, exec_lo, s10
	v_dual_max_num_f32 v0, v2, v2 :: v_dual_max_num_f32 v1, v1, v1
	s_delay_alu instid0(VALU_DEP_1)
	v_min_num_f32_e32 v1, v1, v0
.LBB6_6333:                             ;   in Loop: Header=BB6_5133 Depth=2
	s_delay_alu instid0(VALU_DEP_1) | instskip(SKIP_3) | instid1(VALU_DEP_2)
	v_and_b32_e32 v2, 0x7f800000, v1
	v_mov_b32_e32 v3, v25
	v_and_b32_e32 v24, 0x7fffff, v1
                                        ; implicit-def: $vgpr52
	s_mov_b32 s10, exec_lo
	v_cmpx_ne_u64_e32 0x7f800000, v[2:3]
	s_xor_b32 s11, exec_lo, s10
	s_cbranch_execz .LBB6_6351
; %bb.6334:                             ;   in Loop: Header=BB6_5133 Depth=2
	v_dual_mov_b32 v3, v25 :: v_dual_lshrrev_b32 v0, 24, v1
	v_and_b32_e32 v2, 0x7fffffff, v1
                                        ; implicit-def: $vgpr52
	s_mov_b32 s10, exec_lo
	s_delay_alu instid0(VALU_DEP_2) | instskip(NEXT) | instid1(VALU_DEP_2)
	v_and_b32_e32 v23, 0x80, v0
	v_cmpx_gt_u64_e32 0x47600001, v[2:3]
	s_xor_b32 s42, exec_lo, s10
	s_cbranch_execz .LBB6_6348
; %bb.6335:                             ;   in Loop: Header=BB6_5133 Depth=2
	v_mov_b32_e32 v52, 0
	s_mov_b32 s43, exec_lo
	v_cmpx_ne_u32_e32 0, v1
	s_cbranch_execz .LBB6_6347
; %bb.6336:                             ;   in Loop: Header=BB6_5133 Depth=2
	v_bfe_u32 v27, v1, 23, 8
	v_or_b32_e32 v2, 0x800000, v24
	s_delay_alu instid0(VALU_DEP_2) | instskip(SKIP_1) | instid1(VALU_DEP_2)
	v_sub_nc_u32_e32 v0, 0x71, v27
	v_cmp_gt_u32_e32 vcc_lo, 0x72, v27
	v_cndmask_b32_e32 v0, 0, v0, vcc_lo
	v_cmp_eq_u32_e32 vcc_lo, 0, v27
	s_wait_loadcnt 0x4
	s_delay_alu instid0(VALU_DEP_2) | instskip(NEXT) | instid1(VALU_DEP_1)
	v_cndmask_b32_e64 v33, v0, 0x70, vcc_lo
	v_dual_cndmask_b32 v24, v2, v24, vcc_lo :: v_dual_add_nc_u32 v0, 21, v33
	v_add_nc_u32_e32 v3, 20, v33
	s_delay_alu instid0(VALU_DEP_2) | instskip(NEXT) | instid1(VALU_DEP_2)
	v_lshlrev_b64_e64 v[0:1], v0, -1
	v_lshlrev_b64_e64 v[2:3], v3, 1
	s_delay_alu instid0(VALU_DEP_2) | instskip(NEXT) | instid1(VALU_DEP_3)
	v_bfi_b32 v53, v1, 0, 0
	v_bfi_b32 v52, v0, 0, v24
	v_lshrrev_b64 v[0:1], v33, v[24:25]
	s_delay_alu instid0(VALU_DEP_2) | instskip(NEXT) | instid1(VALU_DEP_2)
	v_cmp_eq_u64_e64 s10, v[52:53], v[2:3]
	v_mov_b64_e32 v[2:3], v[0:1]
	s_and_saveexec_b32 s44, s10
; %bb.6337:                             ;   in Loop: Header=BB6_5133 Depth=2
	v_bfe_u32 v24, v0, 21, 1
	s_delay_alu instid0(VALU_DEP_1) | instskip(NEXT) | instid1(VALU_DEP_1)
	v_add_nc_u64_e32 v[2:3], v[0:1], v[24:25]
	v_add_nc_u64_e32 v[2:3], -1, v[2:3]
; %bb.6338:                             ;   in Loop: Header=BB6_5133 Depth=2
	s_or_b32 exec_lo, exec_lo, s44
	v_add_nc_u32_e32 v1, 0xffffff81, v27
	v_lshrrev_b32_e32 v3, 23, v0
	s_mov_b32 s10, exec_lo
	s_delay_alu instid0(VALU_DEP_2) | instskip(NEXT) | instid1(VALU_DEP_1)
	v_cndmask_b32_e64 v1, v1, 0xffffff82, vcc_lo
	v_add3_u32 v3, v33, v1, v3
	v_and_b32_e32 v1, 0x1fffff, v2
                                        ; implicit-def: $vgpr2
	s_delay_alu instid0(VALU_DEP_1) | instskip(NEXT) | instid1(VALU_DEP_1)
	v_dual_add_nc_u32 v27, 14, v3 :: v_dual_add_nc_u32 v24, v1, v0
                                        ; implicit-def: $vgpr0_vgpr1
	v_cmpx_ne_u32_e32 0, v27
	s_xor_b32 s10, exec_lo, s10
; %bb.6339:                             ;   in Loop: Header=BB6_5133 Depth=2
	s_delay_alu instid0(VALU_DEP_2) | instskip(SKIP_1) | instid1(VALU_DEP_1)
	v_cmp_lt_u64_e32 vcc_lo, 0xffffff, v[24:25]
	v_add_nc_u32_e32 v0, 15, v3
	v_cndmask_b32_e32 v2, v27, v0, vcc_lo
	v_cndmask_b32_e64 v0, 0, 1, vcc_lo
	s_delay_alu instid0(VALU_DEP_1)
	v_lshrrev_b64 v[0:1], v0, v[24:25]
; %bb.6340:                             ;   in Loop: Header=BB6_5133 Depth=2
	s_and_not1_saveexec_b32 s10, s10
; %bb.6341:                             ;   in Loop: Header=BB6_5133 Depth=2
	v_mov_b64_e32 v[0:1], v[24:25]
	v_bfe_u32 v2, v24, 23, 1
; %bb.6342:                             ;   in Loop: Header=BB6_5133 Depth=2
	s_or_b32 exec_lo, exec_lo, s10
	s_delay_alu instid0(VALU_DEP_2) | instskip(NEXT) | instid1(VALU_DEP_2)
	v_lshrrev_b64 v[0:1], 21, v[0:1]
	v_cmp_gt_i32_e32 vcc_lo, 32, v2
	v_cmp_ne_u32_e64 s10, 0, v2
                                        ; implicit-def: $vgpr52
	s_delay_alu instid0(VALU_DEP_3) | instskip(NEXT) | instid1(VALU_DEP_1)
	v_dual_cndmask_b32 v1, 0, v1 :: v_dual_cndmask_b32 v0, 3, v0
	v_cmp_ne_u64_e32 vcc_lo, 0, v[0:1]
	s_or_b32 s10, s10, vcc_lo
	s_delay_alu instid0(SALU_CYCLE_1) | instskip(NEXT) | instid1(SALU_CYCLE_1)
	s_and_saveexec_b32 s44, s10
	s_xor_b32 s10, exec_lo, s44
; %bb.6343:                             ;   in Loop: Header=BB6_5133 Depth=2
	v_min_i32_e32 v1, 31, v2
	s_delay_alu instid0(VALU_DEP_1) | instskip(NEXT) | instid1(VALU_DEP_1)
	v_lshl_or_b32 v1, v1, 2, v23
                                        ; implicit-def: $vgpr23
	v_and_or_b32 v52, v0, 3, v1
; %bb.6344:                             ;   in Loop: Header=BB6_5133 Depth=2
	s_and_not1_saveexec_b32 s10, s10
; %bb.6345:                             ;   in Loop: Header=BB6_5133 Depth=2
	v_mov_b32_e32 v52, v23
; %bb.6346:                             ;   in Loop: Header=BB6_5133 Depth=2
	s_or_b32 exec_lo, exec_lo, s10
.LBB6_6347:                             ;   in Loop: Header=BB6_5133 Depth=2
	s_delay_alu instid0(SALU_CYCLE_1)
	s_or_b32 exec_lo, exec_lo, s43
                                        ; implicit-def: $vgpr23
.LBB6_6348:                             ;   in Loop: Header=BB6_5133 Depth=2
	s_and_not1_saveexec_b32 s10, s42
; %bb.6349:                             ;   in Loop: Header=BB6_5133 Depth=2
	v_or_b32_e32 v52, 0x7b, v23
; %bb.6350:                             ;   in Loop: Header=BB6_5133 Depth=2
	s_or_b32 exec_lo, exec_lo, s10
                                        ; implicit-def: $vgpr1
.LBB6_6351:                             ;   in Loop: Header=BB6_5133 Depth=2
	s_and_not1_saveexec_b32 s10, s11
	s_cbranch_execz .LBB6_6357
; %bb.6352:                             ;   in Loop: Header=BB6_5133 Depth=2
	s_mov_b32 s11, exec_lo
                                        ; implicit-def: $vgpr52
	v_cmpx_ne_u64_e32 0, v[24:25]
	s_xor_b32 s11, exec_lo, s11
; %bb.6353:                             ;   in Loop: Header=BB6_5133 Depth=2
	v_lshrrev_b32_e32 v0, 24, v1
                                        ; implicit-def: $vgpr1
	s_delay_alu instid0(VALU_DEP_1)
	v_or_b32_e32 v52, 0x7f, v0
; %bb.6354:                             ;   in Loop: Header=BB6_5133 Depth=2
	s_and_not1_saveexec_b32 s11, s11
; %bb.6355:                             ;   in Loop: Header=BB6_5133 Depth=2
	v_cmp_lt_i32_e32 vcc_lo, -1, v1
	v_cndmask_b32_e64 v52, -4, 0x7c, vcc_lo
; %bb.6356:                             ;   in Loop: Header=BB6_5133 Depth=2
	s_or_b32 exec_lo, exec_lo, s11
.LBB6_6357:                             ;   in Loop: Header=BB6_5133 Depth=2
	s_delay_alu instid0(SALU_CYCLE_1)
	s_or_b32 exec_lo, exec_lo, s10
	v_and_b32_e32 v0, 0xff, v94
	v_cmp_ne_u16_e64 s10, 0, v94
	s_and_not1_b32 vcc_lo, exec_lo, s15
	s_mov_b32 s11, -1
                                        ; implicit-def: $vgpr1
	s_cbranch_vccnz .LBB6_6379
; %bb.6358:                             ;   in Loop: Header=BB6_5133 Depth=2
	v_dual_mov_b32 v2, 0 :: v_dual_mov_b32 v1, 0
	s_and_saveexec_b32 s11, s10
	s_cbranch_execz .LBB6_6368
; %bb.6359:                             ;   in Loop: Header=BB6_5133 Depth=2
	v_bfrev_b32_e32 v1, 1
	s_mov_b32 s42, exec_lo
	v_cmpx_ne_u16_e32 0xff80, v94
	s_cbranch_execz .LBB6_6367
; %bb.6360:                             ;   in Loop: Header=BB6_5133 Depth=2
	v_and_b32_e32 v1, 0x7c, v0
	v_and_b32_e32 v3, 3, v0
	s_delay_alu instid0(VALU_DEP_2) | instskip(SKIP_1) | instid1(SALU_CYCLE_1)
	v_cmp_ne_u32_e32 vcc_lo, 0x7c, v1
                                        ; implicit-def: $vgpr1
	s_and_saveexec_b32 s43, vcc_lo
	s_xor_b32 s43, exec_lo, s43
	s_cbranch_execz .LBB6_6364
; %bb.6361:                             ;   in Loop: Header=BB6_5133 Depth=2
	v_bfe_u32 v1, v0, 2, 5
	s_mov_b32 s44, exec_lo
	s_delay_alu instid0(VALU_DEP_1)
	v_cmpx_eq_u32_e32 0, v1
	s_cbranch_execz .LBB6_6363
; %bb.6362:                             ;   in Loop: Header=BB6_5133 Depth=2
	v_clz_i32_u32_e32 v1, v3
	s_delay_alu instid0(VALU_DEP_1) | instskip(SKIP_1) | instid1(VALU_DEP_2)
	v_min_u32_e32 v1, 32, v1
	v_mov_b32_e32 v95, v25
	v_subrev_nc_u32_e32 v3, 29, v1
	v_sub_nc_u32_e32 v1, 30, v1
	s_delay_alu instid0(VALU_DEP_2) | instskip(NEXT) | instid1(VALU_DEP_1)
	v_lshlrev_b64_e32 v[54:55], v3, v[94:95]
	v_and_b32_e32 v3, 3, v54
.LBB6_6363:                             ;   in Loop: Header=BB6_5133 Depth=2
	s_or_b32 exec_lo, exec_lo, s44
	v_bfe_i32 v23, v94, 0, 16
	s_delay_alu instid0(VALU_DEP_1) | instskip(NEXT) | instid1(VALU_DEP_1)
	v_and_b32_e32 v23, 0x80000000, v23
	v_lshl_add_u32 v1, v1, 23, v23
	s_delay_alu instid0(VALU_DEP_1) | instskip(NEXT) | instid1(VALU_DEP_1)
	v_lshl_or_b32 v1, v3, 21, v1
                                        ; implicit-def: $vgpr3
	v_add_nc_u32_e32 v1, 0x38000000, v1
.LBB6_6364:                             ;   in Loop: Header=BB6_5133 Depth=2
	s_and_not1_saveexec_b32 s43, s43
; %bb.6365:                             ;   in Loop: Header=BB6_5133 Depth=2
	v_cmp_lt_i16_e32 vcc_lo, -1, v94
	v_cndmask_b32_e32 v1, 0xff800000, v44, vcc_lo
	v_cmp_eq_u32_e32 vcc_lo, 0, v3
	s_delay_alu instid0(VALU_DEP_2)
	v_cndmask_b32_e32 v1, 0x7f800001, v1, vcc_lo
; %bb.6366:                             ;   in Loop: Header=BB6_5133 Depth=2
	s_or_b32 exec_lo, exec_lo, s43
.LBB6_6367:                             ;   in Loop: Header=BB6_5133 Depth=2
	s_delay_alu instid0(SALU_CYCLE_1)
	s_or_b32 exec_lo, exec_lo, s42
.LBB6_6368:                             ;   in Loop: Header=BB6_5133 Depth=2
	s_delay_alu instid0(SALU_CYCLE_1) | instskip(NEXT) | instid1(SALU_CYCLE_1)
	s_or_b32 exec_lo, exec_lo, s11
	s_mov_b32 s11, exec_lo
	v_cmpx_ne_u16_e32 0, v78
	s_cbranch_execz .LBB6_6378
; %bb.6369:                             ;   in Loop: Header=BB6_5133 Depth=2
	v_bfrev_b32_e32 v2, 1
	s_mov_b32 s42, exec_lo
	v_cmpx_ne_u16_e32 0xff80, v78
	s_cbranch_execz .LBB6_6377
; %bb.6370:                             ;   in Loop: Header=BB6_5133 Depth=2
	v_and_b32_e32 v2, 0x7c, v78
	v_and_b32_e32 v3, 3, v78
	s_delay_alu instid0(VALU_DEP_2) | instskip(SKIP_1) | instid1(SALU_CYCLE_1)
	v_cmp_ne_u32_e32 vcc_lo, 0x7c, v2
                                        ; implicit-def: $vgpr2
	s_and_saveexec_b32 s43, vcc_lo
	s_xor_b32 s43, exec_lo, s43
	s_cbranch_execz .LBB6_6374
; %bb.6371:                             ;   in Loop: Header=BB6_5133 Depth=2
	v_and_b32_e32 v2, 0xff, v78
	s_mov_b32 s44, exec_lo
	s_delay_alu instid0(VALU_DEP_1) | instskip(NEXT) | instid1(VALU_DEP_1)
	v_bfe_u32 v2, v2, 2, 5
	v_cmpx_eq_u32_e32 0, v2
	s_cbranch_execz .LBB6_6373
; %bb.6372:                             ;   in Loop: Header=BB6_5133 Depth=2
	v_clz_i32_u32_e32 v2, v3
	s_delay_alu instid0(VALU_DEP_1) | instskip(SKIP_1) | instid1(VALU_DEP_2)
	v_min_u32_e32 v2, 32, v2
	v_mov_b32_e32 v79, v25
	v_subrev_nc_u32_e32 v3, 29, v2
	v_sub_nc_u32_e32 v2, 30, v2
	s_delay_alu instid0(VALU_DEP_2) | instskip(NEXT) | instid1(VALU_DEP_1)
	v_lshlrev_b64_e32 v[54:55], v3, v[78:79]
	v_and_b32_e32 v3, 3, v54
.LBB6_6373:                             ;   in Loop: Header=BB6_5133 Depth=2
	s_or_b32 exec_lo, exec_lo, s44
	v_bfe_i32 v23, v78, 0, 16
	s_delay_alu instid0(VALU_DEP_1) | instskip(NEXT) | instid1(VALU_DEP_1)
	v_and_b32_e32 v23, 0x80000000, v23
	v_lshl_add_u32 v2, v2, 23, v23
	s_delay_alu instid0(VALU_DEP_1) | instskip(NEXT) | instid1(VALU_DEP_1)
	v_lshl_or_b32 v2, v3, 21, v2
                                        ; implicit-def: $vgpr3
	v_add_nc_u32_e32 v2, 0x38000000, v2
.LBB6_6374:                             ;   in Loop: Header=BB6_5133 Depth=2
	s_and_not1_saveexec_b32 s43, s43
; %bb.6375:                             ;   in Loop: Header=BB6_5133 Depth=2
	v_cmp_lt_i16_e32 vcc_lo, -1, v78
	v_cndmask_b32_e32 v2, 0xff800000, v44, vcc_lo
	v_cmp_eq_u32_e32 vcc_lo, 0, v3
	s_delay_alu instid0(VALU_DEP_2)
	v_cndmask_b32_e32 v2, 0x7f800001, v2, vcc_lo
; %bb.6376:                             ;   in Loop: Header=BB6_5133 Depth=2
	s_or_b32 exec_lo, exec_lo, s43
.LBB6_6377:                             ;   in Loop: Header=BB6_5133 Depth=2
	s_delay_alu instid0(SALU_CYCLE_1)
	s_or_b32 exec_lo, exec_lo, s42
.LBB6_6378:                             ;   in Loop: Header=BB6_5133 Depth=2
	s_delay_alu instid0(SALU_CYCLE_1) | instskip(NEXT) | instid1(VALU_DEP_1)
	s_or_b32 exec_lo, exec_lo, s11
	v_dual_max_num_f32 v2, v2, v2 :: v_dual_max_num_f32 v1, v1, v1
	s_mov_b32 s11, 0
	s_delay_alu instid0(VALU_DEP_1)
	v_max_num_f32_e32 v1, v1, v2
.LBB6_6379:                             ;   in Loop: Header=BB6_5133 Depth=2
	s_and_b32 vcc_lo, exec_lo, s11
	s_cbranch_vccz .LBB6_6401
; %bb.6380:                             ;   in Loop: Header=BB6_5133 Depth=2
	v_dual_mov_b32 v2, 0 :: v_dual_mov_b32 v1, 0
	s_and_saveexec_b32 s11, s10
	s_cbranch_execz .LBB6_6390
; %bb.6381:                             ;   in Loop: Header=BB6_5133 Depth=2
	v_bfrev_b32_e32 v1, 1
	s_mov_b32 s10, exec_lo
	v_cmpx_ne_u16_e32 0xff80, v94
	s_cbranch_execz .LBB6_6389
; %bb.6382:                             ;   in Loop: Header=BB6_5133 Depth=2
	v_and_b32_e32 v1, 0x7c, v0
	v_and_b32_e32 v3, 3, v0
	s_delay_alu instid0(VALU_DEP_2) | instskip(SKIP_1) | instid1(SALU_CYCLE_1)
	v_cmp_ne_u32_e32 vcc_lo, 0x7c, v1
                                        ; implicit-def: $vgpr1
	s_and_saveexec_b32 s42, vcc_lo
	s_xor_b32 s42, exec_lo, s42
	s_cbranch_execz .LBB6_6386
; %bb.6383:                             ;   in Loop: Header=BB6_5133 Depth=2
	v_bfe_u32 v0, v0, 2, 5
	s_mov_b32 s43, exec_lo
	s_delay_alu instid0(VALU_DEP_1)
	v_cmpx_eq_u32_e32 0, v0
	s_cbranch_execz .LBB6_6385
; %bb.6384:                             ;   in Loop: Header=BB6_5133 Depth=2
	v_clz_i32_u32_e32 v0, v3
	s_delay_alu instid0(VALU_DEP_1) | instskip(SKIP_1) | instid1(VALU_DEP_2)
	v_min_u32_e32 v0, 32, v0
	v_mov_b32_e32 v95, v25
	v_subrev_nc_u32_e32 v1, 29, v0
	v_sub_nc_u32_e32 v0, 30, v0
	s_delay_alu instid0(VALU_DEP_2) | instskip(NEXT) | instid1(VALU_DEP_1)
	v_lshlrev_b64_e32 v[54:55], v1, v[94:95]
	v_and_b32_e32 v3, 3, v54
.LBB6_6385:                             ;   in Loop: Header=BB6_5133 Depth=2
	s_or_b32 exec_lo, exec_lo, s43
	v_bfe_i32 v1, v94, 0, 16
                                        ; implicit-def: $vgpr94
	s_delay_alu instid0(VALU_DEP_1) | instskip(NEXT) | instid1(VALU_DEP_1)
	v_and_b32_e32 v1, 0x80000000, v1
	v_lshl_add_u32 v0, v0, 23, v1
	s_delay_alu instid0(VALU_DEP_1) | instskip(NEXT) | instid1(VALU_DEP_1)
	v_lshl_or_b32 v0, v3, 21, v0
                                        ; implicit-def: $vgpr3
	v_add_nc_u32_e32 v1, 0x38000000, v0
.LBB6_6386:                             ;   in Loop: Header=BB6_5133 Depth=2
	s_and_not1_saveexec_b32 s42, s42
; %bb.6387:                             ;   in Loop: Header=BB6_5133 Depth=2
	v_cmp_lt_i16_e32 vcc_lo, -1, v94
	v_cndmask_b32_e32 v0, 0xff800000, v44, vcc_lo
	v_cmp_eq_u32_e32 vcc_lo, 0, v3
	s_delay_alu instid0(VALU_DEP_2)
	v_cndmask_b32_e32 v1, 0x7f800001, v0, vcc_lo
; %bb.6388:                             ;   in Loop: Header=BB6_5133 Depth=2
	s_or_b32 exec_lo, exec_lo, s42
.LBB6_6389:                             ;   in Loop: Header=BB6_5133 Depth=2
	s_delay_alu instid0(SALU_CYCLE_1)
	s_or_b32 exec_lo, exec_lo, s10
.LBB6_6390:                             ;   in Loop: Header=BB6_5133 Depth=2
	s_delay_alu instid0(SALU_CYCLE_1) | instskip(NEXT) | instid1(SALU_CYCLE_1)
	s_or_b32 exec_lo, exec_lo, s11
	s_mov_b32 s10, exec_lo
	v_cmpx_ne_u16_e32 0, v78
	s_cbranch_execz .LBB6_6400
; %bb.6391:                             ;   in Loop: Header=BB6_5133 Depth=2
	v_bfrev_b32_e32 v2, 1
	s_mov_b32 s11, exec_lo
	v_cmpx_ne_u16_e32 0xff80, v78
	s_cbranch_execz .LBB6_6399
; %bb.6392:                             ;   in Loop: Header=BB6_5133 Depth=2
	v_and_b32_e32 v2, 0x7c, v78
	v_and_b32_e32 v0, 3, v78
	s_delay_alu instid0(VALU_DEP_2) | instskip(SKIP_1) | instid1(SALU_CYCLE_1)
	v_cmp_ne_u32_e32 vcc_lo, 0x7c, v2
                                        ; implicit-def: $vgpr2
	s_and_saveexec_b32 s42, vcc_lo
	s_xor_b32 s42, exec_lo, s42
	s_cbranch_execz .LBB6_6396
; %bb.6393:                             ;   in Loop: Header=BB6_5133 Depth=2
	v_and_b32_e32 v2, 0xff, v78
	s_mov_b32 s43, exec_lo
	s_delay_alu instid0(VALU_DEP_1) | instskip(NEXT) | instid1(VALU_DEP_1)
	v_bfe_u32 v2, v2, 2, 5
	v_cmpx_eq_u32_e32 0, v2
; %bb.6394:                             ;   in Loop: Header=BB6_5133 Depth=2
	v_clz_i32_u32_e32 v0, v0
	s_delay_alu instid0(VALU_DEP_1) | instskip(SKIP_1) | instid1(VALU_DEP_2)
	v_min_u32_e32 v0, 32, v0
	v_mov_b32_e32 v79, v25
	v_subrev_nc_u32_e32 v2, 29, v0
	s_delay_alu instid0(VALU_DEP_1) | instskip(NEXT) | instid1(VALU_DEP_1)
	v_lshlrev_b64_e32 v[54:55], v2, v[78:79]
	v_dual_sub_nc_u32 v2, 30, v0 :: v_dual_bitop2_b32 v0, 3, v54 bitop3:0x40
; %bb.6395:                             ;   in Loop: Header=BB6_5133 Depth=2
	s_or_b32 exec_lo, exec_lo, s43
	v_bfe_i32 v3, v78, 0, 16
                                        ; implicit-def: $vgpr78
	s_delay_alu instid0(VALU_DEP_1) | instskip(NEXT) | instid1(VALU_DEP_1)
	v_and_b32_e32 v3, 0x80000000, v3
	v_lshl_add_u32 v2, v2, 23, v3
	s_delay_alu instid0(VALU_DEP_1) | instskip(NEXT) | instid1(VALU_DEP_1)
	v_lshl_or_b32 v0, v0, 21, v2
	v_add_nc_u32_e32 v2, 0x38000000, v0
                                        ; implicit-def: $vgpr0
.LBB6_6396:                             ;   in Loop: Header=BB6_5133 Depth=2
	s_and_not1_saveexec_b32 s42, s42
; %bb.6397:                             ;   in Loop: Header=BB6_5133 Depth=2
	v_cmp_lt_i16_e32 vcc_lo, -1, v78
	v_cndmask_b32_e32 v2, 0xff800000, v44, vcc_lo
	v_cmp_eq_u32_e32 vcc_lo, 0, v0
	s_delay_alu instid0(VALU_DEP_2)
	v_cndmask_b32_e32 v2, 0x7f800001, v2, vcc_lo
; %bb.6398:                             ;   in Loop: Header=BB6_5133 Depth=2
	s_or_b32 exec_lo, exec_lo, s42
.LBB6_6399:                             ;   in Loop: Header=BB6_5133 Depth=2
	s_delay_alu instid0(SALU_CYCLE_1)
	s_or_b32 exec_lo, exec_lo, s11
.LBB6_6400:                             ;   in Loop: Header=BB6_5133 Depth=2
	s_delay_alu instid0(SALU_CYCLE_1) | instskip(NEXT) | instid1(VALU_DEP_1)
	s_or_b32 exec_lo, exec_lo, s10
	v_dual_max_num_f32 v0, v2, v2 :: v_dual_max_num_f32 v1, v1, v1
	s_delay_alu instid0(VALU_DEP_1)
	v_min_num_f32_e32 v1, v1, v0
.LBB6_6401:                             ;   in Loop: Header=BB6_5133 Depth=2
	s_delay_alu instid0(VALU_DEP_1) | instskip(SKIP_3) | instid1(VALU_DEP_2)
	v_and_b32_e32 v2, 0x7f800000, v1
	v_mov_b32_e32 v3, v25
	v_and_b32_e32 v24, 0x7fffff, v1
                                        ; implicit-def: $vgpr53
	s_mov_b32 s10, exec_lo
	v_cmpx_ne_u64_e32 0x7f800000, v[2:3]
	s_xor_b32 s11, exec_lo, s10
	s_cbranch_execz .LBB6_6419
; %bb.6402:                             ;   in Loop: Header=BB6_5133 Depth=2
	v_dual_mov_b32 v3, v25 :: v_dual_lshrrev_b32 v0, 24, v1
	v_and_b32_e32 v2, 0x7fffffff, v1
                                        ; implicit-def: $vgpr53
	s_mov_b32 s10, exec_lo
	s_delay_alu instid0(VALU_DEP_2) | instskip(NEXT) | instid1(VALU_DEP_2)
	v_and_b32_e32 v23, 0x80, v0
	v_cmpx_gt_u64_e32 0x47600001, v[2:3]
	s_xor_b32 s42, exec_lo, s10
	s_cbranch_execz .LBB6_6416
; %bb.6403:                             ;   in Loop: Header=BB6_5133 Depth=2
	v_mov_b32_e32 v53, 0
	s_mov_b32 s43, exec_lo
	v_cmpx_ne_u32_e32 0, v1
	s_cbranch_execz .LBB6_6415
; %bb.6404:                             ;   in Loop: Header=BB6_5133 Depth=2
	v_bfe_u32 v27, v1, 23, 8
	v_or_b32_e32 v2, 0x800000, v24
	s_delay_alu instid0(VALU_DEP_2) | instskip(SKIP_1) | instid1(VALU_DEP_2)
	v_sub_nc_u32_e32 v0, 0x71, v27
	v_cmp_gt_u32_e32 vcc_lo, 0x72, v27
	v_cndmask_b32_e32 v0, 0, v0, vcc_lo
	v_cmp_eq_u32_e32 vcc_lo, 0, v27
	s_wait_loadcnt 0x4
	s_delay_alu instid0(VALU_DEP_2) | instskip(NEXT) | instid1(VALU_DEP_1)
	v_cndmask_b32_e64 v33, v0, 0x70, vcc_lo
	v_dual_cndmask_b32 v24, v2, v24, vcc_lo :: v_dual_add_nc_u32 v0, 21, v33
	v_add_nc_u32_e32 v3, 20, v33
	s_delay_alu instid0(VALU_DEP_2) | instskip(NEXT) | instid1(VALU_DEP_2)
	v_lshlrev_b64_e64 v[0:1], v0, -1
	v_lshlrev_b64_e64 v[2:3], v3, 1
	s_delay_alu instid0(VALU_DEP_2) | instskip(NEXT) | instid1(VALU_DEP_3)
	v_bfi_b32 v55, v1, 0, 0
	v_bfi_b32 v54, v0, 0, v24
	v_lshrrev_b64 v[0:1], v33, v[24:25]
	s_delay_alu instid0(VALU_DEP_2) | instskip(NEXT) | instid1(VALU_DEP_2)
	v_cmp_eq_u64_e64 s10, v[54:55], v[2:3]
	v_mov_b64_e32 v[2:3], v[0:1]
	s_and_saveexec_b32 s44, s10
; %bb.6405:                             ;   in Loop: Header=BB6_5133 Depth=2
	v_bfe_u32 v24, v0, 21, 1
	s_delay_alu instid0(VALU_DEP_1) | instskip(NEXT) | instid1(VALU_DEP_1)
	v_add_nc_u64_e32 v[2:3], v[0:1], v[24:25]
	v_add_nc_u64_e32 v[2:3], -1, v[2:3]
; %bb.6406:                             ;   in Loop: Header=BB6_5133 Depth=2
	s_or_b32 exec_lo, exec_lo, s44
	v_add_nc_u32_e32 v1, 0xffffff81, v27
	v_lshrrev_b32_e32 v3, 23, v0
	s_mov_b32 s10, exec_lo
	s_delay_alu instid0(VALU_DEP_2) | instskip(NEXT) | instid1(VALU_DEP_1)
	v_cndmask_b32_e64 v1, v1, 0xffffff82, vcc_lo
	v_add3_u32 v3, v33, v1, v3
	v_and_b32_e32 v1, 0x1fffff, v2
                                        ; implicit-def: $vgpr2
	s_delay_alu instid0(VALU_DEP_1) | instskip(NEXT) | instid1(VALU_DEP_1)
	v_dual_add_nc_u32 v27, 14, v3 :: v_dual_add_nc_u32 v24, v1, v0
                                        ; implicit-def: $vgpr0_vgpr1
	v_cmpx_ne_u32_e32 0, v27
	s_xor_b32 s10, exec_lo, s10
; %bb.6407:                             ;   in Loop: Header=BB6_5133 Depth=2
	s_delay_alu instid0(VALU_DEP_2) | instskip(SKIP_1) | instid1(VALU_DEP_1)
	v_cmp_lt_u64_e32 vcc_lo, 0xffffff, v[24:25]
	v_add_nc_u32_e32 v0, 15, v3
	v_cndmask_b32_e32 v2, v27, v0, vcc_lo
	v_cndmask_b32_e64 v0, 0, 1, vcc_lo
	s_delay_alu instid0(VALU_DEP_1)
	v_lshrrev_b64 v[0:1], v0, v[24:25]
; %bb.6408:                             ;   in Loop: Header=BB6_5133 Depth=2
	s_and_not1_saveexec_b32 s10, s10
; %bb.6409:                             ;   in Loop: Header=BB6_5133 Depth=2
	v_mov_b64_e32 v[0:1], v[24:25]
	v_bfe_u32 v2, v24, 23, 1
; %bb.6410:                             ;   in Loop: Header=BB6_5133 Depth=2
	s_or_b32 exec_lo, exec_lo, s10
	s_delay_alu instid0(VALU_DEP_2) | instskip(NEXT) | instid1(VALU_DEP_2)
	v_lshrrev_b64 v[0:1], 21, v[0:1]
	v_cmp_gt_i32_e32 vcc_lo, 32, v2
	v_cmp_ne_u32_e64 s10, 0, v2
                                        ; implicit-def: $vgpr53
	s_delay_alu instid0(VALU_DEP_3) | instskip(NEXT) | instid1(VALU_DEP_1)
	v_dual_cndmask_b32 v1, 0, v1 :: v_dual_cndmask_b32 v0, 3, v0
	v_cmp_ne_u64_e32 vcc_lo, 0, v[0:1]
	s_or_b32 s10, s10, vcc_lo
	s_delay_alu instid0(SALU_CYCLE_1) | instskip(NEXT) | instid1(SALU_CYCLE_1)
	s_and_saveexec_b32 s44, s10
	s_xor_b32 s10, exec_lo, s44
; %bb.6411:                             ;   in Loop: Header=BB6_5133 Depth=2
	v_min_i32_e32 v1, 31, v2
	s_delay_alu instid0(VALU_DEP_1) | instskip(NEXT) | instid1(VALU_DEP_1)
	v_lshl_or_b32 v1, v1, 2, v23
                                        ; implicit-def: $vgpr23
	v_and_or_b32 v53, v0, 3, v1
; %bb.6412:                             ;   in Loop: Header=BB6_5133 Depth=2
	s_and_not1_saveexec_b32 s10, s10
; %bb.6413:                             ;   in Loop: Header=BB6_5133 Depth=2
	v_mov_b32_e32 v53, v23
; %bb.6414:                             ;   in Loop: Header=BB6_5133 Depth=2
	s_or_b32 exec_lo, exec_lo, s10
.LBB6_6415:                             ;   in Loop: Header=BB6_5133 Depth=2
	s_delay_alu instid0(SALU_CYCLE_1)
	s_or_b32 exec_lo, exec_lo, s43
                                        ; implicit-def: $vgpr23
.LBB6_6416:                             ;   in Loop: Header=BB6_5133 Depth=2
	s_and_not1_saveexec_b32 s10, s42
; %bb.6417:                             ;   in Loop: Header=BB6_5133 Depth=2
	v_or_b32_e32 v53, 0x7b, v23
; %bb.6418:                             ;   in Loop: Header=BB6_5133 Depth=2
	s_or_b32 exec_lo, exec_lo, s10
                                        ; implicit-def: $vgpr1
.LBB6_6419:                             ;   in Loop: Header=BB6_5133 Depth=2
	s_and_not1_saveexec_b32 s10, s11
	s_cbranch_execz .LBB6_6425
; %bb.6420:                             ;   in Loop: Header=BB6_5133 Depth=2
	s_mov_b32 s11, exec_lo
                                        ; implicit-def: $vgpr53
	v_cmpx_ne_u64_e32 0, v[24:25]
	s_xor_b32 s11, exec_lo, s11
; %bb.6421:                             ;   in Loop: Header=BB6_5133 Depth=2
	v_lshrrev_b32_e32 v0, 24, v1
                                        ; implicit-def: $vgpr1
	s_delay_alu instid0(VALU_DEP_1)
	v_or_b32_e32 v53, 0x7f, v0
; %bb.6422:                             ;   in Loop: Header=BB6_5133 Depth=2
	s_and_not1_saveexec_b32 s11, s11
; %bb.6423:                             ;   in Loop: Header=BB6_5133 Depth=2
	v_cmp_lt_i32_e32 vcc_lo, -1, v1
	v_cndmask_b32_e64 v53, -4, 0x7c, vcc_lo
; %bb.6424:                             ;   in Loop: Header=BB6_5133 Depth=2
	s_or_b32 exec_lo, exec_lo, s11
.LBB6_6425:                             ;   in Loop: Header=BB6_5133 Depth=2
	s_delay_alu instid0(SALU_CYCLE_1)
	s_or_b32 exec_lo, exec_lo, s10
	v_and_b32_e32 v0, 0xff, v90
	v_cmp_ne_u16_e64 s10, 0, v90
	s_and_not1_b32 vcc_lo, exec_lo, s15
	s_mov_b32 s11, -1
                                        ; implicit-def: $vgpr1
	s_cbranch_vccnz .LBB6_6447
; %bb.6426:                             ;   in Loop: Header=BB6_5133 Depth=2
	v_dual_mov_b32 v2, 0 :: v_dual_mov_b32 v1, 0
	s_and_saveexec_b32 s11, s10
	s_cbranch_execz .LBB6_6436
; %bb.6427:                             ;   in Loop: Header=BB6_5133 Depth=2
	v_bfrev_b32_e32 v1, 1
	s_mov_b32 s42, exec_lo
	v_cmpx_ne_u16_e32 0xff80, v90
	s_cbranch_execz .LBB6_6435
; %bb.6428:                             ;   in Loop: Header=BB6_5133 Depth=2
	v_and_b32_e32 v1, 0x7c, v0
	v_and_b32_e32 v3, 3, v0
	s_delay_alu instid0(VALU_DEP_2) | instskip(SKIP_1) | instid1(SALU_CYCLE_1)
	v_cmp_ne_u32_e32 vcc_lo, 0x7c, v1
                                        ; implicit-def: $vgpr1
	s_and_saveexec_b32 s43, vcc_lo
	s_xor_b32 s43, exec_lo, s43
	s_cbranch_execz .LBB6_6432
; %bb.6429:                             ;   in Loop: Header=BB6_5133 Depth=2
	v_bfe_u32 v1, v0, 2, 5
	s_mov_b32 s44, exec_lo
	s_delay_alu instid0(VALU_DEP_1)
	v_cmpx_eq_u32_e32 0, v1
	s_cbranch_execz .LBB6_6431
; %bb.6430:                             ;   in Loop: Header=BB6_5133 Depth=2
	v_clz_i32_u32_e32 v1, v3
	s_delay_alu instid0(VALU_DEP_1) | instskip(SKIP_1) | instid1(VALU_DEP_2)
	v_min_u32_e32 v1, 32, v1
	v_mov_b32_e32 v91, v25
	v_subrev_nc_u32_e32 v3, 29, v1
	v_sub_nc_u32_e32 v1, 30, v1
	s_delay_alu instid0(VALU_DEP_2) | instskip(NEXT) | instid1(VALU_DEP_1)
	v_lshlrev_b64_e32 v[54:55], v3, v[90:91]
	v_and_b32_e32 v3, 3, v54
.LBB6_6431:                             ;   in Loop: Header=BB6_5133 Depth=2
	s_or_b32 exec_lo, exec_lo, s44
	v_bfe_i32 v23, v90, 0, 16
	s_delay_alu instid0(VALU_DEP_1) | instskip(NEXT) | instid1(VALU_DEP_1)
	v_and_b32_e32 v23, 0x80000000, v23
	v_lshl_add_u32 v1, v1, 23, v23
	s_delay_alu instid0(VALU_DEP_1) | instskip(NEXT) | instid1(VALU_DEP_1)
	v_lshl_or_b32 v1, v3, 21, v1
                                        ; implicit-def: $vgpr3
	v_add_nc_u32_e32 v1, 0x38000000, v1
.LBB6_6432:                             ;   in Loop: Header=BB6_5133 Depth=2
	s_and_not1_saveexec_b32 s43, s43
; %bb.6433:                             ;   in Loop: Header=BB6_5133 Depth=2
	v_cmp_lt_i16_e32 vcc_lo, -1, v90
	v_cndmask_b32_e32 v1, 0xff800000, v44, vcc_lo
	v_cmp_eq_u32_e32 vcc_lo, 0, v3
	s_delay_alu instid0(VALU_DEP_2)
	v_cndmask_b32_e32 v1, 0x7f800001, v1, vcc_lo
; %bb.6434:                             ;   in Loop: Header=BB6_5133 Depth=2
	s_or_b32 exec_lo, exec_lo, s43
.LBB6_6435:                             ;   in Loop: Header=BB6_5133 Depth=2
	s_delay_alu instid0(SALU_CYCLE_1)
	s_or_b32 exec_lo, exec_lo, s42
.LBB6_6436:                             ;   in Loop: Header=BB6_5133 Depth=2
	s_delay_alu instid0(SALU_CYCLE_1) | instskip(NEXT) | instid1(SALU_CYCLE_1)
	s_or_b32 exec_lo, exec_lo, s11
	s_mov_b32 s11, exec_lo
	v_cmpx_ne_u16_e32 0, v46
	s_cbranch_execz .LBB6_6446
; %bb.6437:                             ;   in Loop: Header=BB6_5133 Depth=2
	v_bfrev_b32_e32 v2, 1
	s_mov_b32 s42, exec_lo
	v_cmpx_ne_u16_e32 0xff80, v46
	s_cbranch_execz .LBB6_6445
; %bb.6438:                             ;   in Loop: Header=BB6_5133 Depth=2
	v_and_b32_e32 v2, 0x7c, v46
	v_and_b32_e32 v3, 3, v46
	s_delay_alu instid0(VALU_DEP_2) | instskip(SKIP_1) | instid1(SALU_CYCLE_1)
	v_cmp_ne_u32_e32 vcc_lo, 0x7c, v2
                                        ; implicit-def: $vgpr2
	s_and_saveexec_b32 s43, vcc_lo
	s_xor_b32 s43, exec_lo, s43
	s_cbranch_execz .LBB6_6442
; %bb.6439:                             ;   in Loop: Header=BB6_5133 Depth=2
	v_and_b32_e32 v2, 0xff, v46
	s_mov_b32 s44, exec_lo
	s_delay_alu instid0(VALU_DEP_1) | instskip(NEXT) | instid1(VALU_DEP_1)
	v_bfe_u32 v2, v2, 2, 5
	v_cmpx_eq_u32_e32 0, v2
	s_cbranch_execz .LBB6_6441
; %bb.6440:                             ;   in Loop: Header=BB6_5133 Depth=2
	v_clz_i32_u32_e32 v2, v3
	s_delay_alu instid0(VALU_DEP_1) | instskip(SKIP_1) | instid1(VALU_DEP_2)
	v_min_u32_e32 v2, 32, v2
	v_mov_b32_e32 v47, v25
	v_subrev_nc_u32_e32 v3, 29, v2
	v_sub_nc_u32_e32 v2, 30, v2
	s_delay_alu instid0(VALU_DEP_2) | instskip(NEXT) | instid1(VALU_DEP_1)
	v_lshlrev_b64_e32 v[54:55], v3, v[46:47]
	v_and_b32_e32 v3, 3, v54
.LBB6_6441:                             ;   in Loop: Header=BB6_5133 Depth=2
	s_or_b32 exec_lo, exec_lo, s44
	v_bfe_i32 v23, v46, 0, 16
	s_delay_alu instid0(VALU_DEP_1) | instskip(NEXT) | instid1(VALU_DEP_1)
	v_and_b32_e32 v23, 0x80000000, v23
	v_lshl_add_u32 v2, v2, 23, v23
	s_delay_alu instid0(VALU_DEP_1) | instskip(NEXT) | instid1(VALU_DEP_1)
	v_lshl_or_b32 v2, v3, 21, v2
                                        ; implicit-def: $vgpr3
	v_add_nc_u32_e32 v2, 0x38000000, v2
.LBB6_6442:                             ;   in Loop: Header=BB6_5133 Depth=2
	s_and_not1_saveexec_b32 s43, s43
; %bb.6443:                             ;   in Loop: Header=BB6_5133 Depth=2
	v_cmp_lt_i16_e32 vcc_lo, -1, v46
	v_cndmask_b32_e32 v2, 0xff800000, v44, vcc_lo
	v_cmp_eq_u32_e32 vcc_lo, 0, v3
	s_delay_alu instid0(VALU_DEP_2)
	v_cndmask_b32_e32 v2, 0x7f800001, v2, vcc_lo
; %bb.6444:                             ;   in Loop: Header=BB6_5133 Depth=2
	s_or_b32 exec_lo, exec_lo, s43
.LBB6_6445:                             ;   in Loop: Header=BB6_5133 Depth=2
	s_delay_alu instid0(SALU_CYCLE_1)
	s_or_b32 exec_lo, exec_lo, s42
.LBB6_6446:                             ;   in Loop: Header=BB6_5133 Depth=2
	s_delay_alu instid0(SALU_CYCLE_1) | instskip(NEXT) | instid1(VALU_DEP_1)
	s_or_b32 exec_lo, exec_lo, s11
	v_dual_max_num_f32 v2, v2, v2 :: v_dual_max_num_f32 v1, v1, v1
	s_mov_b32 s11, 0
	s_delay_alu instid0(VALU_DEP_1)
	v_max_num_f32_e32 v1, v1, v2
.LBB6_6447:                             ;   in Loop: Header=BB6_5133 Depth=2
	s_and_b32 vcc_lo, exec_lo, s11
	s_cbranch_vccz .LBB6_6469
; %bb.6448:                             ;   in Loop: Header=BB6_5133 Depth=2
	v_dual_mov_b32 v2, 0 :: v_dual_mov_b32 v1, 0
	s_and_saveexec_b32 s11, s10
	s_cbranch_execz .LBB6_6458
; %bb.6449:                             ;   in Loop: Header=BB6_5133 Depth=2
	v_bfrev_b32_e32 v1, 1
	s_mov_b32 s10, exec_lo
	v_cmpx_ne_u16_e32 0xff80, v90
	s_cbranch_execz .LBB6_6457
; %bb.6450:                             ;   in Loop: Header=BB6_5133 Depth=2
	v_and_b32_e32 v1, 0x7c, v0
	v_and_b32_e32 v3, 3, v0
	s_delay_alu instid0(VALU_DEP_2) | instskip(SKIP_1) | instid1(SALU_CYCLE_1)
	v_cmp_ne_u32_e32 vcc_lo, 0x7c, v1
                                        ; implicit-def: $vgpr1
	s_and_saveexec_b32 s42, vcc_lo
	s_xor_b32 s42, exec_lo, s42
	s_cbranch_execz .LBB6_6454
; %bb.6451:                             ;   in Loop: Header=BB6_5133 Depth=2
	v_bfe_u32 v0, v0, 2, 5
	s_mov_b32 s43, exec_lo
	s_delay_alu instid0(VALU_DEP_1)
	v_cmpx_eq_u32_e32 0, v0
	s_cbranch_execz .LBB6_6453
; %bb.6452:                             ;   in Loop: Header=BB6_5133 Depth=2
	v_clz_i32_u32_e32 v0, v3
	s_delay_alu instid0(VALU_DEP_1) | instskip(SKIP_1) | instid1(VALU_DEP_2)
	v_min_u32_e32 v0, 32, v0
	v_mov_b32_e32 v91, v25
	v_subrev_nc_u32_e32 v1, 29, v0
	v_sub_nc_u32_e32 v0, 30, v0
	s_delay_alu instid0(VALU_DEP_2) | instskip(NEXT) | instid1(VALU_DEP_1)
	v_lshlrev_b64_e32 v[54:55], v1, v[90:91]
	v_and_b32_e32 v3, 3, v54
.LBB6_6453:                             ;   in Loop: Header=BB6_5133 Depth=2
	s_or_b32 exec_lo, exec_lo, s43
	v_bfe_i32 v1, v90, 0, 16
                                        ; implicit-def: $vgpr90
	s_delay_alu instid0(VALU_DEP_1) | instskip(NEXT) | instid1(VALU_DEP_1)
	v_and_b32_e32 v1, 0x80000000, v1
	v_lshl_add_u32 v0, v0, 23, v1
	s_delay_alu instid0(VALU_DEP_1) | instskip(NEXT) | instid1(VALU_DEP_1)
	v_lshl_or_b32 v0, v3, 21, v0
                                        ; implicit-def: $vgpr3
	v_add_nc_u32_e32 v1, 0x38000000, v0
.LBB6_6454:                             ;   in Loop: Header=BB6_5133 Depth=2
	s_and_not1_saveexec_b32 s42, s42
; %bb.6455:                             ;   in Loop: Header=BB6_5133 Depth=2
	v_cmp_lt_i16_e32 vcc_lo, -1, v90
	v_cndmask_b32_e32 v0, 0xff800000, v44, vcc_lo
	v_cmp_eq_u32_e32 vcc_lo, 0, v3
	s_delay_alu instid0(VALU_DEP_2)
	v_cndmask_b32_e32 v1, 0x7f800001, v0, vcc_lo
; %bb.6456:                             ;   in Loop: Header=BB6_5133 Depth=2
	s_or_b32 exec_lo, exec_lo, s42
.LBB6_6457:                             ;   in Loop: Header=BB6_5133 Depth=2
	s_delay_alu instid0(SALU_CYCLE_1)
	s_or_b32 exec_lo, exec_lo, s10
.LBB6_6458:                             ;   in Loop: Header=BB6_5133 Depth=2
	s_delay_alu instid0(SALU_CYCLE_1) | instskip(NEXT) | instid1(SALU_CYCLE_1)
	s_or_b32 exec_lo, exec_lo, s11
	s_mov_b32 s10, exec_lo
	v_cmpx_ne_u16_e32 0, v46
	s_cbranch_execz .LBB6_6468
; %bb.6459:                             ;   in Loop: Header=BB6_5133 Depth=2
	v_bfrev_b32_e32 v2, 1
	s_mov_b32 s11, exec_lo
	v_cmpx_ne_u16_e32 0xff80, v46
	s_cbranch_execz .LBB6_6467
; %bb.6460:                             ;   in Loop: Header=BB6_5133 Depth=2
	v_and_b32_e32 v2, 0x7c, v46
	v_and_b32_e32 v0, 3, v46
	s_delay_alu instid0(VALU_DEP_2) | instskip(SKIP_1) | instid1(SALU_CYCLE_1)
	v_cmp_ne_u32_e32 vcc_lo, 0x7c, v2
                                        ; implicit-def: $vgpr2
	s_and_saveexec_b32 s42, vcc_lo
	s_xor_b32 s42, exec_lo, s42
	s_cbranch_execz .LBB6_6464
; %bb.6461:                             ;   in Loop: Header=BB6_5133 Depth=2
	v_and_b32_e32 v2, 0xff, v46
	s_mov_b32 s43, exec_lo
	s_delay_alu instid0(VALU_DEP_1) | instskip(NEXT) | instid1(VALU_DEP_1)
	v_bfe_u32 v2, v2, 2, 5
	v_cmpx_eq_u32_e32 0, v2
; %bb.6462:                             ;   in Loop: Header=BB6_5133 Depth=2
	v_clz_i32_u32_e32 v0, v0
	s_delay_alu instid0(VALU_DEP_1) | instskip(SKIP_1) | instid1(VALU_DEP_2)
	v_min_u32_e32 v0, 32, v0
	v_mov_b32_e32 v47, v25
	v_subrev_nc_u32_e32 v2, 29, v0
	s_delay_alu instid0(VALU_DEP_1) | instskip(NEXT) | instid1(VALU_DEP_1)
	v_lshlrev_b64_e32 v[54:55], v2, v[46:47]
	v_dual_sub_nc_u32 v2, 30, v0 :: v_dual_bitop2_b32 v0, 3, v54 bitop3:0x40
; %bb.6463:                             ;   in Loop: Header=BB6_5133 Depth=2
	s_or_b32 exec_lo, exec_lo, s43
	v_bfe_i32 v3, v46, 0, 16
                                        ; implicit-def: $vgpr46
	s_delay_alu instid0(VALU_DEP_1) | instskip(NEXT) | instid1(VALU_DEP_1)
	v_and_b32_e32 v3, 0x80000000, v3
	v_lshl_add_u32 v2, v2, 23, v3
	s_delay_alu instid0(VALU_DEP_1) | instskip(NEXT) | instid1(VALU_DEP_1)
	v_lshl_or_b32 v0, v0, 21, v2
	v_add_nc_u32_e32 v2, 0x38000000, v0
                                        ; implicit-def: $vgpr0
.LBB6_6464:                             ;   in Loop: Header=BB6_5133 Depth=2
	s_and_not1_saveexec_b32 s42, s42
; %bb.6465:                             ;   in Loop: Header=BB6_5133 Depth=2
	v_cmp_lt_i16_e32 vcc_lo, -1, v46
	v_cndmask_b32_e32 v2, 0xff800000, v44, vcc_lo
	v_cmp_eq_u32_e32 vcc_lo, 0, v0
	s_delay_alu instid0(VALU_DEP_2)
	v_cndmask_b32_e32 v2, 0x7f800001, v2, vcc_lo
; %bb.6466:                             ;   in Loop: Header=BB6_5133 Depth=2
	s_or_b32 exec_lo, exec_lo, s42
.LBB6_6467:                             ;   in Loop: Header=BB6_5133 Depth=2
	s_delay_alu instid0(SALU_CYCLE_1)
	s_or_b32 exec_lo, exec_lo, s11
.LBB6_6468:                             ;   in Loop: Header=BB6_5133 Depth=2
	s_delay_alu instid0(SALU_CYCLE_1) | instskip(NEXT) | instid1(VALU_DEP_1)
	s_or_b32 exec_lo, exec_lo, s10
	v_dual_max_num_f32 v0, v2, v2 :: v_dual_max_num_f32 v1, v1, v1
	s_delay_alu instid0(VALU_DEP_1)
	v_min_num_f32_e32 v1, v1, v0
.LBB6_6469:                             ;   in Loop: Header=BB6_5133 Depth=2
	s_delay_alu instid0(VALU_DEP_1) | instskip(SKIP_3) | instid1(VALU_DEP_2)
	v_and_b32_e32 v2, 0x7f800000, v1
	v_mov_b32_e32 v3, v25
	v_and_b32_e32 v24, 0x7fffff, v1
                                        ; implicit-def: $vgpr54
	s_mov_b32 s10, exec_lo
	v_cmpx_ne_u64_e32 0x7f800000, v[2:3]
	s_xor_b32 s11, exec_lo, s10
	s_cbranch_execz .LBB6_6487
; %bb.6470:                             ;   in Loop: Header=BB6_5133 Depth=2
	v_dual_mov_b32 v3, v25 :: v_dual_lshrrev_b32 v0, 24, v1
	v_and_b32_e32 v2, 0x7fffffff, v1
                                        ; implicit-def: $vgpr54
	s_mov_b32 s10, exec_lo
	s_delay_alu instid0(VALU_DEP_2) | instskip(NEXT) | instid1(VALU_DEP_2)
	v_and_b32_e32 v23, 0x80, v0
	v_cmpx_gt_u64_e32 0x47600001, v[2:3]
	s_xor_b32 s42, exec_lo, s10
	s_cbranch_execz .LBB6_6484
; %bb.6471:                             ;   in Loop: Header=BB6_5133 Depth=2
	v_mov_b32_e32 v54, 0
	s_mov_b32 s43, exec_lo
	v_cmpx_ne_u32_e32 0, v1
	s_cbranch_execz .LBB6_6483
; %bb.6472:                             ;   in Loop: Header=BB6_5133 Depth=2
	v_bfe_u32 v27, v1, 23, 8
	v_or_b32_e32 v2, 0x800000, v24
	s_delay_alu instid0(VALU_DEP_2) | instskip(SKIP_1) | instid1(VALU_DEP_2)
	v_sub_nc_u32_e32 v0, 0x71, v27
	v_cmp_gt_u32_e32 vcc_lo, 0x72, v27
	v_cndmask_b32_e32 v0, 0, v0, vcc_lo
	v_cmp_eq_u32_e32 vcc_lo, 0, v27
	s_wait_loadcnt 0x4
	s_delay_alu instid0(VALU_DEP_2) | instskip(NEXT) | instid1(VALU_DEP_1)
	v_cndmask_b32_e64 v33, v0, 0x70, vcc_lo
	v_dual_cndmask_b32 v24, v2, v24, vcc_lo :: v_dual_add_nc_u32 v0, 21, v33
	v_add_nc_u32_e32 v3, 20, v33
	s_delay_alu instid0(VALU_DEP_2) | instskip(NEXT) | instid1(VALU_DEP_2)
	v_lshlrev_b64_e64 v[0:1], v0, -1
	v_lshlrev_b64_e64 v[2:3], v3, 1
	s_delay_alu instid0(VALU_DEP_2) | instskip(NEXT) | instid1(VALU_DEP_3)
	v_bfi_b32 v55, v1, 0, 0
	v_bfi_b32 v54, v0, 0, v24
	v_lshrrev_b64 v[0:1], v33, v[24:25]
	s_delay_alu instid0(VALU_DEP_2) | instskip(NEXT) | instid1(VALU_DEP_2)
	v_cmp_eq_u64_e64 s10, v[54:55], v[2:3]
	v_mov_b64_e32 v[2:3], v[0:1]
	s_and_saveexec_b32 s44, s10
; %bb.6473:                             ;   in Loop: Header=BB6_5133 Depth=2
	v_bfe_u32 v24, v0, 21, 1
	s_delay_alu instid0(VALU_DEP_1) | instskip(NEXT) | instid1(VALU_DEP_1)
	v_add_nc_u64_e32 v[2:3], v[0:1], v[24:25]
	v_add_nc_u64_e32 v[2:3], -1, v[2:3]
; %bb.6474:                             ;   in Loop: Header=BB6_5133 Depth=2
	s_or_b32 exec_lo, exec_lo, s44
	v_add_nc_u32_e32 v1, 0xffffff81, v27
	v_lshrrev_b32_e32 v3, 23, v0
	s_mov_b32 s10, exec_lo
	s_delay_alu instid0(VALU_DEP_2) | instskip(NEXT) | instid1(VALU_DEP_1)
	v_cndmask_b32_e64 v1, v1, 0xffffff82, vcc_lo
	v_add3_u32 v3, v33, v1, v3
	v_and_b32_e32 v1, 0x1fffff, v2
                                        ; implicit-def: $vgpr2
	s_delay_alu instid0(VALU_DEP_1) | instskip(NEXT) | instid1(VALU_DEP_1)
	v_dual_add_nc_u32 v27, 14, v3 :: v_dual_add_nc_u32 v24, v1, v0
                                        ; implicit-def: $vgpr0_vgpr1
	v_cmpx_ne_u32_e32 0, v27
	s_xor_b32 s10, exec_lo, s10
; %bb.6475:                             ;   in Loop: Header=BB6_5133 Depth=2
	s_delay_alu instid0(VALU_DEP_2) | instskip(SKIP_1) | instid1(VALU_DEP_1)
	v_cmp_lt_u64_e32 vcc_lo, 0xffffff, v[24:25]
	v_add_nc_u32_e32 v0, 15, v3
	v_cndmask_b32_e32 v2, v27, v0, vcc_lo
	v_cndmask_b32_e64 v0, 0, 1, vcc_lo
	s_delay_alu instid0(VALU_DEP_1)
	v_lshrrev_b64 v[0:1], v0, v[24:25]
; %bb.6476:                             ;   in Loop: Header=BB6_5133 Depth=2
	s_and_not1_saveexec_b32 s10, s10
; %bb.6477:                             ;   in Loop: Header=BB6_5133 Depth=2
	v_mov_b64_e32 v[0:1], v[24:25]
	v_bfe_u32 v2, v24, 23, 1
; %bb.6478:                             ;   in Loop: Header=BB6_5133 Depth=2
	s_or_b32 exec_lo, exec_lo, s10
	s_delay_alu instid0(VALU_DEP_2) | instskip(NEXT) | instid1(VALU_DEP_2)
	v_lshrrev_b64 v[0:1], 21, v[0:1]
	v_cmp_gt_i32_e32 vcc_lo, 32, v2
	v_cmp_ne_u32_e64 s10, 0, v2
                                        ; implicit-def: $vgpr54
	s_delay_alu instid0(VALU_DEP_3) | instskip(NEXT) | instid1(VALU_DEP_1)
	v_dual_cndmask_b32 v1, 0, v1 :: v_dual_cndmask_b32 v0, 3, v0
	v_cmp_ne_u64_e32 vcc_lo, 0, v[0:1]
	s_or_b32 s10, s10, vcc_lo
	s_delay_alu instid0(SALU_CYCLE_1) | instskip(NEXT) | instid1(SALU_CYCLE_1)
	s_and_saveexec_b32 s44, s10
	s_xor_b32 s10, exec_lo, s44
; %bb.6479:                             ;   in Loop: Header=BB6_5133 Depth=2
	v_min_i32_e32 v1, 31, v2
	s_delay_alu instid0(VALU_DEP_1) | instskip(NEXT) | instid1(VALU_DEP_1)
	v_lshl_or_b32 v1, v1, 2, v23
                                        ; implicit-def: $vgpr23
	v_and_or_b32 v54, v0, 3, v1
; %bb.6480:                             ;   in Loop: Header=BB6_5133 Depth=2
	s_and_not1_saveexec_b32 s10, s10
; %bb.6481:                             ;   in Loop: Header=BB6_5133 Depth=2
	v_mov_b32_e32 v54, v23
; %bb.6482:                             ;   in Loop: Header=BB6_5133 Depth=2
	s_or_b32 exec_lo, exec_lo, s10
.LBB6_6483:                             ;   in Loop: Header=BB6_5133 Depth=2
	s_delay_alu instid0(SALU_CYCLE_1)
	s_or_b32 exec_lo, exec_lo, s43
                                        ; implicit-def: $vgpr23
.LBB6_6484:                             ;   in Loop: Header=BB6_5133 Depth=2
	s_and_not1_saveexec_b32 s10, s42
; %bb.6485:                             ;   in Loop: Header=BB6_5133 Depth=2
	v_or_b32_e32 v54, 0x7b, v23
; %bb.6486:                             ;   in Loop: Header=BB6_5133 Depth=2
	s_or_b32 exec_lo, exec_lo, s10
                                        ; implicit-def: $vgpr1
.LBB6_6487:                             ;   in Loop: Header=BB6_5133 Depth=2
	s_and_not1_saveexec_b32 s10, s11
	s_cbranch_execz .LBB6_6493
; %bb.6488:                             ;   in Loop: Header=BB6_5133 Depth=2
	s_mov_b32 s11, exec_lo
                                        ; implicit-def: $vgpr54
	v_cmpx_ne_u64_e32 0, v[24:25]
	s_xor_b32 s11, exec_lo, s11
; %bb.6489:                             ;   in Loop: Header=BB6_5133 Depth=2
	v_lshrrev_b32_e32 v0, 24, v1
                                        ; implicit-def: $vgpr1
	s_delay_alu instid0(VALU_DEP_1)
	v_or_b32_e32 v54, 0x7f, v0
; %bb.6490:                             ;   in Loop: Header=BB6_5133 Depth=2
	s_and_not1_saveexec_b32 s11, s11
; %bb.6491:                             ;   in Loop: Header=BB6_5133 Depth=2
	v_cmp_lt_i32_e32 vcc_lo, -1, v1
	v_cndmask_b32_e64 v54, -4, 0x7c, vcc_lo
; %bb.6492:                             ;   in Loop: Header=BB6_5133 Depth=2
	s_or_b32 exec_lo, exec_lo, s11
.LBB6_6493:                             ;   in Loop: Header=BB6_5133 Depth=2
	s_delay_alu instid0(SALU_CYCLE_1)
	s_or_b32 exec_lo, exec_lo, s10
	s_wait_loadcnt 0x5
	v_and_b32_e32 v0, 0xff, v58
	v_cmp_ne_u16_e64 s10, 0, v58
	s_and_not1_b32 vcc_lo, exec_lo, s15
	s_mov_b32 s11, -1
                                        ; implicit-def: $vgpr1
	s_cbranch_vccnz .LBB6_6515
; %bb.6494:                             ;   in Loop: Header=BB6_5133 Depth=2
	v_dual_mov_b32 v2, 0 :: v_dual_mov_b32 v1, 0
	s_and_saveexec_b32 s11, s10
	s_cbranch_execz .LBB6_6504
; %bb.6495:                             ;   in Loop: Header=BB6_5133 Depth=2
	v_bfrev_b32_e32 v1, 1
	s_mov_b32 s42, exec_lo
	v_cmpx_ne_u16_e32 0xff80, v58
	s_cbranch_execz .LBB6_6503
; %bb.6496:                             ;   in Loop: Header=BB6_5133 Depth=2
	v_and_b32_e32 v1, 0x7c, v0
	v_and_b32_e32 v3, 3, v0
	s_delay_alu instid0(VALU_DEP_2) | instskip(SKIP_1) | instid1(SALU_CYCLE_1)
	v_cmp_ne_u32_e32 vcc_lo, 0x7c, v1
                                        ; implicit-def: $vgpr1
	s_and_saveexec_b32 s43, vcc_lo
	s_xor_b32 s43, exec_lo, s43
	s_cbranch_execz .LBB6_6500
; %bb.6497:                             ;   in Loop: Header=BB6_5133 Depth=2
	v_bfe_u32 v1, v0, 2, 5
	s_mov_b32 s44, exec_lo
	s_delay_alu instid0(VALU_DEP_1)
	v_cmpx_eq_u32_e32 0, v1
	s_cbranch_execz .LBB6_6499
; %bb.6498:                             ;   in Loop: Header=BB6_5133 Depth=2
	v_clz_i32_u32_e32 v1, v3
	s_delay_alu instid0(VALU_DEP_1) | instskip(SKIP_1) | instid1(VALU_DEP_2)
	v_min_u32_e32 v1, 32, v1
	v_mov_b32_e32 v59, v25
	v_subrev_nc_u32_e32 v3, 29, v1
	v_sub_nc_u32_e32 v1, 30, v1
	s_delay_alu instid0(VALU_DEP_2) | instskip(NEXT) | instid1(VALU_DEP_1)
	v_lshlrev_b64_e32 v[64:65], v3, v[58:59]
	v_and_b32_e32 v3, 3, v64
.LBB6_6499:                             ;   in Loop: Header=BB6_5133 Depth=2
	s_or_b32 exec_lo, exec_lo, s44
	v_bfe_i32 v23, v58, 0, 16
	s_delay_alu instid0(VALU_DEP_1) | instskip(NEXT) | instid1(VALU_DEP_1)
	v_and_b32_e32 v23, 0x80000000, v23
	v_lshl_add_u32 v1, v1, 23, v23
	s_delay_alu instid0(VALU_DEP_1) | instskip(NEXT) | instid1(VALU_DEP_1)
	v_lshl_or_b32 v1, v3, 21, v1
                                        ; implicit-def: $vgpr3
	v_add_nc_u32_e32 v1, 0x38000000, v1
.LBB6_6500:                             ;   in Loop: Header=BB6_5133 Depth=2
	s_and_not1_saveexec_b32 s43, s43
; %bb.6501:                             ;   in Loop: Header=BB6_5133 Depth=2
	v_cmp_lt_i16_e32 vcc_lo, -1, v58
	v_cndmask_b32_e32 v1, 0xff800000, v44, vcc_lo
	v_cmp_eq_u32_e32 vcc_lo, 0, v3
	s_delay_alu instid0(VALU_DEP_2)
	v_cndmask_b32_e32 v1, 0x7f800001, v1, vcc_lo
; %bb.6502:                             ;   in Loop: Header=BB6_5133 Depth=2
	s_or_b32 exec_lo, exec_lo, s43
.LBB6_6503:                             ;   in Loop: Header=BB6_5133 Depth=2
	s_delay_alu instid0(SALU_CYCLE_1)
	s_or_b32 exec_lo, exec_lo, s42
.LBB6_6504:                             ;   in Loop: Header=BB6_5133 Depth=2
	s_delay_alu instid0(SALU_CYCLE_1) | instskip(NEXT) | instid1(SALU_CYCLE_1)
	s_or_b32 exec_lo, exec_lo, s11
	s_mov_b32 s11, exec_lo
	v_cmpx_ne_u16_e32 0, v42
	s_cbranch_execz .LBB6_6514
; %bb.6505:                             ;   in Loop: Header=BB6_5133 Depth=2
	v_bfrev_b32_e32 v2, 1
	s_mov_b32 s42, exec_lo
	v_cmpx_ne_u16_e32 0xff80, v42
	s_cbranch_execz .LBB6_6513
; %bb.6506:                             ;   in Loop: Header=BB6_5133 Depth=2
	v_and_b32_e32 v2, 0x7c, v42
	v_and_b32_e32 v3, 3, v42
	s_delay_alu instid0(VALU_DEP_2) | instskip(SKIP_1) | instid1(SALU_CYCLE_1)
	v_cmp_ne_u32_e32 vcc_lo, 0x7c, v2
                                        ; implicit-def: $vgpr2
	s_and_saveexec_b32 s43, vcc_lo
	s_xor_b32 s43, exec_lo, s43
	s_cbranch_execz .LBB6_6510
; %bb.6507:                             ;   in Loop: Header=BB6_5133 Depth=2
	v_and_b32_e32 v2, 0xff, v42
	s_mov_b32 s44, exec_lo
	s_delay_alu instid0(VALU_DEP_1) | instskip(NEXT) | instid1(VALU_DEP_1)
	v_bfe_u32 v2, v2, 2, 5
	v_cmpx_eq_u32_e32 0, v2
	s_cbranch_execz .LBB6_6509
; %bb.6508:                             ;   in Loop: Header=BB6_5133 Depth=2
	v_clz_i32_u32_e32 v2, v3
	s_delay_alu instid0(VALU_DEP_1) | instskip(SKIP_1) | instid1(VALU_DEP_2)
	v_min_u32_e32 v2, 32, v2
	v_mov_b32_e32 v43, v25
	v_subrev_nc_u32_e32 v3, 29, v2
	v_sub_nc_u32_e32 v2, 30, v2
	s_delay_alu instid0(VALU_DEP_2) | instskip(NEXT) | instid1(VALU_DEP_1)
	v_lshlrev_b64_e32 v[64:65], v3, v[42:43]
	v_and_b32_e32 v3, 3, v64
.LBB6_6509:                             ;   in Loop: Header=BB6_5133 Depth=2
	s_or_b32 exec_lo, exec_lo, s44
	v_bfe_i32 v23, v42, 0, 16
	s_delay_alu instid0(VALU_DEP_1) | instskip(NEXT) | instid1(VALU_DEP_1)
	v_and_b32_e32 v23, 0x80000000, v23
	v_lshl_add_u32 v2, v2, 23, v23
	s_delay_alu instid0(VALU_DEP_1) | instskip(NEXT) | instid1(VALU_DEP_1)
	v_lshl_or_b32 v2, v3, 21, v2
                                        ; implicit-def: $vgpr3
	v_add_nc_u32_e32 v2, 0x38000000, v2
.LBB6_6510:                             ;   in Loop: Header=BB6_5133 Depth=2
	s_and_not1_saveexec_b32 s43, s43
; %bb.6511:                             ;   in Loop: Header=BB6_5133 Depth=2
	v_cmp_lt_i16_e32 vcc_lo, -1, v42
	v_cndmask_b32_e32 v2, 0xff800000, v44, vcc_lo
	v_cmp_eq_u32_e32 vcc_lo, 0, v3
	s_delay_alu instid0(VALU_DEP_2)
	v_cndmask_b32_e32 v2, 0x7f800001, v2, vcc_lo
; %bb.6512:                             ;   in Loop: Header=BB6_5133 Depth=2
	s_or_b32 exec_lo, exec_lo, s43
.LBB6_6513:                             ;   in Loop: Header=BB6_5133 Depth=2
	s_delay_alu instid0(SALU_CYCLE_1)
	s_or_b32 exec_lo, exec_lo, s42
.LBB6_6514:                             ;   in Loop: Header=BB6_5133 Depth=2
	s_delay_alu instid0(SALU_CYCLE_1) | instskip(NEXT) | instid1(VALU_DEP_1)
	s_or_b32 exec_lo, exec_lo, s11
	v_dual_max_num_f32 v2, v2, v2 :: v_dual_max_num_f32 v1, v1, v1
	s_mov_b32 s11, 0
	s_delay_alu instid0(VALU_DEP_1)
	v_max_num_f32_e32 v1, v1, v2
.LBB6_6515:                             ;   in Loop: Header=BB6_5133 Depth=2
	s_and_b32 vcc_lo, exec_lo, s11
	s_cbranch_vccz .LBB6_6537
; %bb.6516:                             ;   in Loop: Header=BB6_5133 Depth=2
	v_dual_mov_b32 v2, 0 :: v_dual_mov_b32 v1, 0
	s_and_saveexec_b32 s11, s10
	s_cbranch_execz .LBB6_6526
; %bb.6517:                             ;   in Loop: Header=BB6_5133 Depth=2
	v_bfrev_b32_e32 v1, 1
	s_mov_b32 s10, exec_lo
	v_cmpx_ne_u16_e32 0xff80, v58
	s_cbranch_execz .LBB6_6525
; %bb.6518:                             ;   in Loop: Header=BB6_5133 Depth=2
	v_and_b32_e32 v1, 0x7c, v0
	v_and_b32_e32 v3, 3, v0
	s_delay_alu instid0(VALU_DEP_2) | instskip(SKIP_1) | instid1(SALU_CYCLE_1)
	v_cmp_ne_u32_e32 vcc_lo, 0x7c, v1
                                        ; implicit-def: $vgpr1
	s_and_saveexec_b32 s42, vcc_lo
	s_xor_b32 s42, exec_lo, s42
	s_cbranch_execz .LBB6_6522
; %bb.6519:                             ;   in Loop: Header=BB6_5133 Depth=2
	v_bfe_u32 v0, v0, 2, 5
	s_mov_b32 s43, exec_lo
	s_delay_alu instid0(VALU_DEP_1)
	v_cmpx_eq_u32_e32 0, v0
	s_cbranch_execz .LBB6_6521
; %bb.6520:                             ;   in Loop: Header=BB6_5133 Depth=2
	v_clz_i32_u32_e32 v0, v3
	s_delay_alu instid0(VALU_DEP_1) | instskip(SKIP_1) | instid1(VALU_DEP_2)
	v_min_u32_e32 v0, 32, v0
	v_mov_b32_e32 v59, v25
	v_subrev_nc_u32_e32 v1, 29, v0
	v_sub_nc_u32_e32 v0, 30, v0
	s_delay_alu instid0(VALU_DEP_2) | instskip(NEXT) | instid1(VALU_DEP_1)
	v_lshlrev_b64_e32 v[64:65], v1, v[58:59]
	v_and_b32_e32 v3, 3, v64
.LBB6_6521:                             ;   in Loop: Header=BB6_5133 Depth=2
	s_or_b32 exec_lo, exec_lo, s43
	v_bfe_i32 v1, v58, 0, 16
                                        ; implicit-def: $vgpr58
	s_delay_alu instid0(VALU_DEP_1) | instskip(NEXT) | instid1(VALU_DEP_1)
	v_and_b32_e32 v1, 0x80000000, v1
	v_lshl_add_u32 v0, v0, 23, v1
	s_delay_alu instid0(VALU_DEP_1) | instskip(NEXT) | instid1(VALU_DEP_1)
	v_lshl_or_b32 v0, v3, 21, v0
                                        ; implicit-def: $vgpr3
	v_add_nc_u32_e32 v1, 0x38000000, v0
.LBB6_6522:                             ;   in Loop: Header=BB6_5133 Depth=2
	s_and_not1_saveexec_b32 s42, s42
; %bb.6523:                             ;   in Loop: Header=BB6_5133 Depth=2
	v_cmp_lt_i16_e32 vcc_lo, -1, v58
	v_cndmask_b32_e32 v0, 0xff800000, v44, vcc_lo
	v_cmp_eq_u32_e32 vcc_lo, 0, v3
	s_delay_alu instid0(VALU_DEP_2)
	v_cndmask_b32_e32 v1, 0x7f800001, v0, vcc_lo
; %bb.6524:                             ;   in Loop: Header=BB6_5133 Depth=2
	s_or_b32 exec_lo, exec_lo, s42
.LBB6_6525:                             ;   in Loop: Header=BB6_5133 Depth=2
	s_delay_alu instid0(SALU_CYCLE_1)
	s_or_b32 exec_lo, exec_lo, s10
.LBB6_6526:                             ;   in Loop: Header=BB6_5133 Depth=2
	s_delay_alu instid0(SALU_CYCLE_1) | instskip(NEXT) | instid1(SALU_CYCLE_1)
	s_or_b32 exec_lo, exec_lo, s11
	s_mov_b32 s10, exec_lo
	v_cmpx_ne_u16_e32 0, v42
	s_cbranch_execz .LBB6_6536
; %bb.6527:                             ;   in Loop: Header=BB6_5133 Depth=2
	v_bfrev_b32_e32 v2, 1
	s_mov_b32 s11, exec_lo
	v_cmpx_ne_u16_e32 0xff80, v42
	s_cbranch_execz .LBB6_6535
; %bb.6528:                             ;   in Loop: Header=BB6_5133 Depth=2
	v_and_b32_e32 v2, 0x7c, v42
	v_and_b32_e32 v0, 3, v42
	s_delay_alu instid0(VALU_DEP_2) | instskip(SKIP_1) | instid1(SALU_CYCLE_1)
	v_cmp_ne_u32_e32 vcc_lo, 0x7c, v2
                                        ; implicit-def: $vgpr2
	s_and_saveexec_b32 s42, vcc_lo
	s_xor_b32 s42, exec_lo, s42
	s_cbranch_execz .LBB6_6532
; %bb.6529:                             ;   in Loop: Header=BB6_5133 Depth=2
	v_and_b32_e32 v2, 0xff, v42
	s_mov_b32 s43, exec_lo
	s_delay_alu instid0(VALU_DEP_1) | instskip(NEXT) | instid1(VALU_DEP_1)
	v_bfe_u32 v2, v2, 2, 5
	v_cmpx_eq_u32_e32 0, v2
	s_cbranch_execz .LBB6_6531
; %bb.6530:                             ;   in Loop: Header=BB6_5133 Depth=2
	v_clz_i32_u32_e32 v0, v0
	s_delay_alu instid0(VALU_DEP_1) | instskip(SKIP_1) | instid1(VALU_DEP_2)
	v_min_u32_e32 v0, 32, v0
	v_mov_b32_e32 v43, v25
	v_subrev_nc_u32_e32 v2, 29, v0
	s_delay_alu instid0(VALU_DEP_1) | instskip(SKIP_1) | instid1(VALU_DEP_2)
	v_lshlrev_b64_e32 v[64:65], v2, v[42:43]
	v_sub_nc_u32_e32 v2, 30, v0
	v_and_b32_e32 v0, 3, v64
.LBB6_6531:                             ;   in Loop: Header=BB6_5133 Depth=2
	s_or_b32 exec_lo, exec_lo, s43
	v_bfe_i32 v3, v42, 0, 16
                                        ; implicit-def: $vgpr42
	s_delay_alu instid0(VALU_DEP_1) | instskip(NEXT) | instid1(VALU_DEP_1)
	v_and_b32_e32 v3, 0x80000000, v3
	v_lshl_add_u32 v2, v2, 23, v3
	s_delay_alu instid0(VALU_DEP_1) | instskip(NEXT) | instid1(VALU_DEP_1)
	v_lshl_or_b32 v0, v0, 21, v2
	v_add_nc_u32_e32 v2, 0x38000000, v0
                                        ; implicit-def: $vgpr0
.LBB6_6532:                             ;   in Loop: Header=BB6_5133 Depth=2
	s_and_not1_saveexec_b32 s42, s42
; %bb.6533:                             ;   in Loop: Header=BB6_5133 Depth=2
	v_cmp_lt_i16_e32 vcc_lo, -1, v42
	v_cndmask_b32_e32 v2, 0xff800000, v44, vcc_lo
	v_cmp_eq_u32_e32 vcc_lo, 0, v0
	s_delay_alu instid0(VALU_DEP_2)
	v_cndmask_b32_e32 v2, 0x7f800001, v2, vcc_lo
; %bb.6534:                             ;   in Loop: Header=BB6_5133 Depth=2
	s_or_b32 exec_lo, exec_lo, s42
.LBB6_6535:                             ;   in Loop: Header=BB6_5133 Depth=2
	s_delay_alu instid0(SALU_CYCLE_1)
	s_or_b32 exec_lo, exec_lo, s11
.LBB6_6536:                             ;   in Loop: Header=BB6_5133 Depth=2
	s_delay_alu instid0(SALU_CYCLE_1) | instskip(NEXT) | instid1(VALU_DEP_1)
	s_or_b32 exec_lo, exec_lo, s10
	v_dual_max_num_f32 v0, v2, v2 :: v_dual_max_num_f32 v1, v1, v1
	s_delay_alu instid0(VALU_DEP_1)
	v_min_num_f32_e32 v1, v1, v0
.LBB6_6537:                             ;   in Loop: Header=BB6_5133 Depth=2
	s_delay_alu instid0(VALU_DEP_1) | instskip(SKIP_3) | instid1(VALU_DEP_2)
	v_and_b32_e32 v2, 0x7f800000, v1
	v_mov_b32_e32 v3, v25
	v_and_b32_e32 v24, 0x7fffff, v1
                                        ; implicit-def: $vgpr55
	s_mov_b32 s10, exec_lo
	v_cmpx_ne_u64_e32 0x7f800000, v[2:3]
	s_xor_b32 s11, exec_lo, s10
	s_cbranch_execz .LBB6_6555
; %bb.6538:                             ;   in Loop: Header=BB6_5133 Depth=2
	v_dual_mov_b32 v3, v25 :: v_dual_lshrrev_b32 v0, 24, v1
	v_and_b32_e32 v2, 0x7fffffff, v1
                                        ; implicit-def: $vgpr55
	s_mov_b32 s10, exec_lo
	s_delay_alu instid0(VALU_DEP_2) | instskip(NEXT) | instid1(VALU_DEP_2)
	v_and_b32_e32 v23, 0x80, v0
	v_cmpx_gt_u64_e32 0x47600001, v[2:3]
	s_xor_b32 s42, exec_lo, s10
	s_cbranch_execz .LBB6_6552
; %bb.6539:                             ;   in Loop: Header=BB6_5133 Depth=2
	v_mov_b32_e32 v55, 0
	s_mov_b32 s43, exec_lo
	v_cmpx_ne_u32_e32 0, v1
	s_cbranch_execz .LBB6_6551
; %bb.6540:                             ;   in Loop: Header=BB6_5133 Depth=2
	v_bfe_u32 v27, v1, 23, 8
	v_or_b32_e32 v2, 0x800000, v24
	s_delay_alu instid0(VALU_DEP_2) | instskip(SKIP_1) | instid1(VALU_DEP_2)
	v_sub_nc_u32_e32 v0, 0x71, v27
	v_cmp_gt_u32_e32 vcc_lo, 0x72, v27
	v_cndmask_b32_e32 v0, 0, v0, vcc_lo
	v_cmp_eq_u32_e32 vcc_lo, 0, v27
	s_wait_loadcnt 0x4
	s_delay_alu instid0(VALU_DEP_2) | instskip(NEXT) | instid1(VALU_DEP_1)
	v_cndmask_b32_e64 v33, v0, 0x70, vcc_lo
	v_dual_cndmask_b32 v24, v2, v24, vcc_lo :: v_dual_add_nc_u32 v0, 21, v33
	v_add_nc_u32_e32 v3, 20, v33
	s_delay_alu instid0(VALU_DEP_2) | instskip(NEXT) | instid1(VALU_DEP_2)
	v_lshlrev_b64_e64 v[0:1], v0, -1
	v_lshlrev_b64_e64 v[2:3], v3, 1
	s_delay_alu instid0(VALU_DEP_2) | instskip(NEXT) | instid1(VALU_DEP_3)
	v_bfi_b32 v65, v1, 0, 0
	v_bfi_b32 v64, v0, 0, v24
	v_lshrrev_b64 v[0:1], v33, v[24:25]
	s_delay_alu instid0(VALU_DEP_2) | instskip(NEXT) | instid1(VALU_DEP_2)
	v_cmp_eq_u64_e64 s10, v[64:65], v[2:3]
	v_mov_b64_e32 v[2:3], v[0:1]
	s_and_saveexec_b32 s44, s10
; %bb.6541:                             ;   in Loop: Header=BB6_5133 Depth=2
	v_bfe_u32 v24, v0, 21, 1
	s_delay_alu instid0(VALU_DEP_1) | instskip(NEXT) | instid1(VALU_DEP_1)
	v_add_nc_u64_e32 v[2:3], v[0:1], v[24:25]
	v_add_nc_u64_e32 v[2:3], -1, v[2:3]
; %bb.6542:                             ;   in Loop: Header=BB6_5133 Depth=2
	s_or_b32 exec_lo, exec_lo, s44
	v_add_nc_u32_e32 v1, 0xffffff81, v27
	v_lshrrev_b32_e32 v3, 23, v0
	s_mov_b32 s10, exec_lo
	s_delay_alu instid0(VALU_DEP_2) | instskip(NEXT) | instid1(VALU_DEP_1)
	v_cndmask_b32_e64 v1, v1, 0xffffff82, vcc_lo
	v_add3_u32 v3, v33, v1, v3
	v_and_b32_e32 v1, 0x1fffff, v2
                                        ; implicit-def: $vgpr2
	s_delay_alu instid0(VALU_DEP_1) | instskip(NEXT) | instid1(VALU_DEP_1)
	v_dual_add_nc_u32 v27, 14, v3 :: v_dual_add_nc_u32 v24, v1, v0
                                        ; implicit-def: $vgpr0_vgpr1
	v_cmpx_ne_u32_e32 0, v27
	s_xor_b32 s10, exec_lo, s10
; %bb.6543:                             ;   in Loop: Header=BB6_5133 Depth=2
	s_delay_alu instid0(VALU_DEP_2) | instskip(SKIP_1) | instid1(VALU_DEP_1)
	v_cmp_lt_u64_e32 vcc_lo, 0xffffff, v[24:25]
	v_add_nc_u32_e32 v0, 15, v3
	v_cndmask_b32_e32 v2, v27, v0, vcc_lo
	v_cndmask_b32_e64 v0, 0, 1, vcc_lo
	s_delay_alu instid0(VALU_DEP_1)
	v_lshrrev_b64 v[0:1], v0, v[24:25]
; %bb.6544:                             ;   in Loop: Header=BB6_5133 Depth=2
	s_and_not1_saveexec_b32 s10, s10
; %bb.6545:                             ;   in Loop: Header=BB6_5133 Depth=2
	v_mov_b64_e32 v[0:1], v[24:25]
	v_bfe_u32 v2, v24, 23, 1
; %bb.6546:                             ;   in Loop: Header=BB6_5133 Depth=2
	s_or_b32 exec_lo, exec_lo, s10
	s_delay_alu instid0(VALU_DEP_2) | instskip(NEXT) | instid1(VALU_DEP_2)
	v_lshrrev_b64 v[0:1], 21, v[0:1]
	v_cmp_gt_i32_e32 vcc_lo, 32, v2
	v_cmp_ne_u32_e64 s10, 0, v2
                                        ; implicit-def: $vgpr55
	s_delay_alu instid0(VALU_DEP_3) | instskip(NEXT) | instid1(VALU_DEP_1)
	v_dual_cndmask_b32 v1, 0, v1 :: v_dual_cndmask_b32 v0, 3, v0
	v_cmp_ne_u64_e32 vcc_lo, 0, v[0:1]
	s_or_b32 s10, s10, vcc_lo
	s_delay_alu instid0(SALU_CYCLE_1) | instskip(NEXT) | instid1(SALU_CYCLE_1)
	s_and_saveexec_b32 s44, s10
	s_xor_b32 s10, exec_lo, s44
; %bb.6547:                             ;   in Loop: Header=BB6_5133 Depth=2
	v_min_i32_e32 v1, 31, v2
	s_delay_alu instid0(VALU_DEP_1) | instskip(NEXT) | instid1(VALU_DEP_1)
	v_lshl_or_b32 v1, v1, 2, v23
                                        ; implicit-def: $vgpr23
	v_and_or_b32 v55, v0, 3, v1
; %bb.6548:                             ;   in Loop: Header=BB6_5133 Depth=2
	s_and_not1_saveexec_b32 s10, s10
; %bb.6549:                             ;   in Loop: Header=BB6_5133 Depth=2
	v_mov_b32_e32 v55, v23
; %bb.6550:                             ;   in Loop: Header=BB6_5133 Depth=2
	s_or_b32 exec_lo, exec_lo, s10
.LBB6_6551:                             ;   in Loop: Header=BB6_5133 Depth=2
	s_delay_alu instid0(SALU_CYCLE_1)
	s_or_b32 exec_lo, exec_lo, s43
                                        ; implicit-def: $vgpr23
.LBB6_6552:                             ;   in Loop: Header=BB6_5133 Depth=2
	s_and_not1_saveexec_b32 s10, s42
; %bb.6553:                             ;   in Loop: Header=BB6_5133 Depth=2
	v_or_b32_e32 v55, 0x7b, v23
; %bb.6554:                             ;   in Loop: Header=BB6_5133 Depth=2
	s_or_b32 exec_lo, exec_lo, s10
                                        ; implicit-def: $vgpr1
.LBB6_6555:                             ;   in Loop: Header=BB6_5133 Depth=2
	s_and_not1_saveexec_b32 s10, s11
	s_cbranch_execz .LBB6_6561
; %bb.6556:                             ;   in Loop: Header=BB6_5133 Depth=2
	s_mov_b32 s11, exec_lo
                                        ; implicit-def: $vgpr55
	v_cmpx_ne_u64_e32 0, v[24:25]
	s_xor_b32 s11, exec_lo, s11
; %bb.6557:                             ;   in Loop: Header=BB6_5133 Depth=2
	v_lshrrev_b32_e32 v0, 24, v1
                                        ; implicit-def: $vgpr1
	s_delay_alu instid0(VALU_DEP_1)
	v_or_b32_e32 v55, 0x7f, v0
; %bb.6558:                             ;   in Loop: Header=BB6_5133 Depth=2
	s_and_not1_saveexec_b32 s11, s11
; %bb.6559:                             ;   in Loop: Header=BB6_5133 Depth=2
	v_cmp_lt_i32_e32 vcc_lo, -1, v1
	v_cndmask_b32_e64 v55, -4, 0x7c, vcc_lo
; %bb.6560:                             ;   in Loop: Header=BB6_5133 Depth=2
	s_or_b32 exec_lo, exec_lo, s11
.LBB6_6561:                             ;   in Loop: Header=BB6_5133 Depth=2
	s_delay_alu instid0(SALU_CYCLE_1)
	s_or_b32 exec_lo, exec_lo, s10
	v_and_b32_e32 v0, 0xff, v92
	v_cmp_ne_u16_e64 s10, 0, v92
	s_and_not1_b32 vcc_lo, exec_lo, s15
	s_mov_b32 s11, -1
                                        ; implicit-def: $vgpr1
	s_cbranch_vccnz .LBB6_6583
; %bb.6562:                             ;   in Loop: Header=BB6_5133 Depth=2
	v_dual_mov_b32 v2, 0 :: v_dual_mov_b32 v1, 0
	s_and_saveexec_b32 s11, s10
	s_cbranch_execz .LBB6_6572
; %bb.6563:                             ;   in Loop: Header=BB6_5133 Depth=2
	v_bfrev_b32_e32 v1, 1
	s_mov_b32 s42, exec_lo
	v_cmpx_ne_u16_e32 0xff80, v92
	s_cbranch_execz .LBB6_6571
; %bb.6564:                             ;   in Loop: Header=BB6_5133 Depth=2
	v_and_b32_e32 v1, 0x7c, v0
	v_and_b32_e32 v3, 3, v0
	s_delay_alu instid0(VALU_DEP_2) | instskip(SKIP_1) | instid1(SALU_CYCLE_1)
	v_cmp_ne_u32_e32 vcc_lo, 0x7c, v1
                                        ; implicit-def: $vgpr1
	s_and_saveexec_b32 s43, vcc_lo
	s_xor_b32 s43, exec_lo, s43
	s_cbranch_execz .LBB6_6568
; %bb.6565:                             ;   in Loop: Header=BB6_5133 Depth=2
	v_bfe_u32 v1, v0, 2, 5
	s_mov_b32 s44, exec_lo
	s_delay_alu instid0(VALU_DEP_1)
	v_cmpx_eq_u32_e32 0, v1
	s_cbranch_execz .LBB6_6567
; %bb.6566:                             ;   in Loop: Header=BB6_5133 Depth=2
	v_clz_i32_u32_e32 v1, v3
	s_delay_alu instid0(VALU_DEP_1) | instskip(SKIP_1) | instid1(VALU_DEP_2)
	v_min_u32_e32 v1, 32, v1
	v_mov_b32_e32 v93, v25
	v_subrev_nc_u32_e32 v3, 29, v1
	v_sub_nc_u32_e32 v1, 30, v1
	s_delay_alu instid0(VALU_DEP_2) | instskip(NEXT) | instid1(VALU_DEP_1)
	v_lshlrev_b64_e32 v[64:65], v3, v[92:93]
	v_and_b32_e32 v3, 3, v64
.LBB6_6567:                             ;   in Loop: Header=BB6_5133 Depth=2
	s_or_b32 exec_lo, exec_lo, s44
	v_bfe_i32 v23, v92, 0, 16
	s_delay_alu instid0(VALU_DEP_1) | instskip(NEXT) | instid1(VALU_DEP_1)
	v_and_b32_e32 v23, 0x80000000, v23
	v_lshl_add_u32 v1, v1, 23, v23
	s_delay_alu instid0(VALU_DEP_1) | instskip(NEXT) | instid1(VALU_DEP_1)
	v_lshl_or_b32 v1, v3, 21, v1
                                        ; implicit-def: $vgpr3
	v_add_nc_u32_e32 v1, 0x38000000, v1
.LBB6_6568:                             ;   in Loop: Header=BB6_5133 Depth=2
	s_and_not1_saveexec_b32 s43, s43
; %bb.6569:                             ;   in Loop: Header=BB6_5133 Depth=2
	v_cmp_lt_i16_e32 vcc_lo, -1, v92
	v_cndmask_b32_e32 v1, 0xff800000, v44, vcc_lo
	v_cmp_eq_u32_e32 vcc_lo, 0, v3
	s_delay_alu instid0(VALU_DEP_2)
	v_cndmask_b32_e32 v1, 0x7f800001, v1, vcc_lo
; %bb.6570:                             ;   in Loop: Header=BB6_5133 Depth=2
	s_or_b32 exec_lo, exec_lo, s43
.LBB6_6571:                             ;   in Loop: Header=BB6_5133 Depth=2
	s_delay_alu instid0(SALU_CYCLE_1)
	s_or_b32 exec_lo, exec_lo, s42
.LBB6_6572:                             ;   in Loop: Header=BB6_5133 Depth=2
	s_delay_alu instid0(SALU_CYCLE_1) | instskip(NEXT) | instid1(SALU_CYCLE_1)
	s_or_b32 exec_lo, exec_lo, s11
	s_mov_b32 s11, exec_lo
	s_wait_loadcnt 0x0
	v_cmpx_ne_u16_e32 0, v66
	s_cbranch_execz .LBB6_6582
; %bb.6573:                             ;   in Loop: Header=BB6_5133 Depth=2
	v_bfrev_b32_e32 v2, 1
	s_mov_b32 s42, exec_lo
	v_cmpx_ne_u16_e32 0xff80, v66
	s_cbranch_execz .LBB6_6581
; %bb.6574:                             ;   in Loop: Header=BB6_5133 Depth=2
	v_and_b32_e32 v2, 0x7c, v66
	v_and_b32_e32 v3, 3, v66
	s_delay_alu instid0(VALU_DEP_2) | instskip(SKIP_1) | instid1(SALU_CYCLE_1)
	v_cmp_ne_u32_e32 vcc_lo, 0x7c, v2
                                        ; implicit-def: $vgpr2
	s_and_saveexec_b32 s43, vcc_lo
	s_xor_b32 s43, exec_lo, s43
	s_cbranch_execz .LBB6_6578
; %bb.6575:                             ;   in Loop: Header=BB6_5133 Depth=2
	v_and_b32_e32 v2, 0xff, v66
	s_mov_b32 s44, exec_lo
	s_delay_alu instid0(VALU_DEP_1) | instskip(NEXT) | instid1(VALU_DEP_1)
	v_bfe_u32 v2, v2, 2, 5
	v_cmpx_eq_u32_e32 0, v2
	s_cbranch_execz .LBB6_6577
; %bb.6576:                             ;   in Loop: Header=BB6_5133 Depth=2
	v_clz_i32_u32_e32 v2, v3
	s_delay_alu instid0(VALU_DEP_1) | instskip(SKIP_1) | instid1(VALU_DEP_2)
	v_min_u32_e32 v2, 32, v2
	v_mov_b32_e32 v67, v25
	v_subrev_nc_u32_e32 v3, 29, v2
	v_sub_nc_u32_e32 v2, 30, v2
	s_delay_alu instid0(VALU_DEP_2) | instskip(NEXT) | instid1(VALU_DEP_1)
	v_lshlrev_b64_e32 v[64:65], v3, v[66:67]
	v_and_b32_e32 v3, 3, v64
.LBB6_6577:                             ;   in Loop: Header=BB6_5133 Depth=2
	s_or_b32 exec_lo, exec_lo, s44
	v_bfe_i32 v23, v66, 0, 16
	s_delay_alu instid0(VALU_DEP_1) | instskip(NEXT) | instid1(VALU_DEP_1)
	v_and_b32_e32 v23, 0x80000000, v23
	v_lshl_add_u32 v2, v2, 23, v23
	s_delay_alu instid0(VALU_DEP_1) | instskip(NEXT) | instid1(VALU_DEP_1)
	v_lshl_or_b32 v2, v3, 21, v2
                                        ; implicit-def: $vgpr3
	v_add_nc_u32_e32 v2, 0x38000000, v2
.LBB6_6578:                             ;   in Loop: Header=BB6_5133 Depth=2
	s_and_not1_saveexec_b32 s43, s43
; %bb.6579:                             ;   in Loop: Header=BB6_5133 Depth=2
	v_cmp_lt_i16_e32 vcc_lo, -1, v66
	v_cndmask_b32_e32 v2, 0xff800000, v44, vcc_lo
	v_cmp_eq_u32_e32 vcc_lo, 0, v3
	s_delay_alu instid0(VALU_DEP_2)
	v_cndmask_b32_e32 v2, 0x7f800001, v2, vcc_lo
; %bb.6580:                             ;   in Loop: Header=BB6_5133 Depth=2
	s_or_b32 exec_lo, exec_lo, s43
.LBB6_6581:                             ;   in Loop: Header=BB6_5133 Depth=2
	s_delay_alu instid0(SALU_CYCLE_1)
	s_or_b32 exec_lo, exec_lo, s42
.LBB6_6582:                             ;   in Loop: Header=BB6_5133 Depth=2
	s_delay_alu instid0(SALU_CYCLE_1) | instskip(NEXT) | instid1(VALU_DEP_1)
	s_or_b32 exec_lo, exec_lo, s11
	v_dual_max_num_f32 v2, v2, v2 :: v_dual_max_num_f32 v1, v1, v1
	s_mov_b32 s11, 0
	s_delay_alu instid0(VALU_DEP_1)
	v_max_num_f32_e32 v1, v1, v2
.LBB6_6583:                             ;   in Loop: Header=BB6_5133 Depth=2
	s_and_b32 vcc_lo, exec_lo, s11
	s_cbranch_vccz .LBB6_6605
; %bb.6584:                             ;   in Loop: Header=BB6_5133 Depth=2
	v_dual_mov_b32 v2, 0 :: v_dual_mov_b32 v1, 0
	s_and_saveexec_b32 s11, s10
	s_cbranch_execz .LBB6_6594
; %bb.6585:                             ;   in Loop: Header=BB6_5133 Depth=2
	v_bfrev_b32_e32 v1, 1
	s_mov_b32 s10, exec_lo
	v_cmpx_ne_u16_e32 0xff80, v92
	s_cbranch_execz .LBB6_6593
; %bb.6586:                             ;   in Loop: Header=BB6_5133 Depth=2
	v_and_b32_e32 v1, 0x7c, v0
	v_and_b32_e32 v3, 3, v0
	s_delay_alu instid0(VALU_DEP_2) | instskip(SKIP_1) | instid1(SALU_CYCLE_1)
	v_cmp_ne_u32_e32 vcc_lo, 0x7c, v1
                                        ; implicit-def: $vgpr1
	s_and_saveexec_b32 s42, vcc_lo
	s_xor_b32 s42, exec_lo, s42
	s_cbranch_execz .LBB6_6590
; %bb.6587:                             ;   in Loop: Header=BB6_5133 Depth=2
	v_bfe_u32 v0, v0, 2, 5
	s_mov_b32 s43, exec_lo
	s_delay_alu instid0(VALU_DEP_1)
	v_cmpx_eq_u32_e32 0, v0
	s_cbranch_execz .LBB6_6589
; %bb.6588:                             ;   in Loop: Header=BB6_5133 Depth=2
	v_clz_i32_u32_e32 v0, v3
	s_delay_alu instid0(VALU_DEP_1) | instskip(SKIP_1) | instid1(VALU_DEP_2)
	v_min_u32_e32 v0, 32, v0
	v_mov_b32_e32 v93, v25
	v_subrev_nc_u32_e32 v1, 29, v0
	v_sub_nc_u32_e32 v0, 30, v0
	s_delay_alu instid0(VALU_DEP_2) | instskip(NEXT) | instid1(VALU_DEP_1)
	v_lshlrev_b64_e32 v[64:65], v1, v[92:93]
	v_and_b32_e32 v3, 3, v64
.LBB6_6589:                             ;   in Loop: Header=BB6_5133 Depth=2
	s_or_b32 exec_lo, exec_lo, s43
	v_bfe_i32 v1, v92, 0, 16
                                        ; implicit-def: $vgpr92
	s_delay_alu instid0(VALU_DEP_1) | instskip(NEXT) | instid1(VALU_DEP_1)
	v_and_b32_e32 v1, 0x80000000, v1
	v_lshl_add_u32 v0, v0, 23, v1
	s_delay_alu instid0(VALU_DEP_1) | instskip(NEXT) | instid1(VALU_DEP_1)
	v_lshl_or_b32 v0, v3, 21, v0
                                        ; implicit-def: $vgpr3
	v_add_nc_u32_e32 v1, 0x38000000, v0
.LBB6_6590:                             ;   in Loop: Header=BB6_5133 Depth=2
	s_and_not1_saveexec_b32 s42, s42
; %bb.6591:                             ;   in Loop: Header=BB6_5133 Depth=2
	v_cmp_lt_i16_e32 vcc_lo, -1, v92
	v_cndmask_b32_e32 v0, 0xff800000, v44, vcc_lo
	v_cmp_eq_u32_e32 vcc_lo, 0, v3
	s_delay_alu instid0(VALU_DEP_2)
	v_cndmask_b32_e32 v1, 0x7f800001, v0, vcc_lo
; %bb.6592:                             ;   in Loop: Header=BB6_5133 Depth=2
	s_or_b32 exec_lo, exec_lo, s42
.LBB6_6593:                             ;   in Loop: Header=BB6_5133 Depth=2
	s_delay_alu instid0(SALU_CYCLE_1)
	s_or_b32 exec_lo, exec_lo, s10
.LBB6_6594:                             ;   in Loop: Header=BB6_5133 Depth=2
	s_delay_alu instid0(SALU_CYCLE_1) | instskip(NEXT) | instid1(SALU_CYCLE_1)
	s_or_b32 exec_lo, exec_lo, s11
	s_mov_b32 s10, exec_lo
	s_wait_loadcnt 0x0
	v_cmpx_ne_u16_e32 0, v66
	s_cbranch_execz .LBB6_6604
; %bb.6595:                             ;   in Loop: Header=BB6_5133 Depth=2
	v_bfrev_b32_e32 v2, 1
	s_mov_b32 s11, exec_lo
	v_cmpx_ne_u16_e32 0xff80, v66
	s_cbranch_execz .LBB6_6603
; %bb.6596:                             ;   in Loop: Header=BB6_5133 Depth=2
	v_and_b32_e32 v2, 0x7c, v66
	v_and_b32_e32 v0, 3, v66
	s_delay_alu instid0(VALU_DEP_2) | instskip(SKIP_1) | instid1(SALU_CYCLE_1)
	v_cmp_ne_u32_e32 vcc_lo, 0x7c, v2
                                        ; implicit-def: $vgpr2
	s_and_saveexec_b32 s42, vcc_lo
	s_xor_b32 s42, exec_lo, s42
	s_cbranch_execz .LBB6_6600
; %bb.6597:                             ;   in Loop: Header=BB6_5133 Depth=2
	v_and_b32_e32 v2, 0xff, v66
	s_mov_b32 s43, exec_lo
	s_delay_alu instid0(VALU_DEP_1) | instskip(NEXT) | instid1(VALU_DEP_1)
	v_bfe_u32 v2, v2, 2, 5
	v_cmpx_eq_u32_e32 0, v2
	s_cbranch_execz .LBB6_6599
; %bb.6598:                             ;   in Loop: Header=BB6_5133 Depth=2
	v_clz_i32_u32_e32 v0, v0
	s_delay_alu instid0(VALU_DEP_1) | instskip(SKIP_1) | instid1(VALU_DEP_2)
	v_min_u32_e32 v0, 32, v0
	v_mov_b32_e32 v67, v25
	v_subrev_nc_u32_e32 v2, 29, v0
	s_delay_alu instid0(VALU_DEP_1) | instskip(SKIP_1) | instid1(VALU_DEP_2)
	v_lshlrev_b64_e32 v[64:65], v2, v[66:67]
	v_sub_nc_u32_e32 v2, 30, v0
	v_and_b32_e32 v0, 3, v64
.LBB6_6599:                             ;   in Loop: Header=BB6_5133 Depth=2
	s_or_b32 exec_lo, exec_lo, s43
	v_bfe_i32 v3, v66, 0, 16
                                        ; implicit-def: $vgpr66
	s_delay_alu instid0(VALU_DEP_1) | instskip(NEXT) | instid1(VALU_DEP_1)
	v_and_b32_e32 v3, 0x80000000, v3
	v_lshl_add_u32 v2, v2, 23, v3
	s_delay_alu instid0(VALU_DEP_1) | instskip(NEXT) | instid1(VALU_DEP_1)
	v_lshl_or_b32 v0, v0, 21, v2
	v_add_nc_u32_e32 v2, 0x38000000, v0
                                        ; implicit-def: $vgpr0
.LBB6_6600:                             ;   in Loop: Header=BB6_5133 Depth=2
	s_and_not1_saveexec_b32 s42, s42
; %bb.6601:                             ;   in Loop: Header=BB6_5133 Depth=2
	v_cmp_lt_i16_e32 vcc_lo, -1, v66
	v_cndmask_b32_e32 v2, 0xff800000, v44, vcc_lo
	v_cmp_eq_u32_e32 vcc_lo, 0, v0
	s_delay_alu instid0(VALU_DEP_2)
	v_cndmask_b32_e32 v2, 0x7f800001, v2, vcc_lo
; %bb.6602:                             ;   in Loop: Header=BB6_5133 Depth=2
	s_or_b32 exec_lo, exec_lo, s42
.LBB6_6603:                             ;   in Loop: Header=BB6_5133 Depth=2
	s_delay_alu instid0(SALU_CYCLE_1)
	s_or_b32 exec_lo, exec_lo, s11
.LBB6_6604:                             ;   in Loop: Header=BB6_5133 Depth=2
	s_delay_alu instid0(SALU_CYCLE_1) | instskip(NEXT) | instid1(VALU_DEP_1)
	s_or_b32 exec_lo, exec_lo, s10
	v_dual_max_num_f32 v0, v2, v2 :: v_dual_max_num_f32 v1, v1, v1
	s_delay_alu instid0(VALU_DEP_1)
	v_min_num_f32_e32 v1, v1, v0
.LBB6_6605:                             ;   in Loop: Header=BB6_5133 Depth=2
	s_delay_alu instid0(VALU_DEP_1) | instskip(SKIP_3) | instid1(VALU_DEP_2)
	v_and_b32_e32 v2, 0x7f800000, v1
	v_mov_b32_e32 v3, v25
	v_and_b32_e32 v24, 0x7fffff, v1
                                        ; implicit-def: $vgpr64
	s_mov_b32 s10, exec_lo
	v_cmpx_ne_u64_e32 0x7f800000, v[2:3]
	s_xor_b32 s11, exec_lo, s10
	s_cbranch_execz .LBB6_6623
; %bb.6606:                             ;   in Loop: Header=BB6_5133 Depth=2
	v_dual_mov_b32 v3, v25 :: v_dual_lshrrev_b32 v0, 24, v1
	v_and_b32_e32 v2, 0x7fffffff, v1
                                        ; implicit-def: $vgpr64
	s_mov_b32 s10, exec_lo
	s_delay_alu instid0(VALU_DEP_2) | instskip(NEXT) | instid1(VALU_DEP_2)
	v_and_b32_e32 v23, 0x80, v0
	v_cmpx_gt_u64_e32 0x47600001, v[2:3]
	s_xor_b32 s42, exec_lo, s10
	s_cbranch_execz .LBB6_6620
; %bb.6607:                             ;   in Loop: Header=BB6_5133 Depth=2
	v_mov_b32_e32 v64, 0
	s_mov_b32 s43, exec_lo
	v_cmpx_ne_u32_e32 0, v1
	s_cbranch_execz .LBB6_6619
; %bb.6608:                             ;   in Loop: Header=BB6_5133 Depth=2
	v_bfe_u32 v27, v1, 23, 8
	v_or_b32_e32 v2, 0x800000, v24
	s_delay_alu instid0(VALU_DEP_2) | instskip(SKIP_1) | instid1(VALU_DEP_2)
	v_sub_nc_u32_e32 v0, 0x71, v27
	v_cmp_gt_u32_e32 vcc_lo, 0x72, v27
	v_cndmask_b32_e32 v0, 0, v0, vcc_lo
	v_cmp_eq_u32_e32 vcc_lo, 0, v27
	s_wait_loadcnt 0x4
	s_delay_alu instid0(VALU_DEP_2) | instskip(NEXT) | instid1(VALU_DEP_1)
	v_cndmask_b32_e64 v33, v0, 0x70, vcc_lo
	v_dual_cndmask_b32 v24, v2, v24, vcc_lo :: v_dual_add_nc_u32 v0, 21, v33
	v_add_nc_u32_e32 v3, 20, v33
	s_delay_alu instid0(VALU_DEP_2) | instskip(NEXT) | instid1(VALU_DEP_2)
	v_lshlrev_b64_e64 v[0:1], v0, -1
	v_lshlrev_b64_e64 v[2:3], v3, 1
	s_delay_alu instid0(VALU_DEP_2) | instskip(NEXT) | instid1(VALU_DEP_3)
	v_bfi_b32 v65, v1, 0, 0
	v_bfi_b32 v64, v0, 0, v24
	v_lshrrev_b64 v[0:1], v33, v[24:25]
	s_delay_alu instid0(VALU_DEP_2) | instskip(NEXT) | instid1(VALU_DEP_2)
	v_cmp_eq_u64_e64 s10, v[64:65], v[2:3]
	v_mov_b64_e32 v[2:3], v[0:1]
	s_and_saveexec_b32 s44, s10
; %bb.6609:                             ;   in Loop: Header=BB6_5133 Depth=2
	v_bfe_u32 v24, v0, 21, 1
	s_delay_alu instid0(VALU_DEP_1) | instskip(NEXT) | instid1(VALU_DEP_1)
	v_add_nc_u64_e32 v[2:3], v[0:1], v[24:25]
	v_add_nc_u64_e32 v[2:3], -1, v[2:3]
; %bb.6610:                             ;   in Loop: Header=BB6_5133 Depth=2
	s_or_b32 exec_lo, exec_lo, s44
	v_add_nc_u32_e32 v1, 0xffffff81, v27
	v_lshrrev_b32_e32 v3, 23, v0
	s_mov_b32 s10, exec_lo
	s_delay_alu instid0(VALU_DEP_2) | instskip(NEXT) | instid1(VALU_DEP_1)
	v_cndmask_b32_e64 v1, v1, 0xffffff82, vcc_lo
	v_add3_u32 v3, v33, v1, v3
	v_and_b32_e32 v1, 0x1fffff, v2
                                        ; implicit-def: $vgpr2
	s_delay_alu instid0(VALU_DEP_1) | instskip(NEXT) | instid1(VALU_DEP_1)
	v_dual_add_nc_u32 v27, 14, v3 :: v_dual_add_nc_u32 v24, v1, v0
                                        ; implicit-def: $vgpr0_vgpr1
	v_cmpx_ne_u32_e32 0, v27
	s_xor_b32 s10, exec_lo, s10
; %bb.6611:                             ;   in Loop: Header=BB6_5133 Depth=2
	s_delay_alu instid0(VALU_DEP_2) | instskip(SKIP_1) | instid1(VALU_DEP_1)
	v_cmp_lt_u64_e32 vcc_lo, 0xffffff, v[24:25]
	v_add_nc_u32_e32 v0, 15, v3
	v_cndmask_b32_e32 v2, v27, v0, vcc_lo
	v_cndmask_b32_e64 v0, 0, 1, vcc_lo
	s_delay_alu instid0(VALU_DEP_1)
	v_lshrrev_b64 v[0:1], v0, v[24:25]
; %bb.6612:                             ;   in Loop: Header=BB6_5133 Depth=2
	s_and_not1_saveexec_b32 s10, s10
; %bb.6613:                             ;   in Loop: Header=BB6_5133 Depth=2
	v_mov_b64_e32 v[0:1], v[24:25]
	v_bfe_u32 v2, v24, 23, 1
; %bb.6614:                             ;   in Loop: Header=BB6_5133 Depth=2
	s_or_b32 exec_lo, exec_lo, s10
	s_delay_alu instid0(VALU_DEP_2) | instskip(NEXT) | instid1(VALU_DEP_2)
	v_lshrrev_b64 v[0:1], 21, v[0:1]
	v_cmp_gt_i32_e32 vcc_lo, 32, v2
	v_cmp_ne_u32_e64 s10, 0, v2
                                        ; implicit-def: $vgpr64
	s_delay_alu instid0(VALU_DEP_3) | instskip(NEXT) | instid1(VALU_DEP_1)
	v_dual_cndmask_b32 v1, 0, v1 :: v_dual_cndmask_b32 v0, 3, v0
	v_cmp_ne_u64_e32 vcc_lo, 0, v[0:1]
	s_or_b32 s10, s10, vcc_lo
	s_delay_alu instid0(SALU_CYCLE_1) | instskip(NEXT) | instid1(SALU_CYCLE_1)
	s_and_saveexec_b32 s44, s10
	s_xor_b32 s10, exec_lo, s44
; %bb.6615:                             ;   in Loop: Header=BB6_5133 Depth=2
	v_min_i32_e32 v1, 31, v2
	s_delay_alu instid0(VALU_DEP_1) | instskip(NEXT) | instid1(VALU_DEP_1)
	v_lshl_or_b32 v1, v1, 2, v23
                                        ; implicit-def: $vgpr23
	v_and_or_b32 v64, v0, 3, v1
; %bb.6616:                             ;   in Loop: Header=BB6_5133 Depth=2
	s_and_not1_saveexec_b32 s10, s10
; %bb.6617:                             ;   in Loop: Header=BB6_5133 Depth=2
	v_mov_b32_e32 v64, v23
; %bb.6618:                             ;   in Loop: Header=BB6_5133 Depth=2
	s_or_b32 exec_lo, exec_lo, s10
.LBB6_6619:                             ;   in Loop: Header=BB6_5133 Depth=2
	s_delay_alu instid0(SALU_CYCLE_1)
	s_or_b32 exec_lo, exec_lo, s43
                                        ; implicit-def: $vgpr23
.LBB6_6620:                             ;   in Loop: Header=BB6_5133 Depth=2
	s_and_not1_saveexec_b32 s10, s42
; %bb.6621:                             ;   in Loop: Header=BB6_5133 Depth=2
	v_or_b32_e32 v64, 0x7b, v23
; %bb.6622:                             ;   in Loop: Header=BB6_5133 Depth=2
	s_or_b32 exec_lo, exec_lo, s10
                                        ; implicit-def: $vgpr1
.LBB6_6623:                             ;   in Loop: Header=BB6_5133 Depth=2
	s_and_not1_saveexec_b32 s10, s11
	s_cbranch_execz .LBB6_6629
; %bb.6624:                             ;   in Loop: Header=BB6_5133 Depth=2
	s_mov_b32 s11, exec_lo
                                        ; implicit-def: $vgpr64
	v_cmpx_ne_u64_e32 0, v[24:25]
	s_xor_b32 s11, exec_lo, s11
; %bb.6625:                             ;   in Loop: Header=BB6_5133 Depth=2
	v_lshrrev_b32_e32 v0, 24, v1
                                        ; implicit-def: $vgpr1
	s_delay_alu instid0(VALU_DEP_1)
	v_or_b32_e32 v64, 0x7f, v0
; %bb.6626:                             ;   in Loop: Header=BB6_5133 Depth=2
	s_and_not1_saveexec_b32 s11, s11
; %bb.6627:                             ;   in Loop: Header=BB6_5133 Depth=2
	v_cmp_lt_i32_e32 vcc_lo, -1, v1
	v_cndmask_b32_e64 v64, -4, 0x7c, vcc_lo
; %bb.6628:                             ;   in Loop: Header=BB6_5133 Depth=2
	s_or_b32 exec_lo, exec_lo, s11
.LBB6_6629:                             ;   in Loop: Header=BB6_5133 Depth=2
	s_delay_alu instid0(SALU_CYCLE_1)
	s_or_b32 exec_lo, exec_lo, s10
	v_and_b32_e32 v0, 0xff, v76
	v_cmp_ne_u16_e64 s10, 0, v76
	s_and_not1_b32 vcc_lo, exec_lo, s15
	s_mov_b32 s11, -1
                                        ; implicit-def: $vgpr1
	s_cbranch_vccnz .LBB6_6651
; %bb.6630:                             ;   in Loop: Header=BB6_5133 Depth=2
	v_dual_mov_b32 v2, 0 :: v_dual_mov_b32 v1, 0
	s_and_saveexec_b32 s11, s10
	s_cbranch_execz .LBB6_6640
; %bb.6631:                             ;   in Loop: Header=BB6_5133 Depth=2
	v_bfrev_b32_e32 v1, 1
	s_mov_b32 s42, exec_lo
	v_cmpx_ne_u16_e32 0xff80, v76
	s_cbranch_execz .LBB6_6639
; %bb.6632:                             ;   in Loop: Header=BB6_5133 Depth=2
	v_and_b32_e32 v1, 0x7c, v0
	v_and_b32_e32 v3, 3, v0
	s_delay_alu instid0(VALU_DEP_2) | instskip(SKIP_1) | instid1(SALU_CYCLE_1)
	v_cmp_ne_u32_e32 vcc_lo, 0x7c, v1
                                        ; implicit-def: $vgpr1
	s_and_saveexec_b32 s43, vcc_lo
	s_xor_b32 s43, exec_lo, s43
	s_cbranch_execz .LBB6_6636
; %bb.6633:                             ;   in Loop: Header=BB6_5133 Depth=2
	v_bfe_u32 v1, v0, 2, 5
	s_mov_b32 s44, exec_lo
	s_delay_alu instid0(VALU_DEP_1)
	v_cmpx_eq_u32_e32 0, v1
	s_cbranch_execz .LBB6_6635
; %bb.6634:                             ;   in Loop: Header=BB6_5133 Depth=2
	v_clz_i32_u32_e32 v1, v3
	s_delay_alu instid0(VALU_DEP_1) | instskip(SKIP_1) | instid1(VALU_DEP_2)
	v_min_u32_e32 v1, 32, v1
	v_mov_b32_e32 v77, v25
	v_subrev_nc_u32_e32 v3, 29, v1
	v_sub_nc_u32_e32 v1, 30, v1
	s_wait_loadcnt 0x0
	s_delay_alu instid0(VALU_DEP_2) | instskip(NEXT) | instid1(VALU_DEP_1)
	v_lshlrev_b64_e32 v[66:67], v3, v[76:77]
	v_and_b32_e32 v3, 3, v66
.LBB6_6635:                             ;   in Loop: Header=BB6_5133 Depth=2
	s_or_b32 exec_lo, exec_lo, s44
	v_bfe_i32 v23, v76, 0, 16
	s_delay_alu instid0(VALU_DEP_1) | instskip(NEXT) | instid1(VALU_DEP_1)
	v_and_b32_e32 v23, 0x80000000, v23
	v_lshl_add_u32 v1, v1, 23, v23
	s_delay_alu instid0(VALU_DEP_1) | instskip(NEXT) | instid1(VALU_DEP_1)
	v_lshl_or_b32 v1, v3, 21, v1
                                        ; implicit-def: $vgpr3
	v_add_nc_u32_e32 v1, 0x38000000, v1
.LBB6_6636:                             ;   in Loop: Header=BB6_5133 Depth=2
	s_and_not1_saveexec_b32 s43, s43
; %bb.6637:                             ;   in Loop: Header=BB6_5133 Depth=2
	v_cmp_lt_i16_e32 vcc_lo, -1, v76
	v_cndmask_b32_e32 v1, 0xff800000, v44, vcc_lo
	v_cmp_eq_u32_e32 vcc_lo, 0, v3
	s_delay_alu instid0(VALU_DEP_2)
	v_cndmask_b32_e32 v1, 0x7f800001, v1, vcc_lo
; %bb.6638:                             ;   in Loop: Header=BB6_5133 Depth=2
	s_or_b32 exec_lo, exec_lo, s43
.LBB6_6639:                             ;   in Loop: Header=BB6_5133 Depth=2
	s_delay_alu instid0(SALU_CYCLE_1)
	s_or_b32 exec_lo, exec_lo, s42
.LBB6_6640:                             ;   in Loop: Header=BB6_5133 Depth=2
	s_delay_alu instid0(SALU_CYCLE_1) | instskip(NEXT) | instid1(SALU_CYCLE_1)
	s_or_b32 exec_lo, exec_lo, s11
	s_mov_b32 s11, exec_lo
	v_cmpx_ne_u16_e32 0, v118
	s_cbranch_execz .LBB6_6650
; %bb.6641:                             ;   in Loop: Header=BB6_5133 Depth=2
	v_bfrev_b32_e32 v2, 1
	s_mov_b32 s42, exec_lo
	v_cmpx_ne_u16_e32 0xff80, v118
	s_cbranch_execz .LBB6_6649
; %bb.6642:                             ;   in Loop: Header=BB6_5133 Depth=2
	v_and_b32_e32 v2, 0x7c, v118
	v_and_b32_e32 v3, 3, v118
	s_delay_alu instid0(VALU_DEP_2) | instskip(SKIP_1) | instid1(SALU_CYCLE_1)
	v_cmp_ne_u32_e32 vcc_lo, 0x7c, v2
                                        ; implicit-def: $vgpr2
	s_and_saveexec_b32 s43, vcc_lo
	s_xor_b32 s43, exec_lo, s43
	s_cbranch_execz .LBB6_6646
; %bb.6643:                             ;   in Loop: Header=BB6_5133 Depth=2
	v_and_b32_e32 v2, 0xff, v118
	s_mov_b32 s44, exec_lo
	s_delay_alu instid0(VALU_DEP_1) | instskip(NEXT) | instid1(VALU_DEP_1)
	v_bfe_u32 v2, v2, 2, 5
	v_cmpx_eq_u32_e32 0, v2
	s_cbranch_execz .LBB6_6645
; %bb.6644:                             ;   in Loop: Header=BB6_5133 Depth=2
	v_clz_i32_u32_e32 v2, v3
	s_delay_alu instid0(VALU_DEP_1) | instskip(SKIP_1) | instid1(VALU_DEP_2)
	v_min_u32_e32 v2, 32, v2
	v_mov_b32_e32 v119, v25
	v_subrev_nc_u32_e32 v3, 29, v2
	v_sub_nc_u32_e32 v2, 30, v2
	s_wait_loadcnt 0x0
	s_delay_alu instid0(VALU_DEP_2) | instskip(NEXT) | instid1(VALU_DEP_1)
	v_lshlrev_b64_e32 v[66:67], v3, v[118:119]
	v_and_b32_e32 v3, 3, v66
.LBB6_6645:                             ;   in Loop: Header=BB6_5133 Depth=2
	s_or_b32 exec_lo, exec_lo, s44
	v_bfe_i32 v23, v118, 0, 16
	s_delay_alu instid0(VALU_DEP_1) | instskip(NEXT) | instid1(VALU_DEP_1)
	v_and_b32_e32 v23, 0x80000000, v23
	v_lshl_add_u32 v2, v2, 23, v23
	s_delay_alu instid0(VALU_DEP_1) | instskip(NEXT) | instid1(VALU_DEP_1)
	v_lshl_or_b32 v2, v3, 21, v2
                                        ; implicit-def: $vgpr3
	v_add_nc_u32_e32 v2, 0x38000000, v2
.LBB6_6646:                             ;   in Loop: Header=BB6_5133 Depth=2
	s_and_not1_saveexec_b32 s43, s43
; %bb.6647:                             ;   in Loop: Header=BB6_5133 Depth=2
	v_cmp_lt_i16_e32 vcc_lo, -1, v118
	v_cndmask_b32_e32 v2, 0xff800000, v44, vcc_lo
	v_cmp_eq_u32_e32 vcc_lo, 0, v3
	s_delay_alu instid0(VALU_DEP_2)
	v_cndmask_b32_e32 v2, 0x7f800001, v2, vcc_lo
; %bb.6648:                             ;   in Loop: Header=BB6_5133 Depth=2
	s_or_b32 exec_lo, exec_lo, s43
.LBB6_6649:                             ;   in Loop: Header=BB6_5133 Depth=2
	s_delay_alu instid0(SALU_CYCLE_1)
	s_or_b32 exec_lo, exec_lo, s42
.LBB6_6650:                             ;   in Loop: Header=BB6_5133 Depth=2
	s_delay_alu instid0(SALU_CYCLE_1) | instskip(NEXT) | instid1(VALU_DEP_1)
	s_or_b32 exec_lo, exec_lo, s11
	v_dual_max_num_f32 v2, v2, v2 :: v_dual_max_num_f32 v1, v1, v1
	s_mov_b32 s11, 0
	s_delay_alu instid0(VALU_DEP_1)
	v_max_num_f32_e32 v1, v1, v2
.LBB6_6651:                             ;   in Loop: Header=BB6_5133 Depth=2
	s_and_b32 vcc_lo, exec_lo, s11
	s_cbranch_vccz .LBB6_6673
; %bb.6652:                             ;   in Loop: Header=BB6_5133 Depth=2
	v_dual_mov_b32 v2, 0 :: v_dual_mov_b32 v1, 0
	s_and_saveexec_b32 s11, s10
	s_cbranch_execz .LBB6_6662
; %bb.6653:                             ;   in Loop: Header=BB6_5133 Depth=2
	v_bfrev_b32_e32 v1, 1
	s_mov_b32 s10, exec_lo
	v_cmpx_ne_u16_e32 0xff80, v76
	s_cbranch_execz .LBB6_6661
; %bb.6654:                             ;   in Loop: Header=BB6_5133 Depth=2
	v_and_b32_e32 v1, 0x7c, v0
	v_and_b32_e32 v3, 3, v0
	s_delay_alu instid0(VALU_DEP_2) | instskip(SKIP_1) | instid1(SALU_CYCLE_1)
	v_cmp_ne_u32_e32 vcc_lo, 0x7c, v1
                                        ; implicit-def: $vgpr1
	s_and_saveexec_b32 s42, vcc_lo
	s_xor_b32 s42, exec_lo, s42
	s_cbranch_execz .LBB6_6658
; %bb.6655:                             ;   in Loop: Header=BB6_5133 Depth=2
	v_bfe_u32 v0, v0, 2, 5
	s_mov_b32 s43, exec_lo
	s_delay_alu instid0(VALU_DEP_1)
	v_cmpx_eq_u32_e32 0, v0
	s_cbranch_execz .LBB6_6657
; %bb.6656:                             ;   in Loop: Header=BB6_5133 Depth=2
	v_clz_i32_u32_e32 v0, v3
	s_delay_alu instid0(VALU_DEP_1) | instskip(SKIP_1) | instid1(VALU_DEP_2)
	v_min_u32_e32 v0, 32, v0
	v_mov_b32_e32 v77, v25
	v_subrev_nc_u32_e32 v1, 29, v0
	v_sub_nc_u32_e32 v0, 30, v0
	s_wait_loadcnt 0x0
	s_delay_alu instid0(VALU_DEP_2) | instskip(NEXT) | instid1(VALU_DEP_1)
	v_lshlrev_b64_e32 v[66:67], v1, v[76:77]
	v_and_b32_e32 v3, 3, v66
.LBB6_6657:                             ;   in Loop: Header=BB6_5133 Depth=2
	s_or_b32 exec_lo, exec_lo, s43
	v_bfe_i32 v1, v76, 0, 16
                                        ; implicit-def: $vgpr76
	s_delay_alu instid0(VALU_DEP_1) | instskip(NEXT) | instid1(VALU_DEP_1)
	v_and_b32_e32 v1, 0x80000000, v1
	v_lshl_add_u32 v0, v0, 23, v1
	s_delay_alu instid0(VALU_DEP_1) | instskip(NEXT) | instid1(VALU_DEP_1)
	v_lshl_or_b32 v0, v3, 21, v0
                                        ; implicit-def: $vgpr3
	v_add_nc_u32_e32 v1, 0x38000000, v0
.LBB6_6658:                             ;   in Loop: Header=BB6_5133 Depth=2
	s_and_not1_saveexec_b32 s42, s42
; %bb.6659:                             ;   in Loop: Header=BB6_5133 Depth=2
	v_cmp_lt_i16_e32 vcc_lo, -1, v76
	v_cndmask_b32_e32 v0, 0xff800000, v44, vcc_lo
	v_cmp_eq_u32_e32 vcc_lo, 0, v3
	s_delay_alu instid0(VALU_DEP_2)
	v_cndmask_b32_e32 v1, 0x7f800001, v0, vcc_lo
; %bb.6660:                             ;   in Loop: Header=BB6_5133 Depth=2
	s_or_b32 exec_lo, exec_lo, s42
.LBB6_6661:                             ;   in Loop: Header=BB6_5133 Depth=2
	s_delay_alu instid0(SALU_CYCLE_1)
	s_or_b32 exec_lo, exec_lo, s10
.LBB6_6662:                             ;   in Loop: Header=BB6_5133 Depth=2
	s_delay_alu instid0(SALU_CYCLE_1) | instskip(NEXT) | instid1(SALU_CYCLE_1)
	s_or_b32 exec_lo, exec_lo, s11
	s_mov_b32 s10, exec_lo
	v_cmpx_ne_u16_e32 0, v118
	s_cbranch_execz .LBB6_6672
; %bb.6663:                             ;   in Loop: Header=BB6_5133 Depth=2
	v_bfrev_b32_e32 v2, 1
	s_mov_b32 s11, exec_lo
	v_cmpx_ne_u16_e32 0xff80, v118
	s_cbranch_execz .LBB6_6671
; %bb.6664:                             ;   in Loop: Header=BB6_5133 Depth=2
	v_and_b32_e32 v2, 0x7c, v118
	v_and_b32_e32 v0, 3, v118
	s_delay_alu instid0(VALU_DEP_2) | instskip(SKIP_1) | instid1(SALU_CYCLE_1)
	v_cmp_ne_u32_e32 vcc_lo, 0x7c, v2
                                        ; implicit-def: $vgpr2
	s_and_saveexec_b32 s42, vcc_lo
	s_xor_b32 s42, exec_lo, s42
	s_cbranch_execz .LBB6_6668
; %bb.6665:                             ;   in Loop: Header=BB6_5133 Depth=2
	v_and_b32_e32 v2, 0xff, v118
	s_mov_b32 s43, exec_lo
	s_delay_alu instid0(VALU_DEP_1) | instskip(NEXT) | instid1(VALU_DEP_1)
	v_bfe_u32 v2, v2, 2, 5
	v_cmpx_eq_u32_e32 0, v2
	s_cbranch_execz .LBB6_6667
; %bb.6666:                             ;   in Loop: Header=BB6_5133 Depth=2
	v_clz_i32_u32_e32 v0, v0
	s_delay_alu instid0(VALU_DEP_1) | instskip(SKIP_1) | instid1(VALU_DEP_2)
	v_min_u32_e32 v0, 32, v0
	v_mov_b32_e32 v119, v25
	v_subrev_nc_u32_e32 v2, 29, v0
	s_wait_loadcnt 0x0
	s_delay_alu instid0(VALU_DEP_1) | instskip(NEXT) | instid1(VALU_DEP_1)
	v_lshlrev_b64_e32 v[66:67], v2, v[118:119]
	v_dual_sub_nc_u32 v2, 30, v0 :: v_dual_bitop2_b32 v0, 3, v66 bitop3:0x40
.LBB6_6667:                             ;   in Loop: Header=BB6_5133 Depth=2
	s_or_b32 exec_lo, exec_lo, s43
	v_bfe_i32 v3, v118, 0, 16
                                        ; implicit-def: $vgpr118
	s_delay_alu instid0(VALU_DEP_1) | instskip(NEXT) | instid1(VALU_DEP_1)
	v_and_b32_e32 v3, 0x80000000, v3
	v_lshl_add_u32 v2, v2, 23, v3
	s_delay_alu instid0(VALU_DEP_1) | instskip(NEXT) | instid1(VALU_DEP_1)
	v_lshl_or_b32 v0, v0, 21, v2
	v_add_nc_u32_e32 v2, 0x38000000, v0
                                        ; implicit-def: $vgpr0
.LBB6_6668:                             ;   in Loop: Header=BB6_5133 Depth=2
	s_and_not1_saveexec_b32 s42, s42
; %bb.6669:                             ;   in Loop: Header=BB6_5133 Depth=2
	v_cmp_lt_i16_e32 vcc_lo, -1, v118
	v_cndmask_b32_e32 v2, 0xff800000, v44, vcc_lo
	v_cmp_eq_u32_e32 vcc_lo, 0, v0
	s_delay_alu instid0(VALU_DEP_2)
	v_cndmask_b32_e32 v2, 0x7f800001, v2, vcc_lo
; %bb.6670:                             ;   in Loop: Header=BB6_5133 Depth=2
	s_or_b32 exec_lo, exec_lo, s42
.LBB6_6671:                             ;   in Loop: Header=BB6_5133 Depth=2
	s_delay_alu instid0(SALU_CYCLE_1)
	s_or_b32 exec_lo, exec_lo, s11
.LBB6_6672:                             ;   in Loop: Header=BB6_5133 Depth=2
	s_delay_alu instid0(SALU_CYCLE_1) | instskip(NEXT) | instid1(VALU_DEP_1)
	s_or_b32 exec_lo, exec_lo, s10
	v_dual_max_num_f32 v0, v2, v2 :: v_dual_max_num_f32 v1, v1, v1
	s_delay_alu instid0(VALU_DEP_1)
	v_min_num_f32_e32 v1, v1, v0
.LBB6_6673:                             ;   in Loop: Header=BB6_5133 Depth=2
	s_delay_alu instid0(VALU_DEP_1) | instskip(SKIP_3) | instid1(VALU_DEP_2)
	v_and_b32_e32 v2, 0x7f800000, v1
	v_mov_b32_e32 v3, v25
	v_and_b32_e32 v24, 0x7fffff, v1
                                        ; implicit-def: $vgpr65
	s_mov_b32 s10, exec_lo
	v_cmpx_ne_u64_e32 0x7f800000, v[2:3]
	s_xor_b32 s11, exec_lo, s10
	s_cbranch_execz .LBB6_6691
; %bb.6674:                             ;   in Loop: Header=BB6_5133 Depth=2
	v_dual_mov_b32 v3, v25 :: v_dual_lshrrev_b32 v0, 24, v1
	v_and_b32_e32 v2, 0x7fffffff, v1
                                        ; implicit-def: $vgpr65
	s_mov_b32 s10, exec_lo
	s_delay_alu instid0(VALU_DEP_2) | instskip(NEXT) | instid1(VALU_DEP_2)
	v_and_b32_e32 v23, 0x80, v0
	v_cmpx_gt_u64_e32 0x47600001, v[2:3]
	s_xor_b32 s42, exec_lo, s10
	s_cbranch_execz .LBB6_6688
; %bb.6675:                             ;   in Loop: Header=BB6_5133 Depth=2
	v_mov_b32_e32 v65, 0
	s_mov_b32 s43, exec_lo
	v_cmpx_ne_u32_e32 0, v1
	s_cbranch_execz .LBB6_6687
; %bb.6676:                             ;   in Loop: Header=BB6_5133 Depth=2
	v_bfe_u32 v27, v1, 23, 8
	v_or_b32_e32 v2, 0x800000, v24
	s_delay_alu instid0(VALU_DEP_2) | instskip(SKIP_1) | instid1(VALU_DEP_2)
	v_sub_nc_u32_e32 v0, 0x71, v27
	v_cmp_gt_u32_e32 vcc_lo, 0x72, v27
	v_cndmask_b32_e32 v0, 0, v0, vcc_lo
	v_cmp_eq_u32_e32 vcc_lo, 0, v27
	s_wait_loadcnt 0x4
	s_delay_alu instid0(VALU_DEP_2) | instskip(NEXT) | instid1(VALU_DEP_1)
	v_cndmask_b32_e64 v33, v0, 0x70, vcc_lo
	v_dual_cndmask_b32 v24, v2, v24, vcc_lo :: v_dual_add_nc_u32 v0, 21, v33
	v_add_nc_u32_e32 v3, 20, v33
	s_delay_alu instid0(VALU_DEP_2) | instskip(NEXT) | instid1(VALU_DEP_2)
	v_lshlrev_b64_e64 v[0:1], v0, -1
	v_lshlrev_b64_e64 v[2:3], v3, 1
	s_wait_loadcnt 0x0
	s_delay_alu instid0(VALU_DEP_2) | instskip(NEXT) | instid1(VALU_DEP_3)
	v_bfi_b32 v67, v1, 0, 0
	v_bfi_b32 v66, v0, 0, v24
	v_lshrrev_b64 v[0:1], v33, v[24:25]
	s_delay_alu instid0(VALU_DEP_2) | instskip(NEXT) | instid1(VALU_DEP_2)
	v_cmp_eq_u64_e64 s10, v[66:67], v[2:3]
	v_mov_b64_e32 v[2:3], v[0:1]
	s_and_saveexec_b32 s44, s10
; %bb.6677:                             ;   in Loop: Header=BB6_5133 Depth=2
	v_bfe_u32 v24, v0, 21, 1
	s_delay_alu instid0(VALU_DEP_1) | instskip(NEXT) | instid1(VALU_DEP_1)
	v_add_nc_u64_e32 v[2:3], v[0:1], v[24:25]
	v_add_nc_u64_e32 v[2:3], -1, v[2:3]
; %bb.6678:                             ;   in Loop: Header=BB6_5133 Depth=2
	s_or_b32 exec_lo, exec_lo, s44
	v_add_nc_u32_e32 v1, 0xffffff81, v27
	v_lshrrev_b32_e32 v3, 23, v0
	s_mov_b32 s10, exec_lo
	s_delay_alu instid0(VALU_DEP_2) | instskip(NEXT) | instid1(VALU_DEP_1)
	v_cndmask_b32_e64 v1, v1, 0xffffff82, vcc_lo
	v_add3_u32 v3, v33, v1, v3
	v_and_b32_e32 v1, 0x1fffff, v2
                                        ; implicit-def: $vgpr2
	s_delay_alu instid0(VALU_DEP_1) | instskip(NEXT) | instid1(VALU_DEP_1)
	v_dual_add_nc_u32 v27, 14, v3 :: v_dual_add_nc_u32 v24, v1, v0
                                        ; implicit-def: $vgpr0_vgpr1
	v_cmpx_ne_u32_e32 0, v27
	s_xor_b32 s10, exec_lo, s10
; %bb.6679:                             ;   in Loop: Header=BB6_5133 Depth=2
	s_delay_alu instid0(VALU_DEP_2) | instskip(SKIP_1) | instid1(VALU_DEP_1)
	v_cmp_lt_u64_e32 vcc_lo, 0xffffff, v[24:25]
	v_add_nc_u32_e32 v0, 15, v3
	v_cndmask_b32_e32 v2, v27, v0, vcc_lo
	v_cndmask_b32_e64 v0, 0, 1, vcc_lo
	s_delay_alu instid0(VALU_DEP_1)
	v_lshrrev_b64 v[0:1], v0, v[24:25]
; %bb.6680:                             ;   in Loop: Header=BB6_5133 Depth=2
	s_and_not1_saveexec_b32 s10, s10
; %bb.6681:                             ;   in Loop: Header=BB6_5133 Depth=2
	v_mov_b64_e32 v[0:1], v[24:25]
	v_bfe_u32 v2, v24, 23, 1
; %bb.6682:                             ;   in Loop: Header=BB6_5133 Depth=2
	s_or_b32 exec_lo, exec_lo, s10
	s_delay_alu instid0(VALU_DEP_2) | instskip(NEXT) | instid1(VALU_DEP_2)
	v_lshrrev_b64 v[0:1], 21, v[0:1]
	v_cmp_gt_i32_e32 vcc_lo, 32, v2
	v_cmp_ne_u32_e64 s10, 0, v2
                                        ; implicit-def: $vgpr65
	s_delay_alu instid0(VALU_DEP_3) | instskip(NEXT) | instid1(VALU_DEP_1)
	v_dual_cndmask_b32 v1, 0, v1 :: v_dual_cndmask_b32 v0, 3, v0
	v_cmp_ne_u64_e32 vcc_lo, 0, v[0:1]
	s_or_b32 s10, s10, vcc_lo
	s_delay_alu instid0(SALU_CYCLE_1) | instskip(NEXT) | instid1(SALU_CYCLE_1)
	s_and_saveexec_b32 s44, s10
	s_xor_b32 s10, exec_lo, s44
; %bb.6683:                             ;   in Loop: Header=BB6_5133 Depth=2
	v_min_i32_e32 v1, 31, v2
	s_delay_alu instid0(VALU_DEP_1) | instskip(NEXT) | instid1(VALU_DEP_1)
	v_lshl_or_b32 v1, v1, 2, v23
                                        ; implicit-def: $vgpr23
	v_and_or_b32 v65, v0, 3, v1
; %bb.6684:                             ;   in Loop: Header=BB6_5133 Depth=2
	s_and_not1_saveexec_b32 s10, s10
; %bb.6685:                             ;   in Loop: Header=BB6_5133 Depth=2
	v_mov_b32_e32 v65, v23
; %bb.6686:                             ;   in Loop: Header=BB6_5133 Depth=2
	s_or_b32 exec_lo, exec_lo, s10
.LBB6_6687:                             ;   in Loop: Header=BB6_5133 Depth=2
	s_delay_alu instid0(SALU_CYCLE_1)
	s_or_b32 exec_lo, exec_lo, s43
                                        ; implicit-def: $vgpr23
.LBB6_6688:                             ;   in Loop: Header=BB6_5133 Depth=2
	s_and_not1_saveexec_b32 s10, s42
; %bb.6689:                             ;   in Loop: Header=BB6_5133 Depth=2
	v_or_b32_e32 v65, 0x7b, v23
; %bb.6690:                             ;   in Loop: Header=BB6_5133 Depth=2
	s_or_b32 exec_lo, exec_lo, s10
                                        ; implicit-def: $vgpr1
.LBB6_6691:                             ;   in Loop: Header=BB6_5133 Depth=2
	s_and_not1_saveexec_b32 s10, s11
	s_cbranch_execz .LBB6_6697
; %bb.6692:                             ;   in Loop: Header=BB6_5133 Depth=2
	s_mov_b32 s11, exec_lo
                                        ; implicit-def: $vgpr65
	v_cmpx_ne_u64_e32 0, v[24:25]
	s_xor_b32 s11, exec_lo, s11
; %bb.6693:                             ;   in Loop: Header=BB6_5133 Depth=2
	v_lshrrev_b32_e32 v0, 24, v1
                                        ; implicit-def: $vgpr1
	s_delay_alu instid0(VALU_DEP_1)
	v_or_b32_e32 v65, 0x7f, v0
; %bb.6694:                             ;   in Loop: Header=BB6_5133 Depth=2
	s_and_not1_saveexec_b32 s11, s11
; %bb.6695:                             ;   in Loop: Header=BB6_5133 Depth=2
	v_cmp_lt_i32_e32 vcc_lo, -1, v1
	v_cndmask_b32_e64 v65, -4, 0x7c, vcc_lo
; %bb.6696:                             ;   in Loop: Header=BB6_5133 Depth=2
	s_or_b32 exec_lo, exec_lo, s11
.LBB6_6697:                             ;   in Loop: Header=BB6_5133 Depth=2
	s_delay_alu instid0(SALU_CYCLE_1)
	s_or_b32 exec_lo, exec_lo, s10
	v_and_b32_e32 v0, 0xff, v74
	v_cmp_ne_u16_e64 s10, 0, v74
	s_and_not1_b32 vcc_lo, exec_lo, s15
	s_mov_b32 s11, -1
                                        ; implicit-def: $vgpr1
	s_cbranch_vccnz .LBB6_6719
; %bb.6698:                             ;   in Loop: Header=BB6_5133 Depth=2
	v_dual_mov_b32 v2, 0 :: v_dual_mov_b32 v1, 0
	s_and_saveexec_b32 s11, s10
	s_cbranch_execz .LBB6_6708
; %bb.6699:                             ;   in Loop: Header=BB6_5133 Depth=2
	v_bfrev_b32_e32 v1, 1
	s_mov_b32 s42, exec_lo
	v_cmpx_ne_u16_e32 0xff80, v74
	s_cbranch_execz .LBB6_6707
; %bb.6700:                             ;   in Loop: Header=BB6_5133 Depth=2
	v_and_b32_e32 v1, 0x7c, v0
	v_and_b32_e32 v3, 3, v0
	s_delay_alu instid0(VALU_DEP_2) | instskip(SKIP_1) | instid1(SALU_CYCLE_1)
	v_cmp_ne_u32_e32 vcc_lo, 0x7c, v1
                                        ; implicit-def: $vgpr1
	s_and_saveexec_b32 s43, vcc_lo
	s_xor_b32 s43, exec_lo, s43
	s_cbranch_execz .LBB6_6704
; %bb.6701:                             ;   in Loop: Header=BB6_5133 Depth=2
	v_bfe_u32 v1, v0, 2, 5
	s_mov_b32 s44, exec_lo
	s_delay_alu instid0(VALU_DEP_1)
	v_cmpx_eq_u32_e32 0, v1
	s_cbranch_execz .LBB6_6703
; %bb.6702:                             ;   in Loop: Header=BB6_5133 Depth=2
	v_clz_i32_u32_e32 v1, v3
	s_delay_alu instid0(VALU_DEP_1) | instskip(SKIP_1) | instid1(VALU_DEP_2)
	v_min_u32_e32 v1, 32, v1
	v_mov_b32_e32 v75, v25
	v_subrev_nc_u32_e32 v3, 29, v1
	v_sub_nc_u32_e32 v1, 30, v1
	s_wait_loadcnt 0x0
	s_delay_alu instid0(VALU_DEP_2) | instskip(NEXT) | instid1(VALU_DEP_1)
	v_lshlrev_b64_e32 v[66:67], v3, v[74:75]
	v_and_b32_e32 v3, 3, v66
.LBB6_6703:                             ;   in Loop: Header=BB6_5133 Depth=2
	s_or_b32 exec_lo, exec_lo, s44
	v_bfe_i32 v23, v74, 0, 16
	s_delay_alu instid0(VALU_DEP_1) | instskip(NEXT) | instid1(VALU_DEP_1)
	v_and_b32_e32 v23, 0x80000000, v23
	v_lshl_add_u32 v1, v1, 23, v23
	s_delay_alu instid0(VALU_DEP_1) | instskip(NEXT) | instid1(VALU_DEP_1)
	v_lshl_or_b32 v1, v3, 21, v1
                                        ; implicit-def: $vgpr3
	v_add_nc_u32_e32 v1, 0x38000000, v1
.LBB6_6704:                             ;   in Loop: Header=BB6_5133 Depth=2
	s_and_not1_saveexec_b32 s43, s43
; %bb.6705:                             ;   in Loop: Header=BB6_5133 Depth=2
	v_cmp_lt_i16_e32 vcc_lo, -1, v74
	v_cndmask_b32_e32 v1, 0xff800000, v44, vcc_lo
	v_cmp_eq_u32_e32 vcc_lo, 0, v3
	s_delay_alu instid0(VALU_DEP_2)
	v_cndmask_b32_e32 v1, 0x7f800001, v1, vcc_lo
; %bb.6706:                             ;   in Loop: Header=BB6_5133 Depth=2
	s_or_b32 exec_lo, exec_lo, s43
.LBB6_6707:                             ;   in Loop: Header=BB6_5133 Depth=2
	s_delay_alu instid0(SALU_CYCLE_1)
	s_or_b32 exec_lo, exec_lo, s42
.LBB6_6708:                             ;   in Loop: Header=BB6_5133 Depth=2
	s_delay_alu instid0(SALU_CYCLE_1) | instskip(NEXT) | instid1(SALU_CYCLE_1)
	s_or_b32 exec_lo, exec_lo, s11
	s_mov_b32 s11, exec_lo
	v_cmpx_ne_u16_e32 0, v114
	s_cbranch_execz .LBB6_6718
; %bb.6709:                             ;   in Loop: Header=BB6_5133 Depth=2
	v_bfrev_b32_e32 v2, 1
	s_mov_b32 s42, exec_lo
	v_cmpx_ne_u16_e32 0xff80, v114
	s_cbranch_execz .LBB6_6717
; %bb.6710:                             ;   in Loop: Header=BB6_5133 Depth=2
	v_and_b32_e32 v2, 0x7c, v114
	v_and_b32_e32 v3, 3, v114
	s_delay_alu instid0(VALU_DEP_2) | instskip(SKIP_1) | instid1(SALU_CYCLE_1)
	v_cmp_ne_u32_e32 vcc_lo, 0x7c, v2
                                        ; implicit-def: $vgpr2
	s_and_saveexec_b32 s43, vcc_lo
	s_xor_b32 s43, exec_lo, s43
	s_cbranch_execz .LBB6_6714
; %bb.6711:                             ;   in Loop: Header=BB6_5133 Depth=2
	v_and_b32_e32 v2, 0xff, v114
	s_mov_b32 s44, exec_lo
	s_delay_alu instid0(VALU_DEP_1) | instskip(NEXT) | instid1(VALU_DEP_1)
	v_bfe_u32 v2, v2, 2, 5
	v_cmpx_eq_u32_e32 0, v2
	s_cbranch_execz .LBB6_6713
; %bb.6712:                             ;   in Loop: Header=BB6_5133 Depth=2
	v_clz_i32_u32_e32 v2, v3
	s_delay_alu instid0(VALU_DEP_1) | instskip(SKIP_1) | instid1(VALU_DEP_2)
	v_min_u32_e32 v2, 32, v2
	v_mov_b32_e32 v115, v25
	v_subrev_nc_u32_e32 v3, 29, v2
	v_sub_nc_u32_e32 v2, 30, v2
	s_wait_loadcnt 0x0
	s_delay_alu instid0(VALU_DEP_2) | instskip(NEXT) | instid1(VALU_DEP_1)
	v_lshlrev_b64_e32 v[66:67], v3, v[114:115]
	v_and_b32_e32 v3, 3, v66
.LBB6_6713:                             ;   in Loop: Header=BB6_5133 Depth=2
	s_or_b32 exec_lo, exec_lo, s44
	v_bfe_i32 v23, v114, 0, 16
	s_delay_alu instid0(VALU_DEP_1) | instskip(NEXT) | instid1(VALU_DEP_1)
	v_and_b32_e32 v23, 0x80000000, v23
	v_lshl_add_u32 v2, v2, 23, v23
	s_delay_alu instid0(VALU_DEP_1) | instskip(NEXT) | instid1(VALU_DEP_1)
	v_lshl_or_b32 v2, v3, 21, v2
                                        ; implicit-def: $vgpr3
	v_add_nc_u32_e32 v2, 0x38000000, v2
.LBB6_6714:                             ;   in Loop: Header=BB6_5133 Depth=2
	s_and_not1_saveexec_b32 s43, s43
; %bb.6715:                             ;   in Loop: Header=BB6_5133 Depth=2
	v_cmp_lt_i16_e32 vcc_lo, -1, v114
	v_cndmask_b32_e32 v2, 0xff800000, v44, vcc_lo
	v_cmp_eq_u32_e32 vcc_lo, 0, v3
	s_delay_alu instid0(VALU_DEP_2)
	v_cndmask_b32_e32 v2, 0x7f800001, v2, vcc_lo
; %bb.6716:                             ;   in Loop: Header=BB6_5133 Depth=2
	s_or_b32 exec_lo, exec_lo, s43
.LBB6_6717:                             ;   in Loop: Header=BB6_5133 Depth=2
	s_delay_alu instid0(SALU_CYCLE_1)
	s_or_b32 exec_lo, exec_lo, s42
.LBB6_6718:                             ;   in Loop: Header=BB6_5133 Depth=2
	s_delay_alu instid0(SALU_CYCLE_1) | instskip(NEXT) | instid1(VALU_DEP_1)
	s_or_b32 exec_lo, exec_lo, s11
	v_dual_max_num_f32 v2, v2, v2 :: v_dual_max_num_f32 v1, v1, v1
	s_mov_b32 s11, 0
	s_delay_alu instid0(VALU_DEP_1)
	v_max_num_f32_e32 v1, v1, v2
.LBB6_6719:                             ;   in Loop: Header=BB6_5133 Depth=2
	s_and_b32 vcc_lo, exec_lo, s11
	s_cbranch_vccz .LBB6_6741
; %bb.6720:                             ;   in Loop: Header=BB6_5133 Depth=2
	v_dual_mov_b32 v2, 0 :: v_dual_mov_b32 v1, 0
	s_and_saveexec_b32 s11, s10
	s_cbranch_execz .LBB6_6730
; %bb.6721:                             ;   in Loop: Header=BB6_5133 Depth=2
	v_bfrev_b32_e32 v1, 1
	s_mov_b32 s10, exec_lo
	v_cmpx_ne_u16_e32 0xff80, v74
	s_cbranch_execz .LBB6_6729
; %bb.6722:                             ;   in Loop: Header=BB6_5133 Depth=2
	v_and_b32_e32 v1, 0x7c, v0
	v_and_b32_e32 v3, 3, v0
	s_delay_alu instid0(VALU_DEP_2) | instskip(SKIP_1) | instid1(SALU_CYCLE_1)
	v_cmp_ne_u32_e32 vcc_lo, 0x7c, v1
                                        ; implicit-def: $vgpr1
	s_and_saveexec_b32 s42, vcc_lo
	s_xor_b32 s42, exec_lo, s42
	s_cbranch_execz .LBB6_6726
; %bb.6723:                             ;   in Loop: Header=BB6_5133 Depth=2
	v_bfe_u32 v0, v0, 2, 5
	s_mov_b32 s43, exec_lo
	s_delay_alu instid0(VALU_DEP_1)
	v_cmpx_eq_u32_e32 0, v0
	s_cbranch_execz .LBB6_6725
; %bb.6724:                             ;   in Loop: Header=BB6_5133 Depth=2
	v_clz_i32_u32_e32 v0, v3
	s_delay_alu instid0(VALU_DEP_1) | instskip(SKIP_1) | instid1(VALU_DEP_2)
	v_min_u32_e32 v0, 32, v0
	v_mov_b32_e32 v75, v25
	v_subrev_nc_u32_e32 v1, 29, v0
	v_sub_nc_u32_e32 v0, 30, v0
	s_wait_loadcnt 0x0
	s_delay_alu instid0(VALU_DEP_2) | instskip(NEXT) | instid1(VALU_DEP_1)
	v_lshlrev_b64_e32 v[66:67], v1, v[74:75]
	v_and_b32_e32 v3, 3, v66
.LBB6_6725:                             ;   in Loop: Header=BB6_5133 Depth=2
	s_or_b32 exec_lo, exec_lo, s43
	v_bfe_i32 v1, v74, 0, 16
                                        ; implicit-def: $vgpr74
	s_delay_alu instid0(VALU_DEP_1) | instskip(NEXT) | instid1(VALU_DEP_1)
	v_and_b32_e32 v1, 0x80000000, v1
	v_lshl_add_u32 v0, v0, 23, v1
	s_delay_alu instid0(VALU_DEP_1) | instskip(NEXT) | instid1(VALU_DEP_1)
	v_lshl_or_b32 v0, v3, 21, v0
                                        ; implicit-def: $vgpr3
	v_add_nc_u32_e32 v1, 0x38000000, v0
.LBB6_6726:                             ;   in Loop: Header=BB6_5133 Depth=2
	s_and_not1_saveexec_b32 s42, s42
; %bb.6727:                             ;   in Loop: Header=BB6_5133 Depth=2
	v_cmp_lt_i16_e32 vcc_lo, -1, v74
	v_cndmask_b32_e32 v0, 0xff800000, v44, vcc_lo
	v_cmp_eq_u32_e32 vcc_lo, 0, v3
	s_delay_alu instid0(VALU_DEP_2)
	v_cndmask_b32_e32 v1, 0x7f800001, v0, vcc_lo
; %bb.6728:                             ;   in Loop: Header=BB6_5133 Depth=2
	s_or_b32 exec_lo, exec_lo, s42
.LBB6_6729:                             ;   in Loop: Header=BB6_5133 Depth=2
	s_delay_alu instid0(SALU_CYCLE_1)
	s_or_b32 exec_lo, exec_lo, s10
.LBB6_6730:                             ;   in Loop: Header=BB6_5133 Depth=2
	s_delay_alu instid0(SALU_CYCLE_1) | instskip(NEXT) | instid1(SALU_CYCLE_1)
	s_or_b32 exec_lo, exec_lo, s11
	s_mov_b32 s10, exec_lo
	v_cmpx_ne_u16_e32 0, v114
	s_cbranch_execz .LBB6_6740
; %bb.6731:                             ;   in Loop: Header=BB6_5133 Depth=2
	v_bfrev_b32_e32 v2, 1
	s_mov_b32 s11, exec_lo
	v_cmpx_ne_u16_e32 0xff80, v114
	s_cbranch_execz .LBB6_6739
; %bb.6732:                             ;   in Loop: Header=BB6_5133 Depth=2
	v_and_b32_e32 v2, 0x7c, v114
	v_and_b32_e32 v0, 3, v114
	s_delay_alu instid0(VALU_DEP_2) | instskip(SKIP_1) | instid1(SALU_CYCLE_1)
	v_cmp_ne_u32_e32 vcc_lo, 0x7c, v2
                                        ; implicit-def: $vgpr2
	s_and_saveexec_b32 s42, vcc_lo
	s_xor_b32 s42, exec_lo, s42
	s_cbranch_execz .LBB6_6736
; %bb.6733:                             ;   in Loop: Header=BB6_5133 Depth=2
	v_and_b32_e32 v2, 0xff, v114
	s_mov_b32 s43, exec_lo
	s_delay_alu instid0(VALU_DEP_1) | instskip(NEXT) | instid1(VALU_DEP_1)
	v_bfe_u32 v2, v2, 2, 5
	v_cmpx_eq_u32_e32 0, v2
	s_cbranch_execz .LBB6_6735
; %bb.6734:                             ;   in Loop: Header=BB6_5133 Depth=2
	v_clz_i32_u32_e32 v0, v0
	s_delay_alu instid0(VALU_DEP_1) | instskip(SKIP_1) | instid1(VALU_DEP_2)
	v_min_u32_e32 v0, 32, v0
	v_mov_b32_e32 v115, v25
	v_subrev_nc_u32_e32 v2, 29, v0
	s_wait_loadcnt 0x0
	s_delay_alu instid0(VALU_DEP_1) | instskip(NEXT) | instid1(VALU_DEP_1)
	v_lshlrev_b64_e32 v[66:67], v2, v[114:115]
	v_dual_sub_nc_u32 v2, 30, v0 :: v_dual_bitop2_b32 v0, 3, v66 bitop3:0x40
.LBB6_6735:                             ;   in Loop: Header=BB6_5133 Depth=2
	s_or_b32 exec_lo, exec_lo, s43
	v_bfe_i32 v3, v114, 0, 16
                                        ; implicit-def: $vgpr114
	s_delay_alu instid0(VALU_DEP_1) | instskip(NEXT) | instid1(VALU_DEP_1)
	v_and_b32_e32 v3, 0x80000000, v3
	v_lshl_add_u32 v2, v2, 23, v3
	s_delay_alu instid0(VALU_DEP_1) | instskip(NEXT) | instid1(VALU_DEP_1)
	v_lshl_or_b32 v0, v0, 21, v2
	v_add_nc_u32_e32 v2, 0x38000000, v0
                                        ; implicit-def: $vgpr0
.LBB6_6736:                             ;   in Loop: Header=BB6_5133 Depth=2
	s_and_not1_saveexec_b32 s42, s42
; %bb.6737:                             ;   in Loop: Header=BB6_5133 Depth=2
	v_cmp_lt_i16_e32 vcc_lo, -1, v114
	v_cndmask_b32_e32 v2, 0xff800000, v44, vcc_lo
	v_cmp_eq_u32_e32 vcc_lo, 0, v0
	s_delay_alu instid0(VALU_DEP_2)
	v_cndmask_b32_e32 v2, 0x7f800001, v2, vcc_lo
; %bb.6738:                             ;   in Loop: Header=BB6_5133 Depth=2
	s_or_b32 exec_lo, exec_lo, s42
.LBB6_6739:                             ;   in Loop: Header=BB6_5133 Depth=2
	s_delay_alu instid0(SALU_CYCLE_1)
	s_or_b32 exec_lo, exec_lo, s11
.LBB6_6740:                             ;   in Loop: Header=BB6_5133 Depth=2
	s_delay_alu instid0(SALU_CYCLE_1) | instskip(NEXT) | instid1(VALU_DEP_1)
	s_or_b32 exec_lo, exec_lo, s10
	v_dual_max_num_f32 v0, v2, v2 :: v_dual_max_num_f32 v1, v1, v1
	s_delay_alu instid0(VALU_DEP_1)
	v_min_num_f32_e32 v1, v1, v0
.LBB6_6741:                             ;   in Loop: Header=BB6_5133 Depth=2
	s_delay_alu instid0(VALU_DEP_1) | instskip(SKIP_3) | instid1(VALU_DEP_2)
	v_and_b32_e32 v2, 0x7f800000, v1
	v_mov_b32_e32 v3, v25
	v_and_b32_e32 v24, 0x7fffff, v1
                                        ; implicit-def: $vgpr66
	s_mov_b32 s10, exec_lo
	v_cmpx_ne_u64_e32 0x7f800000, v[2:3]
	s_xor_b32 s11, exec_lo, s10
	s_cbranch_execz .LBB6_6759
; %bb.6742:                             ;   in Loop: Header=BB6_5133 Depth=2
	v_dual_mov_b32 v3, v25 :: v_dual_lshrrev_b32 v0, 24, v1
	v_and_b32_e32 v2, 0x7fffffff, v1
                                        ; implicit-def: $vgpr66
	s_mov_b32 s10, exec_lo
	s_delay_alu instid0(VALU_DEP_2) | instskip(NEXT) | instid1(VALU_DEP_2)
	v_and_b32_e32 v23, 0x80, v0
	v_cmpx_gt_u64_e32 0x47600001, v[2:3]
	s_xor_b32 s42, exec_lo, s10
	s_cbranch_execz .LBB6_6756
; %bb.6743:                             ;   in Loop: Header=BB6_5133 Depth=2
	s_wait_loadcnt 0x0
	v_mov_b32_e32 v66, 0
	s_mov_b32 s43, exec_lo
	v_cmpx_ne_u32_e32 0, v1
	s_cbranch_execz .LBB6_6755
; %bb.6744:                             ;   in Loop: Header=BB6_5133 Depth=2
	v_bfe_u32 v27, v1, 23, 8
	v_or_b32_e32 v2, 0x800000, v24
	s_delay_alu instid0(VALU_DEP_2) | instskip(SKIP_1) | instid1(VALU_DEP_2)
	v_sub_nc_u32_e32 v0, 0x71, v27
	v_cmp_gt_u32_e32 vcc_lo, 0x72, v27
	v_cndmask_b32_e32 v0, 0, v0, vcc_lo
	v_cmp_eq_u32_e32 vcc_lo, 0, v27
	s_delay_alu instid0(VALU_DEP_2) | instskip(NEXT) | instid1(VALU_DEP_1)
	v_cndmask_b32_e64 v33, v0, 0x70, vcc_lo
	v_dual_cndmask_b32 v24, v2, v24, vcc_lo :: v_dual_add_nc_u32 v0, 21, v33
	v_add_nc_u32_e32 v3, 20, v33
	s_delay_alu instid0(VALU_DEP_2) | instskip(NEXT) | instid1(VALU_DEP_2)
	v_lshlrev_b64_e64 v[0:1], v0, -1
	v_lshlrev_b64_e64 v[2:3], v3, 1
	s_delay_alu instid0(VALU_DEP_2) | instskip(NEXT) | instid1(VALU_DEP_3)
	v_bfi_b32 v67, v1, 0, 0
	v_bfi_b32 v66, v0, 0, v24
	v_lshrrev_b64 v[0:1], v33, v[24:25]
	s_delay_alu instid0(VALU_DEP_2) | instskip(NEXT) | instid1(VALU_DEP_2)
	v_cmp_eq_u64_e64 s10, v[66:67], v[2:3]
	v_mov_b64_e32 v[2:3], v[0:1]
	s_and_saveexec_b32 s44, s10
; %bb.6745:                             ;   in Loop: Header=BB6_5133 Depth=2
	v_bfe_u32 v24, v0, 21, 1
	s_delay_alu instid0(VALU_DEP_1) | instskip(NEXT) | instid1(VALU_DEP_1)
	v_add_nc_u64_e32 v[2:3], v[0:1], v[24:25]
	v_add_nc_u64_e32 v[2:3], -1, v[2:3]
; %bb.6746:                             ;   in Loop: Header=BB6_5133 Depth=2
	s_or_b32 exec_lo, exec_lo, s44
	v_add_nc_u32_e32 v1, 0xffffff81, v27
	v_lshrrev_b32_e32 v3, 23, v0
	s_mov_b32 s10, exec_lo
	s_delay_alu instid0(VALU_DEP_2) | instskip(NEXT) | instid1(VALU_DEP_1)
	v_cndmask_b32_e64 v1, v1, 0xffffff82, vcc_lo
	v_add3_u32 v3, v33, v1, v3
	v_and_b32_e32 v1, 0x1fffff, v2
                                        ; implicit-def: $vgpr2
	s_delay_alu instid0(VALU_DEP_1) | instskip(NEXT) | instid1(VALU_DEP_1)
	v_dual_add_nc_u32 v27, 14, v3 :: v_dual_add_nc_u32 v24, v1, v0
                                        ; implicit-def: $vgpr0_vgpr1
	v_cmpx_ne_u32_e32 0, v27
	s_xor_b32 s10, exec_lo, s10
; %bb.6747:                             ;   in Loop: Header=BB6_5133 Depth=2
	s_delay_alu instid0(VALU_DEP_2) | instskip(SKIP_1) | instid1(VALU_DEP_1)
	v_cmp_lt_u64_e32 vcc_lo, 0xffffff, v[24:25]
	v_add_nc_u32_e32 v0, 15, v3
	v_cndmask_b32_e32 v2, v27, v0, vcc_lo
	v_cndmask_b32_e64 v0, 0, 1, vcc_lo
	s_delay_alu instid0(VALU_DEP_1)
	v_lshrrev_b64 v[0:1], v0, v[24:25]
; %bb.6748:                             ;   in Loop: Header=BB6_5133 Depth=2
	s_and_not1_saveexec_b32 s10, s10
; %bb.6749:                             ;   in Loop: Header=BB6_5133 Depth=2
	v_mov_b64_e32 v[0:1], v[24:25]
	v_bfe_u32 v2, v24, 23, 1
; %bb.6750:                             ;   in Loop: Header=BB6_5133 Depth=2
	s_or_b32 exec_lo, exec_lo, s10
	s_delay_alu instid0(VALU_DEP_2) | instskip(NEXT) | instid1(VALU_DEP_2)
	v_lshrrev_b64 v[0:1], 21, v[0:1]
	v_cmp_gt_i32_e32 vcc_lo, 32, v2
	v_cmp_ne_u32_e64 s10, 0, v2
                                        ; implicit-def: $vgpr66
	s_delay_alu instid0(VALU_DEP_3) | instskip(NEXT) | instid1(VALU_DEP_1)
	v_dual_cndmask_b32 v1, 0, v1 :: v_dual_cndmask_b32 v0, 3, v0
	v_cmp_ne_u64_e32 vcc_lo, 0, v[0:1]
	s_or_b32 s10, s10, vcc_lo
	s_delay_alu instid0(SALU_CYCLE_1) | instskip(NEXT) | instid1(SALU_CYCLE_1)
	s_and_saveexec_b32 s44, s10
	s_xor_b32 s10, exec_lo, s44
; %bb.6751:                             ;   in Loop: Header=BB6_5133 Depth=2
	v_min_i32_e32 v1, 31, v2
	s_delay_alu instid0(VALU_DEP_1) | instskip(NEXT) | instid1(VALU_DEP_1)
	v_lshl_or_b32 v1, v1, 2, v23
                                        ; implicit-def: $vgpr23
	v_and_or_b32 v66, v0, 3, v1
; %bb.6752:                             ;   in Loop: Header=BB6_5133 Depth=2
	s_and_not1_saveexec_b32 s10, s10
; %bb.6753:                             ;   in Loop: Header=BB6_5133 Depth=2
	v_mov_b32_e32 v66, v23
; %bb.6754:                             ;   in Loop: Header=BB6_5133 Depth=2
	s_or_b32 exec_lo, exec_lo, s10
.LBB6_6755:                             ;   in Loop: Header=BB6_5133 Depth=2
	s_delay_alu instid0(SALU_CYCLE_1)
	s_or_b32 exec_lo, exec_lo, s43
                                        ; implicit-def: $vgpr23
.LBB6_6756:                             ;   in Loop: Header=BB6_5133 Depth=2
	s_and_not1_saveexec_b32 s10, s42
	s_cbranch_execz .LBB6_6758
; %bb.6757:                             ;   in Loop: Header=BB6_5133 Depth=2
	s_wait_loadcnt 0x0
	v_or_b32_e32 v66, 0x7b, v23
.LBB6_6758:                             ;   in Loop: Header=BB6_5133 Depth=2
	s_or_b32 exec_lo, exec_lo, s10
                                        ; implicit-def: $vgpr1
.LBB6_6759:                             ;   in Loop: Header=BB6_5133 Depth=2
	s_and_not1_saveexec_b32 s10, s11
	s_cbranch_execz .LBB6_6765
; %bb.6760:                             ;   in Loop: Header=BB6_5133 Depth=2
	s_mov_b32 s11, exec_lo
                                        ; implicit-def: $vgpr66
	v_cmpx_ne_u64_e32 0, v[24:25]
	s_xor_b32 s11, exec_lo, s11
	s_cbranch_execz .LBB6_6762
; %bb.6761:                             ;   in Loop: Header=BB6_5133 Depth=2
	v_lshrrev_b32_e32 v0, 24, v1
                                        ; implicit-def: $vgpr1
	s_wait_loadcnt 0x0
	s_delay_alu instid0(VALU_DEP_1)
	v_or_b32_e32 v66, 0x7f, v0
.LBB6_6762:                             ;   in Loop: Header=BB6_5133 Depth=2
	s_and_not1_saveexec_b32 s11, s11
	s_cbranch_execz .LBB6_6764
; %bb.6763:                             ;   in Loop: Header=BB6_5133 Depth=2
	v_cmp_lt_i32_e32 vcc_lo, -1, v1
	s_wait_loadcnt 0x0
	v_cndmask_b32_e64 v66, -4, 0x7c, vcc_lo
.LBB6_6764:                             ;   in Loop: Header=BB6_5133 Depth=2
	s_or_b32 exec_lo, exec_lo, s11
.LBB6_6765:                             ;   in Loop: Header=BB6_5133 Depth=2
	s_delay_alu instid0(SALU_CYCLE_1)
	s_or_b32 exec_lo, exec_lo, s10
	v_and_b32_e32 v0, 0xff, v62
	v_cmp_ne_u16_e64 s10, 0, v62
	s_and_not1_b32 vcc_lo, exec_lo, s15
	s_mov_b32 s11, -1
                                        ; implicit-def: $vgpr1
	s_cbranch_vccnz .LBB6_6787
; %bb.6766:                             ;   in Loop: Header=BB6_5133 Depth=2
	v_dual_mov_b32 v2, 0 :: v_dual_mov_b32 v1, 0
	s_and_saveexec_b32 s11, s10
	s_cbranch_execz .LBB6_6776
; %bb.6767:                             ;   in Loop: Header=BB6_5133 Depth=2
	v_bfrev_b32_e32 v1, 1
	s_mov_b32 s42, exec_lo
	v_cmpx_ne_u16_e32 0xff80, v62
	s_cbranch_execz .LBB6_6775
; %bb.6768:                             ;   in Loop: Header=BB6_5133 Depth=2
	v_and_b32_e32 v1, 0x7c, v0
	v_and_b32_e32 v3, 3, v0
	s_delay_alu instid0(VALU_DEP_2) | instskip(SKIP_1) | instid1(SALU_CYCLE_1)
	v_cmp_ne_u32_e32 vcc_lo, 0x7c, v1
                                        ; implicit-def: $vgpr1
	s_and_saveexec_b32 s43, vcc_lo
	s_xor_b32 s43, exec_lo, s43
	s_cbranch_execz .LBB6_6772
; %bb.6769:                             ;   in Loop: Header=BB6_5133 Depth=2
	v_bfe_u32 v1, v0, 2, 5
	s_mov_b32 s44, exec_lo
	s_delay_alu instid0(VALU_DEP_1)
	v_cmpx_eq_u32_e32 0, v1
	s_cbranch_execz .LBB6_6771
; %bb.6770:                             ;   in Loop: Header=BB6_5133 Depth=2
	v_clz_i32_u32_e32 v1, v3
	s_delay_alu instid0(VALU_DEP_1) | instskip(SKIP_1) | instid1(VALU_DEP_2)
	v_min_u32_e32 v1, 32, v1
	v_mov_b32_e32 v63, v25
	v_subrev_nc_u32_e32 v3, 29, v1
	v_sub_nc_u32_e32 v1, 30, v1
	s_delay_alu instid0(VALU_DEP_2) | instskip(NEXT) | instid1(VALU_DEP_1)
	v_lshlrev_b64_e32 v[68:69], v3, v[62:63]
	v_and_b32_e32 v3, 3, v68
.LBB6_6771:                             ;   in Loop: Header=BB6_5133 Depth=2
	s_or_b32 exec_lo, exec_lo, s44
	v_bfe_i32 v23, v62, 0, 16
	s_delay_alu instid0(VALU_DEP_1) | instskip(NEXT) | instid1(VALU_DEP_1)
	v_and_b32_e32 v23, 0x80000000, v23
	v_lshl_add_u32 v1, v1, 23, v23
	s_delay_alu instid0(VALU_DEP_1) | instskip(NEXT) | instid1(VALU_DEP_1)
	v_lshl_or_b32 v1, v3, 21, v1
                                        ; implicit-def: $vgpr3
	v_add_nc_u32_e32 v1, 0x38000000, v1
.LBB6_6772:                             ;   in Loop: Header=BB6_5133 Depth=2
	s_and_not1_saveexec_b32 s43, s43
; %bb.6773:                             ;   in Loop: Header=BB6_5133 Depth=2
	v_cmp_lt_i16_e32 vcc_lo, -1, v62
	v_cndmask_b32_e32 v1, 0xff800000, v44, vcc_lo
	v_cmp_eq_u32_e32 vcc_lo, 0, v3
	s_delay_alu instid0(VALU_DEP_2)
	v_cndmask_b32_e32 v1, 0x7f800001, v1, vcc_lo
; %bb.6774:                             ;   in Loop: Header=BB6_5133 Depth=2
	s_or_b32 exec_lo, exec_lo, s43
.LBB6_6775:                             ;   in Loop: Header=BB6_5133 Depth=2
	s_delay_alu instid0(SALU_CYCLE_1)
	s_or_b32 exec_lo, exec_lo, s42
.LBB6_6776:                             ;   in Loop: Header=BB6_5133 Depth=2
	s_delay_alu instid0(SALU_CYCLE_1) | instskip(NEXT) | instid1(SALU_CYCLE_1)
	s_or_b32 exec_lo, exec_lo, s11
	s_mov_b32 s11, exec_lo
	s_wait_loadcnt 0x1
	v_cmpx_ne_u16_e32 0, v102
	s_cbranch_execz .LBB6_6786
; %bb.6777:                             ;   in Loop: Header=BB6_5133 Depth=2
	v_bfrev_b32_e32 v2, 1
	s_mov_b32 s42, exec_lo
	v_cmpx_ne_u16_e32 0xff80, v102
	s_cbranch_execz .LBB6_6785
; %bb.6778:                             ;   in Loop: Header=BB6_5133 Depth=2
	v_and_b32_e32 v2, 0x7c, v102
	v_and_b32_e32 v3, 3, v102
	s_delay_alu instid0(VALU_DEP_2) | instskip(SKIP_1) | instid1(SALU_CYCLE_1)
	v_cmp_ne_u32_e32 vcc_lo, 0x7c, v2
                                        ; implicit-def: $vgpr2
	s_and_saveexec_b32 s43, vcc_lo
	s_xor_b32 s43, exec_lo, s43
	s_cbranch_execz .LBB6_6782
; %bb.6779:                             ;   in Loop: Header=BB6_5133 Depth=2
	v_and_b32_e32 v2, 0xff, v102
	s_mov_b32 s44, exec_lo
	s_delay_alu instid0(VALU_DEP_1) | instskip(NEXT) | instid1(VALU_DEP_1)
	v_bfe_u32 v2, v2, 2, 5
	v_cmpx_eq_u32_e32 0, v2
	s_cbranch_execz .LBB6_6781
; %bb.6780:                             ;   in Loop: Header=BB6_5133 Depth=2
	v_clz_i32_u32_e32 v2, v3
	s_delay_alu instid0(VALU_DEP_1) | instskip(SKIP_1) | instid1(VALU_DEP_2)
	v_min_u32_e32 v2, 32, v2
	v_mov_b32_e32 v103, v25
	v_subrev_nc_u32_e32 v3, 29, v2
	v_sub_nc_u32_e32 v2, 30, v2
	s_delay_alu instid0(VALU_DEP_2) | instskip(NEXT) | instid1(VALU_DEP_1)
	v_lshlrev_b64_e32 v[68:69], v3, v[102:103]
	v_and_b32_e32 v3, 3, v68
.LBB6_6781:                             ;   in Loop: Header=BB6_5133 Depth=2
	s_or_b32 exec_lo, exec_lo, s44
	v_bfe_i32 v23, v102, 0, 16
	s_delay_alu instid0(VALU_DEP_1) | instskip(NEXT) | instid1(VALU_DEP_1)
	v_and_b32_e32 v23, 0x80000000, v23
	v_lshl_add_u32 v2, v2, 23, v23
	s_delay_alu instid0(VALU_DEP_1) | instskip(NEXT) | instid1(VALU_DEP_1)
	v_lshl_or_b32 v2, v3, 21, v2
                                        ; implicit-def: $vgpr3
	v_add_nc_u32_e32 v2, 0x38000000, v2
.LBB6_6782:                             ;   in Loop: Header=BB6_5133 Depth=2
	s_and_not1_saveexec_b32 s43, s43
; %bb.6783:                             ;   in Loop: Header=BB6_5133 Depth=2
	v_cmp_lt_i16_e32 vcc_lo, -1, v102
	v_cndmask_b32_e32 v2, 0xff800000, v44, vcc_lo
	v_cmp_eq_u32_e32 vcc_lo, 0, v3
	s_delay_alu instid0(VALU_DEP_2)
	v_cndmask_b32_e32 v2, 0x7f800001, v2, vcc_lo
; %bb.6784:                             ;   in Loop: Header=BB6_5133 Depth=2
	s_or_b32 exec_lo, exec_lo, s43
.LBB6_6785:                             ;   in Loop: Header=BB6_5133 Depth=2
	s_delay_alu instid0(SALU_CYCLE_1)
	s_or_b32 exec_lo, exec_lo, s42
.LBB6_6786:                             ;   in Loop: Header=BB6_5133 Depth=2
	s_delay_alu instid0(SALU_CYCLE_1) | instskip(NEXT) | instid1(VALU_DEP_1)
	s_or_b32 exec_lo, exec_lo, s11
	v_dual_max_num_f32 v2, v2, v2 :: v_dual_max_num_f32 v1, v1, v1
	s_mov_b32 s11, 0
	s_delay_alu instid0(VALU_DEP_1)
	v_max_num_f32_e32 v1, v1, v2
.LBB6_6787:                             ;   in Loop: Header=BB6_5133 Depth=2
	s_and_b32 vcc_lo, exec_lo, s11
	s_cbranch_vccz .LBB6_6809
; %bb.6788:                             ;   in Loop: Header=BB6_5133 Depth=2
	v_dual_mov_b32 v2, 0 :: v_dual_mov_b32 v1, 0
	s_and_saveexec_b32 s11, s10
	s_cbranch_execz .LBB6_6798
; %bb.6789:                             ;   in Loop: Header=BB6_5133 Depth=2
	v_bfrev_b32_e32 v1, 1
	s_mov_b32 s10, exec_lo
	v_cmpx_ne_u16_e32 0xff80, v62
	s_cbranch_execz .LBB6_6797
; %bb.6790:                             ;   in Loop: Header=BB6_5133 Depth=2
	v_and_b32_e32 v1, 0x7c, v0
	v_and_b32_e32 v3, 3, v0
	s_delay_alu instid0(VALU_DEP_2) | instskip(SKIP_1) | instid1(SALU_CYCLE_1)
	v_cmp_ne_u32_e32 vcc_lo, 0x7c, v1
                                        ; implicit-def: $vgpr1
	s_and_saveexec_b32 s42, vcc_lo
	s_xor_b32 s42, exec_lo, s42
	s_cbranch_execz .LBB6_6794
; %bb.6791:                             ;   in Loop: Header=BB6_5133 Depth=2
	v_bfe_u32 v0, v0, 2, 5
	s_mov_b32 s43, exec_lo
	s_delay_alu instid0(VALU_DEP_1)
	v_cmpx_eq_u32_e32 0, v0
	s_cbranch_execz .LBB6_6793
; %bb.6792:                             ;   in Loop: Header=BB6_5133 Depth=2
	v_clz_i32_u32_e32 v0, v3
	s_delay_alu instid0(VALU_DEP_1) | instskip(SKIP_1) | instid1(VALU_DEP_2)
	v_min_u32_e32 v0, 32, v0
	v_mov_b32_e32 v63, v25
	v_subrev_nc_u32_e32 v1, 29, v0
	v_sub_nc_u32_e32 v0, 30, v0
	s_delay_alu instid0(VALU_DEP_2) | instskip(NEXT) | instid1(VALU_DEP_1)
	v_lshlrev_b64_e32 v[68:69], v1, v[62:63]
	v_and_b32_e32 v3, 3, v68
.LBB6_6793:                             ;   in Loop: Header=BB6_5133 Depth=2
	s_or_b32 exec_lo, exec_lo, s43
	v_bfe_i32 v1, v62, 0, 16
                                        ; implicit-def: $vgpr62
	s_delay_alu instid0(VALU_DEP_1) | instskip(NEXT) | instid1(VALU_DEP_1)
	v_and_b32_e32 v1, 0x80000000, v1
	v_lshl_add_u32 v0, v0, 23, v1
	s_delay_alu instid0(VALU_DEP_1) | instskip(NEXT) | instid1(VALU_DEP_1)
	v_lshl_or_b32 v0, v3, 21, v0
                                        ; implicit-def: $vgpr3
	v_add_nc_u32_e32 v1, 0x38000000, v0
.LBB6_6794:                             ;   in Loop: Header=BB6_5133 Depth=2
	s_and_not1_saveexec_b32 s42, s42
; %bb.6795:                             ;   in Loop: Header=BB6_5133 Depth=2
	v_cmp_lt_i16_e32 vcc_lo, -1, v62
	v_cndmask_b32_e32 v0, 0xff800000, v44, vcc_lo
	v_cmp_eq_u32_e32 vcc_lo, 0, v3
	s_delay_alu instid0(VALU_DEP_2)
	v_cndmask_b32_e32 v1, 0x7f800001, v0, vcc_lo
; %bb.6796:                             ;   in Loop: Header=BB6_5133 Depth=2
	s_or_b32 exec_lo, exec_lo, s42
.LBB6_6797:                             ;   in Loop: Header=BB6_5133 Depth=2
	s_delay_alu instid0(SALU_CYCLE_1)
	s_or_b32 exec_lo, exec_lo, s10
.LBB6_6798:                             ;   in Loop: Header=BB6_5133 Depth=2
	s_delay_alu instid0(SALU_CYCLE_1) | instskip(NEXT) | instid1(SALU_CYCLE_1)
	s_or_b32 exec_lo, exec_lo, s11
	s_mov_b32 s10, exec_lo
	s_wait_loadcnt 0x1
	v_cmpx_ne_u16_e32 0, v102
	s_cbranch_execz .LBB6_6808
; %bb.6799:                             ;   in Loop: Header=BB6_5133 Depth=2
	v_bfrev_b32_e32 v2, 1
	s_mov_b32 s11, exec_lo
	v_cmpx_ne_u16_e32 0xff80, v102
	s_cbranch_execz .LBB6_6807
; %bb.6800:                             ;   in Loop: Header=BB6_5133 Depth=2
	v_and_b32_e32 v2, 0x7c, v102
	v_and_b32_e32 v0, 3, v102
	s_delay_alu instid0(VALU_DEP_2) | instskip(SKIP_1) | instid1(SALU_CYCLE_1)
	v_cmp_ne_u32_e32 vcc_lo, 0x7c, v2
                                        ; implicit-def: $vgpr2
	s_and_saveexec_b32 s42, vcc_lo
	s_xor_b32 s42, exec_lo, s42
	s_cbranch_execz .LBB6_6804
; %bb.6801:                             ;   in Loop: Header=BB6_5133 Depth=2
	v_and_b32_e32 v2, 0xff, v102
	s_mov_b32 s43, exec_lo
	s_delay_alu instid0(VALU_DEP_1) | instskip(NEXT) | instid1(VALU_DEP_1)
	v_bfe_u32 v2, v2, 2, 5
	v_cmpx_eq_u32_e32 0, v2
	s_cbranch_execz .LBB6_6803
; %bb.6802:                             ;   in Loop: Header=BB6_5133 Depth=2
	v_clz_i32_u32_e32 v0, v0
	s_delay_alu instid0(VALU_DEP_1) | instskip(SKIP_1) | instid1(VALU_DEP_2)
	v_min_u32_e32 v0, 32, v0
	v_mov_b32_e32 v103, v25
	v_subrev_nc_u32_e32 v2, 29, v0
	s_delay_alu instid0(VALU_DEP_1) | instskip(SKIP_1) | instid1(VALU_DEP_2)
	v_lshlrev_b64_e32 v[68:69], v2, v[102:103]
	v_sub_nc_u32_e32 v2, 30, v0
	v_and_b32_e32 v0, 3, v68
.LBB6_6803:                             ;   in Loop: Header=BB6_5133 Depth=2
	s_or_b32 exec_lo, exec_lo, s43
	v_bfe_i32 v3, v102, 0, 16
                                        ; implicit-def: $vgpr102
	s_delay_alu instid0(VALU_DEP_1) | instskip(NEXT) | instid1(VALU_DEP_1)
	v_and_b32_e32 v3, 0x80000000, v3
	v_lshl_add_u32 v2, v2, 23, v3
	s_delay_alu instid0(VALU_DEP_1) | instskip(NEXT) | instid1(VALU_DEP_1)
	v_lshl_or_b32 v0, v0, 21, v2
	v_add_nc_u32_e32 v2, 0x38000000, v0
                                        ; implicit-def: $vgpr0
.LBB6_6804:                             ;   in Loop: Header=BB6_5133 Depth=2
	s_and_not1_saveexec_b32 s42, s42
; %bb.6805:                             ;   in Loop: Header=BB6_5133 Depth=2
	v_cmp_lt_i16_e32 vcc_lo, -1, v102
	v_cndmask_b32_e32 v2, 0xff800000, v44, vcc_lo
	v_cmp_eq_u32_e32 vcc_lo, 0, v0
	s_delay_alu instid0(VALU_DEP_2)
	v_cndmask_b32_e32 v2, 0x7f800001, v2, vcc_lo
; %bb.6806:                             ;   in Loop: Header=BB6_5133 Depth=2
	s_or_b32 exec_lo, exec_lo, s42
.LBB6_6807:                             ;   in Loop: Header=BB6_5133 Depth=2
	s_delay_alu instid0(SALU_CYCLE_1)
	s_or_b32 exec_lo, exec_lo, s11
.LBB6_6808:                             ;   in Loop: Header=BB6_5133 Depth=2
	s_delay_alu instid0(SALU_CYCLE_1) | instskip(NEXT) | instid1(VALU_DEP_1)
	s_or_b32 exec_lo, exec_lo, s10
	v_dual_max_num_f32 v0, v2, v2 :: v_dual_max_num_f32 v1, v1, v1
	s_delay_alu instid0(VALU_DEP_1)
	v_min_num_f32_e32 v1, v1, v0
.LBB6_6809:                             ;   in Loop: Header=BB6_5133 Depth=2
	s_delay_alu instid0(VALU_DEP_1) | instskip(SKIP_3) | instid1(VALU_DEP_2)
	v_and_b32_e32 v2, 0x7f800000, v1
	v_mov_b32_e32 v3, v25
	v_and_b32_e32 v24, 0x7fffff, v1
                                        ; implicit-def: $vgpr67
	s_mov_b32 s10, exec_lo
	v_cmpx_ne_u64_e32 0x7f800000, v[2:3]
	s_xor_b32 s11, exec_lo, s10
	s_cbranch_execz .LBB6_6827
; %bb.6810:                             ;   in Loop: Header=BB6_5133 Depth=2
	v_dual_mov_b32 v3, v25 :: v_dual_lshrrev_b32 v0, 24, v1
	v_and_b32_e32 v2, 0x7fffffff, v1
                                        ; implicit-def: $vgpr67
	s_mov_b32 s10, exec_lo
	s_delay_alu instid0(VALU_DEP_2) | instskip(NEXT) | instid1(VALU_DEP_2)
	v_and_b32_e32 v23, 0x80, v0
	v_cmpx_gt_u64_e32 0x47600001, v[2:3]
	s_xor_b32 s42, exec_lo, s10
	s_cbranch_execz .LBB6_6824
; %bb.6811:                             ;   in Loop: Header=BB6_5133 Depth=2
	s_wait_loadcnt 0x0
	v_mov_b32_e32 v67, 0
	s_mov_b32 s43, exec_lo
	v_cmpx_ne_u32_e32 0, v1
	s_cbranch_execz .LBB6_6823
; %bb.6812:                             ;   in Loop: Header=BB6_5133 Depth=2
	v_bfe_u32 v27, v1, 23, 8
	v_or_b32_e32 v2, 0x800000, v24
	s_delay_alu instid0(VALU_DEP_2) | instskip(SKIP_1) | instid1(VALU_DEP_2)
	v_sub_nc_u32_e32 v0, 0x71, v27
	v_cmp_gt_u32_e32 vcc_lo, 0x72, v27
	v_cndmask_b32_e32 v0, 0, v0, vcc_lo
	v_cmp_eq_u32_e32 vcc_lo, 0, v27
	s_delay_alu instid0(VALU_DEP_2) | instskip(NEXT) | instid1(VALU_DEP_1)
	v_cndmask_b32_e64 v33, v0, 0x70, vcc_lo
	v_dual_cndmask_b32 v24, v2, v24, vcc_lo :: v_dual_add_nc_u32 v0, 21, v33
	v_add_nc_u32_e32 v3, 20, v33
	s_delay_alu instid0(VALU_DEP_2) | instskip(NEXT) | instid1(VALU_DEP_2)
	v_lshlrev_b64_e64 v[0:1], v0, -1
	v_lshlrev_b64_e64 v[2:3], v3, 1
	s_delay_alu instid0(VALU_DEP_2) | instskip(NEXT) | instid1(VALU_DEP_3)
	v_bfi_b32 v69, v1, 0, 0
	v_bfi_b32 v68, v0, 0, v24
	v_lshrrev_b64 v[0:1], v33, v[24:25]
	s_delay_alu instid0(VALU_DEP_2) | instskip(NEXT) | instid1(VALU_DEP_2)
	v_cmp_eq_u64_e64 s10, v[68:69], v[2:3]
	v_mov_b64_e32 v[2:3], v[0:1]
	s_and_saveexec_b32 s44, s10
; %bb.6813:                             ;   in Loop: Header=BB6_5133 Depth=2
	v_bfe_u32 v24, v0, 21, 1
	s_delay_alu instid0(VALU_DEP_1) | instskip(NEXT) | instid1(VALU_DEP_1)
	v_add_nc_u64_e32 v[2:3], v[0:1], v[24:25]
	v_add_nc_u64_e32 v[2:3], -1, v[2:3]
; %bb.6814:                             ;   in Loop: Header=BB6_5133 Depth=2
	s_or_b32 exec_lo, exec_lo, s44
	v_add_nc_u32_e32 v1, 0xffffff81, v27
	v_lshrrev_b32_e32 v3, 23, v0
	s_mov_b32 s10, exec_lo
	s_delay_alu instid0(VALU_DEP_2) | instskip(NEXT) | instid1(VALU_DEP_1)
	v_cndmask_b32_e64 v1, v1, 0xffffff82, vcc_lo
	v_add3_u32 v3, v33, v1, v3
	v_and_b32_e32 v1, 0x1fffff, v2
                                        ; implicit-def: $vgpr2
	s_delay_alu instid0(VALU_DEP_1) | instskip(NEXT) | instid1(VALU_DEP_1)
	v_dual_add_nc_u32 v27, 14, v3 :: v_dual_add_nc_u32 v24, v1, v0
                                        ; implicit-def: $vgpr0_vgpr1
	v_cmpx_ne_u32_e32 0, v27
	s_xor_b32 s10, exec_lo, s10
; %bb.6815:                             ;   in Loop: Header=BB6_5133 Depth=2
	s_delay_alu instid0(VALU_DEP_2) | instskip(SKIP_1) | instid1(VALU_DEP_1)
	v_cmp_lt_u64_e32 vcc_lo, 0xffffff, v[24:25]
	v_add_nc_u32_e32 v0, 15, v3
	v_cndmask_b32_e32 v2, v27, v0, vcc_lo
	v_cndmask_b32_e64 v0, 0, 1, vcc_lo
	s_delay_alu instid0(VALU_DEP_1)
	v_lshrrev_b64 v[0:1], v0, v[24:25]
; %bb.6816:                             ;   in Loop: Header=BB6_5133 Depth=2
	s_and_not1_saveexec_b32 s10, s10
; %bb.6817:                             ;   in Loop: Header=BB6_5133 Depth=2
	v_mov_b64_e32 v[0:1], v[24:25]
	v_bfe_u32 v2, v24, 23, 1
; %bb.6818:                             ;   in Loop: Header=BB6_5133 Depth=2
	s_or_b32 exec_lo, exec_lo, s10
	s_delay_alu instid0(VALU_DEP_2) | instskip(NEXT) | instid1(VALU_DEP_2)
	v_lshrrev_b64 v[0:1], 21, v[0:1]
	v_cmp_gt_i32_e32 vcc_lo, 32, v2
	v_cmp_ne_u32_e64 s10, 0, v2
                                        ; implicit-def: $vgpr67
	s_delay_alu instid0(VALU_DEP_3) | instskip(NEXT) | instid1(VALU_DEP_1)
	v_dual_cndmask_b32 v1, 0, v1 :: v_dual_cndmask_b32 v0, 3, v0
	v_cmp_ne_u64_e32 vcc_lo, 0, v[0:1]
	s_or_b32 s10, s10, vcc_lo
	s_delay_alu instid0(SALU_CYCLE_1) | instskip(NEXT) | instid1(SALU_CYCLE_1)
	s_and_saveexec_b32 s44, s10
	s_xor_b32 s10, exec_lo, s44
; %bb.6819:                             ;   in Loop: Header=BB6_5133 Depth=2
	v_min_i32_e32 v1, 31, v2
	s_delay_alu instid0(VALU_DEP_1) | instskip(NEXT) | instid1(VALU_DEP_1)
	v_lshl_or_b32 v1, v1, 2, v23
                                        ; implicit-def: $vgpr23
	v_and_or_b32 v67, v0, 3, v1
; %bb.6820:                             ;   in Loop: Header=BB6_5133 Depth=2
	s_and_not1_saveexec_b32 s10, s10
; %bb.6821:                             ;   in Loop: Header=BB6_5133 Depth=2
	v_mov_b32_e32 v67, v23
; %bb.6822:                             ;   in Loop: Header=BB6_5133 Depth=2
	s_or_b32 exec_lo, exec_lo, s10
.LBB6_6823:                             ;   in Loop: Header=BB6_5133 Depth=2
	s_delay_alu instid0(SALU_CYCLE_1)
	s_or_b32 exec_lo, exec_lo, s43
                                        ; implicit-def: $vgpr23
.LBB6_6824:                             ;   in Loop: Header=BB6_5133 Depth=2
	s_and_not1_saveexec_b32 s10, s42
	s_cbranch_execz .LBB6_6826
; %bb.6825:                             ;   in Loop: Header=BB6_5133 Depth=2
	s_wait_loadcnt 0x0
	v_or_b32_e32 v67, 0x7b, v23
.LBB6_6826:                             ;   in Loop: Header=BB6_5133 Depth=2
	s_or_b32 exec_lo, exec_lo, s10
                                        ; implicit-def: $vgpr1
.LBB6_6827:                             ;   in Loop: Header=BB6_5133 Depth=2
	s_and_not1_saveexec_b32 s10, s11
	s_cbranch_execz .LBB6_6833
; %bb.6828:                             ;   in Loop: Header=BB6_5133 Depth=2
	s_mov_b32 s11, exec_lo
                                        ; implicit-def: $vgpr67
	v_cmpx_ne_u64_e32 0, v[24:25]
	s_xor_b32 s11, exec_lo, s11
	s_cbranch_execz .LBB6_6830
; %bb.6829:                             ;   in Loop: Header=BB6_5133 Depth=2
	v_lshrrev_b32_e32 v0, 24, v1
                                        ; implicit-def: $vgpr1
	s_wait_loadcnt 0x0
	s_delay_alu instid0(VALU_DEP_1)
	v_or_b32_e32 v67, 0x7f, v0
.LBB6_6830:                             ;   in Loop: Header=BB6_5133 Depth=2
	s_and_not1_saveexec_b32 s11, s11
	s_cbranch_execz .LBB6_6832
; %bb.6831:                             ;   in Loop: Header=BB6_5133 Depth=2
	v_cmp_lt_i32_e32 vcc_lo, -1, v1
	s_wait_loadcnt 0x0
	v_cndmask_b32_e64 v67, -4, 0x7c, vcc_lo
.LBB6_6832:                             ;   in Loop: Header=BB6_5133 Depth=2
	s_or_b32 exec_lo, exec_lo, s11
.LBB6_6833:                             ;   in Loop: Header=BB6_5133 Depth=2
	s_delay_alu instid0(SALU_CYCLE_1)
	s_or_b32 exec_lo, exec_lo, s10
	s_wait_loadcnt 0x2
	v_and_b32_e32 v0, 0xff, v84
	v_cmp_ne_u16_e64 s10, 0, v84
	s_and_not1_b32 vcc_lo, exec_lo, s15
	s_mov_b32 s11, -1
                                        ; implicit-def: $vgpr1
	s_cbranch_vccnz .LBB6_6855
; %bb.6834:                             ;   in Loop: Header=BB6_5133 Depth=2
	v_dual_mov_b32 v2, 0 :: v_dual_mov_b32 v1, 0
	s_and_saveexec_b32 s11, s10
	s_cbranch_execz .LBB6_6844
; %bb.6835:                             ;   in Loop: Header=BB6_5133 Depth=2
	v_bfrev_b32_e32 v1, 1
	s_mov_b32 s42, exec_lo
	v_cmpx_ne_u16_e32 0xff80, v84
	s_cbranch_execz .LBB6_6843
; %bb.6836:                             ;   in Loop: Header=BB6_5133 Depth=2
	v_and_b32_e32 v1, 0x7c, v0
	v_and_b32_e32 v3, 3, v0
	s_delay_alu instid0(VALU_DEP_2) | instskip(SKIP_1) | instid1(SALU_CYCLE_1)
	v_cmp_ne_u32_e32 vcc_lo, 0x7c, v1
                                        ; implicit-def: $vgpr1
	s_and_saveexec_b32 s43, vcc_lo
	s_xor_b32 s43, exec_lo, s43
	s_cbranch_execz .LBB6_6840
; %bb.6837:                             ;   in Loop: Header=BB6_5133 Depth=2
	v_bfe_u32 v1, v0, 2, 5
	s_mov_b32 s44, exec_lo
	s_delay_alu instid0(VALU_DEP_1)
	v_cmpx_eq_u32_e32 0, v1
	s_cbranch_execz .LBB6_6839
; %bb.6838:                             ;   in Loop: Header=BB6_5133 Depth=2
	v_clz_i32_u32_e32 v1, v3
	s_delay_alu instid0(VALU_DEP_1) | instskip(SKIP_1) | instid1(VALU_DEP_2)
	v_min_u32_e32 v1, 32, v1
	v_mov_b32_e32 v85, v25
	v_subrev_nc_u32_e32 v3, 29, v1
	v_sub_nc_u32_e32 v1, 30, v1
	s_delay_alu instid0(VALU_DEP_2) | instskip(NEXT) | instid1(VALU_DEP_1)
	v_lshlrev_b64_e32 v[68:69], v3, v[84:85]
	v_and_b32_e32 v3, 3, v68
.LBB6_6839:                             ;   in Loop: Header=BB6_5133 Depth=2
	s_or_b32 exec_lo, exec_lo, s44
	v_bfe_i32 v23, v84, 0, 16
	s_delay_alu instid0(VALU_DEP_1) | instskip(NEXT) | instid1(VALU_DEP_1)
	v_and_b32_e32 v23, 0x80000000, v23
	v_lshl_add_u32 v1, v1, 23, v23
	s_delay_alu instid0(VALU_DEP_1) | instskip(NEXT) | instid1(VALU_DEP_1)
	v_lshl_or_b32 v1, v3, 21, v1
                                        ; implicit-def: $vgpr3
	v_add_nc_u32_e32 v1, 0x38000000, v1
.LBB6_6840:                             ;   in Loop: Header=BB6_5133 Depth=2
	s_and_not1_saveexec_b32 s43, s43
; %bb.6841:                             ;   in Loop: Header=BB6_5133 Depth=2
	v_cmp_lt_i16_e32 vcc_lo, -1, v84
	v_cndmask_b32_e32 v1, 0xff800000, v44, vcc_lo
	v_cmp_eq_u32_e32 vcc_lo, 0, v3
	s_delay_alu instid0(VALU_DEP_2)
	v_cndmask_b32_e32 v1, 0x7f800001, v1, vcc_lo
; %bb.6842:                             ;   in Loop: Header=BB6_5133 Depth=2
	s_or_b32 exec_lo, exec_lo, s43
.LBB6_6843:                             ;   in Loop: Header=BB6_5133 Depth=2
	s_delay_alu instid0(SALU_CYCLE_1)
	s_or_b32 exec_lo, exec_lo, s42
.LBB6_6844:                             ;   in Loop: Header=BB6_5133 Depth=2
	s_delay_alu instid0(SALU_CYCLE_1) | instskip(NEXT) | instid1(SALU_CYCLE_1)
	s_or_b32 exec_lo, exec_lo, s11
	s_mov_b32 s11, exec_lo
	v_cmpx_ne_u16_e32 0, v72
	s_cbranch_execz .LBB6_6854
; %bb.6845:                             ;   in Loop: Header=BB6_5133 Depth=2
	v_bfrev_b32_e32 v2, 1
	s_mov_b32 s42, exec_lo
	v_cmpx_ne_u16_e32 0xff80, v72
	s_cbranch_execz .LBB6_6853
; %bb.6846:                             ;   in Loop: Header=BB6_5133 Depth=2
	v_and_b32_e32 v2, 0x7c, v72
	v_and_b32_e32 v3, 3, v72
	s_delay_alu instid0(VALU_DEP_2) | instskip(SKIP_1) | instid1(SALU_CYCLE_1)
	v_cmp_ne_u32_e32 vcc_lo, 0x7c, v2
                                        ; implicit-def: $vgpr2
	s_and_saveexec_b32 s43, vcc_lo
	s_xor_b32 s43, exec_lo, s43
	s_cbranch_execz .LBB6_6850
; %bb.6847:                             ;   in Loop: Header=BB6_5133 Depth=2
	v_and_b32_e32 v2, 0xff, v72
	s_mov_b32 s44, exec_lo
	s_delay_alu instid0(VALU_DEP_1) | instskip(NEXT) | instid1(VALU_DEP_1)
	v_bfe_u32 v2, v2, 2, 5
	v_cmpx_eq_u32_e32 0, v2
	s_cbranch_execz .LBB6_6849
; %bb.6848:                             ;   in Loop: Header=BB6_5133 Depth=2
	v_clz_i32_u32_e32 v2, v3
	s_delay_alu instid0(VALU_DEP_1) | instskip(SKIP_1) | instid1(VALU_DEP_2)
	v_min_u32_e32 v2, 32, v2
	v_mov_b32_e32 v73, v25
	v_subrev_nc_u32_e32 v3, 29, v2
	v_sub_nc_u32_e32 v2, 30, v2
	s_delay_alu instid0(VALU_DEP_2) | instskip(NEXT) | instid1(VALU_DEP_1)
	v_lshlrev_b64_e32 v[68:69], v3, v[72:73]
	v_and_b32_e32 v3, 3, v68
.LBB6_6849:                             ;   in Loop: Header=BB6_5133 Depth=2
	s_or_b32 exec_lo, exec_lo, s44
	v_bfe_i32 v23, v72, 0, 16
	s_delay_alu instid0(VALU_DEP_1) | instskip(NEXT) | instid1(VALU_DEP_1)
	v_and_b32_e32 v23, 0x80000000, v23
	v_lshl_add_u32 v2, v2, 23, v23
	s_delay_alu instid0(VALU_DEP_1) | instskip(NEXT) | instid1(VALU_DEP_1)
	v_lshl_or_b32 v2, v3, 21, v2
                                        ; implicit-def: $vgpr3
	v_add_nc_u32_e32 v2, 0x38000000, v2
.LBB6_6850:                             ;   in Loop: Header=BB6_5133 Depth=2
	s_and_not1_saveexec_b32 s43, s43
; %bb.6851:                             ;   in Loop: Header=BB6_5133 Depth=2
	v_cmp_lt_i16_e32 vcc_lo, -1, v72
	v_cndmask_b32_e32 v2, 0xff800000, v44, vcc_lo
	v_cmp_eq_u32_e32 vcc_lo, 0, v3
	s_delay_alu instid0(VALU_DEP_2)
	v_cndmask_b32_e32 v2, 0x7f800001, v2, vcc_lo
; %bb.6852:                             ;   in Loop: Header=BB6_5133 Depth=2
	s_or_b32 exec_lo, exec_lo, s43
.LBB6_6853:                             ;   in Loop: Header=BB6_5133 Depth=2
	s_delay_alu instid0(SALU_CYCLE_1)
	s_or_b32 exec_lo, exec_lo, s42
.LBB6_6854:                             ;   in Loop: Header=BB6_5133 Depth=2
	s_delay_alu instid0(SALU_CYCLE_1) | instskip(NEXT) | instid1(VALU_DEP_1)
	s_or_b32 exec_lo, exec_lo, s11
	v_dual_max_num_f32 v2, v2, v2 :: v_dual_max_num_f32 v1, v1, v1
	s_mov_b32 s11, 0
	s_delay_alu instid0(VALU_DEP_1)
	v_max_num_f32_e32 v1, v1, v2
.LBB6_6855:                             ;   in Loop: Header=BB6_5133 Depth=2
	s_and_b32 vcc_lo, exec_lo, s11
	s_cbranch_vccz .LBB6_6877
; %bb.6856:                             ;   in Loop: Header=BB6_5133 Depth=2
	v_dual_mov_b32 v2, 0 :: v_dual_mov_b32 v1, 0
	s_and_saveexec_b32 s11, s10
	s_cbranch_execz .LBB6_6866
; %bb.6857:                             ;   in Loop: Header=BB6_5133 Depth=2
	v_bfrev_b32_e32 v1, 1
	s_mov_b32 s10, exec_lo
	v_cmpx_ne_u16_e32 0xff80, v84
	s_cbranch_execz .LBB6_6865
; %bb.6858:                             ;   in Loop: Header=BB6_5133 Depth=2
	v_and_b32_e32 v1, 0x7c, v0
	v_and_b32_e32 v3, 3, v0
	s_delay_alu instid0(VALU_DEP_2) | instskip(SKIP_1) | instid1(SALU_CYCLE_1)
	v_cmp_ne_u32_e32 vcc_lo, 0x7c, v1
                                        ; implicit-def: $vgpr1
	s_and_saveexec_b32 s42, vcc_lo
	s_xor_b32 s42, exec_lo, s42
	s_cbranch_execz .LBB6_6862
; %bb.6859:                             ;   in Loop: Header=BB6_5133 Depth=2
	v_bfe_u32 v0, v0, 2, 5
	s_mov_b32 s43, exec_lo
	s_delay_alu instid0(VALU_DEP_1)
	v_cmpx_eq_u32_e32 0, v0
	s_cbranch_execz .LBB6_6861
; %bb.6860:                             ;   in Loop: Header=BB6_5133 Depth=2
	v_clz_i32_u32_e32 v0, v3
	s_delay_alu instid0(VALU_DEP_1) | instskip(SKIP_1) | instid1(VALU_DEP_2)
	v_min_u32_e32 v0, 32, v0
	v_mov_b32_e32 v85, v25
	v_subrev_nc_u32_e32 v1, 29, v0
	v_sub_nc_u32_e32 v0, 30, v0
	s_delay_alu instid0(VALU_DEP_2) | instskip(NEXT) | instid1(VALU_DEP_1)
	v_lshlrev_b64_e32 v[68:69], v1, v[84:85]
	v_and_b32_e32 v3, 3, v68
.LBB6_6861:                             ;   in Loop: Header=BB6_5133 Depth=2
	s_or_b32 exec_lo, exec_lo, s43
	v_bfe_i32 v1, v84, 0, 16
                                        ; implicit-def: $vgpr84
	s_delay_alu instid0(VALU_DEP_1) | instskip(NEXT) | instid1(VALU_DEP_1)
	v_and_b32_e32 v1, 0x80000000, v1
	v_lshl_add_u32 v0, v0, 23, v1
	s_delay_alu instid0(VALU_DEP_1) | instskip(NEXT) | instid1(VALU_DEP_1)
	v_lshl_or_b32 v0, v3, 21, v0
                                        ; implicit-def: $vgpr3
	v_add_nc_u32_e32 v1, 0x38000000, v0
.LBB6_6862:                             ;   in Loop: Header=BB6_5133 Depth=2
	s_and_not1_saveexec_b32 s42, s42
; %bb.6863:                             ;   in Loop: Header=BB6_5133 Depth=2
	v_cmp_lt_i16_e32 vcc_lo, -1, v84
	v_cndmask_b32_e32 v0, 0xff800000, v44, vcc_lo
	v_cmp_eq_u32_e32 vcc_lo, 0, v3
	s_delay_alu instid0(VALU_DEP_2)
	v_cndmask_b32_e32 v1, 0x7f800001, v0, vcc_lo
; %bb.6864:                             ;   in Loop: Header=BB6_5133 Depth=2
	s_or_b32 exec_lo, exec_lo, s42
.LBB6_6865:                             ;   in Loop: Header=BB6_5133 Depth=2
	s_delay_alu instid0(SALU_CYCLE_1)
	s_or_b32 exec_lo, exec_lo, s10
.LBB6_6866:                             ;   in Loop: Header=BB6_5133 Depth=2
	s_delay_alu instid0(SALU_CYCLE_1) | instskip(NEXT) | instid1(SALU_CYCLE_1)
	s_or_b32 exec_lo, exec_lo, s11
	s_mov_b32 s10, exec_lo
	v_cmpx_ne_u16_e32 0, v72
	s_cbranch_execz .LBB6_6876
; %bb.6867:                             ;   in Loop: Header=BB6_5133 Depth=2
	v_bfrev_b32_e32 v2, 1
	s_mov_b32 s11, exec_lo
	v_cmpx_ne_u16_e32 0xff80, v72
	s_cbranch_execz .LBB6_6875
; %bb.6868:                             ;   in Loop: Header=BB6_5133 Depth=2
	v_and_b32_e32 v2, 0x7c, v72
	v_and_b32_e32 v0, 3, v72
	s_delay_alu instid0(VALU_DEP_2) | instskip(SKIP_1) | instid1(SALU_CYCLE_1)
	v_cmp_ne_u32_e32 vcc_lo, 0x7c, v2
                                        ; implicit-def: $vgpr2
	s_and_saveexec_b32 s42, vcc_lo
	s_xor_b32 s42, exec_lo, s42
	s_cbranch_execz .LBB6_6872
; %bb.6869:                             ;   in Loop: Header=BB6_5133 Depth=2
	v_and_b32_e32 v2, 0xff, v72
	s_mov_b32 s43, exec_lo
	s_delay_alu instid0(VALU_DEP_1) | instskip(NEXT) | instid1(VALU_DEP_1)
	v_bfe_u32 v2, v2, 2, 5
	v_cmpx_eq_u32_e32 0, v2
	s_cbranch_execz .LBB6_6871
; %bb.6870:                             ;   in Loop: Header=BB6_5133 Depth=2
	v_clz_i32_u32_e32 v0, v0
	s_delay_alu instid0(VALU_DEP_1) | instskip(SKIP_1) | instid1(VALU_DEP_2)
	v_min_u32_e32 v0, 32, v0
	v_mov_b32_e32 v73, v25
	v_subrev_nc_u32_e32 v2, 29, v0
	s_delay_alu instid0(VALU_DEP_1) | instskip(SKIP_1) | instid1(VALU_DEP_2)
	v_lshlrev_b64_e32 v[68:69], v2, v[72:73]
	v_sub_nc_u32_e32 v2, 30, v0
	v_and_b32_e32 v0, 3, v68
.LBB6_6871:                             ;   in Loop: Header=BB6_5133 Depth=2
	s_or_b32 exec_lo, exec_lo, s43
	v_bfe_i32 v3, v72, 0, 16
                                        ; implicit-def: $vgpr72
	s_delay_alu instid0(VALU_DEP_1) | instskip(NEXT) | instid1(VALU_DEP_1)
	v_and_b32_e32 v3, 0x80000000, v3
	v_lshl_add_u32 v2, v2, 23, v3
	s_delay_alu instid0(VALU_DEP_1) | instskip(NEXT) | instid1(VALU_DEP_1)
	v_lshl_or_b32 v0, v0, 21, v2
	v_add_nc_u32_e32 v2, 0x38000000, v0
                                        ; implicit-def: $vgpr0
.LBB6_6872:                             ;   in Loop: Header=BB6_5133 Depth=2
	s_and_not1_saveexec_b32 s42, s42
; %bb.6873:                             ;   in Loop: Header=BB6_5133 Depth=2
	v_cmp_lt_i16_e32 vcc_lo, -1, v72
	v_cndmask_b32_e32 v2, 0xff800000, v44, vcc_lo
	v_cmp_eq_u32_e32 vcc_lo, 0, v0
	s_delay_alu instid0(VALU_DEP_2)
	v_cndmask_b32_e32 v2, 0x7f800001, v2, vcc_lo
; %bb.6874:                             ;   in Loop: Header=BB6_5133 Depth=2
	s_or_b32 exec_lo, exec_lo, s42
.LBB6_6875:                             ;   in Loop: Header=BB6_5133 Depth=2
	s_delay_alu instid0(SALU_CYCLE_1)
	s_or_b32 exec_lo, exec_lo, s11
.LBB6_6876:                             ;   in Loop: Header=BB6_5133 Depth=2
	s_delay_alu instid0(SALU_CYCLE_1) | instskip(NEXT) | instid1(VALU_DEP_1)
	s_or_b32 exec_lo, exec_lo, s10
	v_dual_max_num_f32 v0, v2, v2 :: v_dual_max_num_f32 v1, v1, v1
	s_delay_alu instid0(VALU_DEP_1)
	v_min_num_f32_e32 v1, v1, v0
.LBB6_6877:                             ;   in Loop: Header=BB6_5133 Depth=2
	s_delay_alu instid0(VALU_DEP_1) | instskip(SKIP_3) | instid1(VALU_DEP_2)
	v_and_b32_e32 v2, 0x7f800000, v1
	v_mov_b32_e32 v3, v25
	v_and_b32_e32 v24, 0x7fffff, v1
                                        ; implicit-def: $vgpr50
	s_mov_b32 s10, exec_lo
	v_cmpx_ne_u64_e32 0x7f800000, v[2:3]
	s_xor_b32 s11, exec_lo, s10
	s_cbranch_execz .LBB6_6895
; %bb.6878:                             ;   in Loop: Header=BB6_5133 Depth=2
	v_dual_mov_b32 v3, v25 :: v_dual_lshrrev_b32 v0, 24, v1
	v_and_b32_e32 v2, 0x7fffffff, v1
                                        ; implicit-def: $vgpr50
	s_mov_b32 s10, exec_lo
	s_delay_alu instid0(VALU_DEP_2) | instskip(NEXT) | instid1(VALU_DEP_2)
	v_and_b32_e32 v23, 0x80, v0
	v_cmpx_gt_u64_e32 0x47600001, v[2:3]
	s_xor_b32 s42, exec_lo, s10
	s_cbranch_execz .LBB6_6892
; %bb.6879:                             ;   in Loop: Header=BB6_5133 Depth=2
	v_mov_b32_e32 v50, 0
	s_mov_b32 s43, exec_lo
	v_cmpx_ne_u32_e32 0, v1
	s_cbranch_execz .LBB6_6891
; %bb.6880:                             ;   in Loop: Header=BB6_5133 Depth=2
	v_bfe_u32 v27, v1, 23, 8
	v_or_b32_e32 v2, 0x800000, v24
	s_delay_alu instid0(VALU_DEP_2) | instskip(SKIP_1) | instid1(VALU_DEP_2)
	v_sub_nc_u32_e32 v0, 0x71, v27
	v_cmp_gt_u32_e32 vcc_lo, 0x72, v27
	v_cndmask_b32_e32 v0, 0, v0, vcc_lo
	v_cmp_eq_u32_e32 vcc_lo, 0, v27
	s_delay_alu instid0(VALU_DEP_2) | instskip(NEXT) | instid1(VALU_DEP_1)
	v_cndmask_b32_e64 v33, v0, 0x70, vcc_lo
	v_dual_cndmask_b32 v24, v2, v24, vcc_lo :: v_dual_add_nc_u32 v0, 21, v33
	v_add_nc_u32_e32 v3, 20, v33
	s_delay_alu instid0(VALU_DEP_2) | instskip(NEXT) | instid1(VALU_DEP_2)
	v_lshlrev_b64_e64 v[0:1], v0, -1
	v_lshlrev_b64_e64 v[2:3], v3, 1
	s_delay_alu instid0(VALU_DEP_2) | instskip(NEXT) | instid1(VALU_DEP_3)
	v_bfi_b32 v51, v1, 0, 0
	v_bfi_b32 v50, v0, 0, v24
	v_lshrrev_b64 v[0:1], v33, v[24:25]
	s_delay_alu instid0(VALU_DEP_2) | instskip(NEXT) | instid1(VALU_DEP_2)
	v_cmp_eq_u64_e64 s10, v[50:51], v[2:3]
	v_mov_b64_e32 v[2:3], v[0:1]
	s_and_saveexec_b32 s44, s10
; %bb.6881:                             ;   in Loop: Header=BB6_5133 Depth=2
	v_bfe_u32 v24, v0, 21, 1
	s_delay_alu instid0(VALU_DEP_1) | instskip(NEXT) | instid1(VALU_DEP_1)
	v_add_nc_u64_e32 v[2:3], v[0:1], v[24:25]
	v_add_nc_u64_e32 v[2:3], -1, v[2:3]
; %bb.6882:                             ;   in Loop: Header=BB6_5133 Depth=2
	s_or_b32 exec_lo, exec_lo, s44
	v_add_nc_u32_e32 v1, 0xffffff81, v27
	v_lshrrev_b32_e32 v3, 23, v0
	s_mov_b32 s10, exec_lo
	s_delay_alu instid0(VALU_DEP_2) | instskip(NEXT) | instid1(VALU_DEP_1)
	v_cndmask_b32_e64 v1, v1, 0xffffff82, vcc_lo
	v_add3_u32 v3, v33, v1, v3
	v_and_b32_e32 v1, 0x1fffff, v2
                                        ; implicit-def: $vgpr2
	s_delay_alu instid0(VALU_DEP_1) | instskip(NEXT) | instid1(VALU_DEP_1)
	v_dual_add_nc_u32 v27, 14, v3 :: v_dual_add_nc_u32 v24, v1, v0
                                        ; implicit-def: $vgpr0_vgpr1
	v_cmpx_ne_u32_e32 0, v27
	s_xor_b32 s10, exec_lo, s10
; %bb.6883:                             ;   in Loop: Header=BB6_5133 Depth=2
	s_delay_alu instid0(VALU_DEP_2) | instskip(SKIP_1) | instid1(VALU_DEP_1)
	v_cmp_lt_u64_e32 vcc_lo, 0xffffff, v[24:25]
	v_add_nc_u32_e32 v0, 15, v3
	v_cndmask_b32_e32 v2, v27, v0, vcc_lo
	v_cndmask_b32_e64 v0, 0, 1, vcc_lo
	s_delay_alu instid0(VALU_DEP_1)
	v_lshrrev_b64 v[0:1], v0, v[24:25]
; %bb.6884:                             ;   in Loop: Header=BB6_5133 Depth=2
	s_and_not1_saveexec_b32 s10, s10
; %bb.6885:                             ;   in Loop: Header=BB6_5133 Depth=2
	v_mov_b64_e32 v[0:1], v[24:25]
	v_bfe_u32 v2, v24, 23, 1
; %bb.6886:                             ;   in Loop: Header=BB6_5133 Depth=2
	s_or_b32 exec_lo, exec_lo, s10
	s_delay_alu instid0(VALU_DEP_2) | instskip(NEXT) | instid1(VALU_DEP_2)
	v_lshrrev_b64 v[0:1], 21, v[0:1]
	v_cmp_gt_i32_e32 vcc_lo, 32, v2
	v_cmp_ne_u32_e64 s10, 0, v2
                                        ; implicit-def: $vgpr50
	s_delay_alu instid0(VALU_DEP_3) | instskip(NEXT) | instid1(VALU_DEP_1)
	v_dual_cndmask_b32 v1, 0, v1 :: v_dual_cndmask_b32 v0, 3, v0
	v_cmp_ne_u64_e32 vcc_lo, 0, v[0:1]
	s_or_b32 s10, s10, vcc_lo
	s_delay_alu instid0(SALU_CYCLE_1) | instskip(NEXT) | instid1(SALU_CYCLE_1)
	s_and_saveexec_b32 s44, s10
	s_xor_b32 s10, exec_lo, s44
; %bb.6887:                             ;   in Loop: Header=BB6_5133 Depth=2
	v_min_i32_e32 v1, 31, v2
	s_delay_alu instid0(VALU_DEP_1) | instskip(NEXT) | instid1(VALU_DEP_1)
	v_lshl_or_b32 v1, v1, 2, v23
                                        ; implicit-def: $vgpr23
	v_and_or_b32 v50, v0, 3, v1
; %bb.6888:                             ;   in Loop: Header=BB6_5133 Depth=2
	s_and_not1_saveexec_b32 s10, s10
; %bb.6889:                             ;   in Loop: Header=BB6_5133 Depth=2
	v_mov_b32_e32 v50, v23
; %bb.6890:                             ;   in Loop: Header=BB6_5133 Depth=2
	s_or_b32 exec_lo, exec_lo, s10
.LBB6_6891:                             ;   in Loop: Header=BB6_5133 Depth=2
	s_delay_alu instid0(SALU_CYCLE_1)
	s_or_b32 exec_lo, exec_lo, s43
                                        ; implicit-def: $vgpr23
.LBB6_6892:                             ;   in Loop: Header=BB6_5133 Depth=2
	s_and_not1_saveexec_b32 s10, s42
; %bb.6893:                             ;   in Loop: Header=BB6_5133 Depth=2
	v_or_b32_e32 v50, 0x7b, v23
; %bb.6894:                             ;   in Loop: Header=BB6_5133 Depth=2
	s_or_b32 exec_lo, exec_lo, s10
                                        ; implicit-def: $vgpr1
.LBB6_6895:                             ;   in Loop: Header=BB6_5133 Depth=2
	s_and_not1_saveexec_b32 s10, s11
	s_cbranch_execz .LBB6_6901
; %bb.6896:                             ;   in Loop: Header=BB6_5133 Depth=2
	s_mov_b32 s11, exec_lo
                                        ; implicit-def: $vgpr50
	v_cmpx_ne_u64_e32 0, v[24:25]
	s_xor_b32 s11, exec_lo, s11
; %bb.6897:                             ;   in Loop: Header=BB6_5133 Depth=2
	v_lshrrev_b32_e32 v0, 24, v1
                                        ; implicit-def: $vgpr1
	s_delay_alu instid0(VALU_DEP_1)
	v_or_b32_e32 v50, 0x7f, v0
; %bb.6898:                             ;   in Loop: Header=BB6_5133 Depth=2
	s_and_not1_saveexec_b32 s11, s11
; %bb.6899:                             ;   in Loop: Header=BB6_5133 Depth=2
	v_cmp_lt_i32_e32 vcc_lo, -1, v1
	v_cndmask_b32_e64 v50, -4, 0x7c, vcc_lo
; %bb.6900:                             ;   in Loop: Header=BB6_5133 Depth=2
	s_or_b32 exec_lo, exec_lo, s11
.LBB6_6901:                             ;   in Loop: Header=BB6_5133 Depth=2
	s_delay_alu instid0(SALU_CYCLE_1)
	s_or_b32 exec_lo, exec_lo, s10
	v_and_b32_e32 v0, 0xff, v48
	v_cmp_ne_u16_e64 s10, 0, v48
	s_and_not1_b32 vcc_lo, exec_lo, s15
	s_mov_b32 s11, -1
                                        ; implicit-def: $vgpr1
	s_cbranch_vccnz .LBB6_6923
; %bb.6902:                             ;   in Loop: Header=BB6_5133 Depth=2
	v_dual_mov_b32 v2, 0 :: v_dual_mov_b32 v1, 0
	s_and_saveexec_b32 s11, s10
	s_cbranch_execz .LBB6_6912
; %bb.6903:                             ;   in Loop: Header=BB6_5133 Depth=2
	v_bfrev_b32_e32 v1, 1
	s_mov_b32 s42, exec_lo
	v_cmpx_ne_u16_e32 0xff80, v48
	s_cbranch_execz .LBB6_6911
; %bb.6904:                             ;   in Loop: Header=BB6_5133 Depth=2
	v_and_b32_e32 v1, 0x7c, v0
	v_and_b32_e32 v3, 3, v0
	s_delay_alu instid0(VALU_DEP_2) | instskip(SKIP_1) | instid1(SALU_CYCLE_1)
	v_cmp_ne_u32_e32 vcc_lo, 0x7c, v1
                                        ; implicit-def: $vgpr1
	s_and_saveexec_b32 s43, vcc_lo
	s_xor_b32 s43, exec_lo, s43
	s_cbranch_execz .LBB6_6908
; %bb.6905:                             ;   in Loop: Header=BB6_5133 Depth=2
	v_bfe_u32 v1, v0, 2, 5
	s_mov_b32 s44, exec_lo
	s_delay_alu instid0(VALU_DEP_1)
	v_cmpx_eq_u32_e32 0, v1
	s_cbranch_execz .LBB6_6907
; %bb.6906:                             ;   in Loop: Header=BB6_5133 Depth=2
	v_clz_i32_u32_e32 v1, v3
	s_delay_alu instid0(VALU_DEP_1) | instskip(SKIP_1) | instid1(VALU_DEP_2)
	v_min_u32_e32 v1, 32, v1
	v_mov_b32_e32 v49, v25
	v_subrev_nc_u32_e32 v3, 29, v1
	v_sub_nc_u32_e32 v1, 30, v1
	s_delay_alu instid0(VALU_DEP_2) | instskip(NEXT) | instid1(VALU_DEP_1)
	v_lshlrev_b64_e32 v[68:69], v3, v[48:49]
	v_and_b32_e32 v3, 3, v68
.LBB6_6907:                             ;   in Loop: Header=BB6_5133 Depth=2
	s_or_b32 exec_lo, exec_lo, s44
	v_bfe_i32 v23, v48, 0, 16
	s_delay_alu instid0(VALU_DEP_1) | instskip(NEXT) | instid1(VALU_DEP_1)
	v_and_b32_e32 v23, 0x80000000, v23
	v_lshl_add_u32 v1, v1, 23, v23
	s_delay_alu instid0(VALU_DEP_1) | instskip(NEXT) | instid1(VALU_DEP_1)
	v_lshl_or_b32 v1, v3, 21, v1
                                        ; implicit-def: $vgpr3
	v_add_nc_u32_e32 v1, 0x38000000, v1
.LBB6_6908:                             ;   in Loop: Header=BB6_5133 Depth=2
	s_and_not1_saveexec_b32 s43, s43
; %bb.6909:                             ;   in Loop: Header=BB6_5133 Depth=2
	v_cmp_lt_i16_e32 vcc_lo, -1, v48
	v_cndmask_b32_e32 v1, 0xff800000, v44, vcc_lo
	v_cmp_eq_u32_e32 vcc_lo, 0, v3
	s_delay_alu instid0(VALU_DEP_2)
	v_cndmask_b32_e32 v1, 0x7f800001, v1, vcc_lo
; %bb.6910:                             ;   in Loop: Header=BB6_5133 Depth=2
	s_or_b32 exec_lo, exec_lo, s43
.LBB6_6911:                             ;   in Loop: Header=BB6_5133 Depth=2
	s_delay_alu instid0(SALU_CYCLE_1)
	s_or_b32 exec_lo, exec_lo, s42
.LBB6_6912:                             ;   in Loop: Header=BB6_5133 Depth=2
	s_delay_alu instid0(SALU_CYCLE_1) | instskip(NEXT) | instid1(SALU_CYCLE_1)
	s_or_b32 exec_lo, exec_lo, s11
	s_mov_b32 s11, exec_lo
	v_cmpx_ne_u16_e32 0, v38
	s_cbranch_execz .LBB6_6922
; %bb.6913:                             ;   in Loop: Header=BB6_5133 Depth=2
	v_bfrev_b32_e32 v2, 1
	s_mov_b32 s42, exec_lo
	v_cmpx_ne_u16_e32 0xff80, v38
	s_cbranch_execz .LBB6_6921
; %bb.6914:                             ;   in Loop: Header=BB6_5133 Depth=2
	v_and_b32_e32 v2, 0x7c, v38
	v_and_b32_e32 v3, 3, v38
	s_delay_alu instid0(VALU_DEP_2) | instskip(SKIP_1) | instid1(SALU_CYCLE_1)
	v_cmp_ne_u32_e32 vcc_lo, 0x7c, v2
                                        ; implicit-def: $vgpr2
	s_and_saveexec_b32 s43, vcc_lo
	s_xor_b32 s43, exec_lo, s43
	s_cbranch_execz .LBB6_6918
; %bb.6915:                             ;   in Loop: Header=BB6_5133 Depth=2
	v_and_b32_e32 v2, 0xff, v38
	s_mov_b32 s44, exec_lo
	s_delay_alu instid0(VALU_DEP_1) | instskip(NEXT) | instid1(VALU_DEP_1)
	v_bfe_u32 v2, v2, 2, 5
	v_cmpx_eq_u32_e32 0, v2
	s_cbranch_execz .LBB6_6917
; %bb.6916:                             ;   in Loop: Header=BB6_5133 Depth=2
	v_clz_i32_u32_e32 v2, v3
	s_delay_alu instid0(VALU_DEP_1) | instskip(SKIP_1) | instid1(VALU_DEP_2)
	v_min_u32_e32 v2, 32, v2
	v_mov_b32_e32 v39, v25
	v_subrev_nc_u32_e32 v3, 29, v2
	v_sub_nc_u32_e32 v2, 30, v2
	s_delay_alu instid0(VALU_DEP_2) | instskip(NEXT) | instid1(VALU_DEP_1)
	v_lshlrev_b64_e32 v[68:69], v3, v[38:39]
	v_and_b32_e32 v3, 3, v68
.LBB6_6917:                             ;   in Loop: Header=BB6_5133 Depth=2
	s_or_b32 exec_lo, exec_lo, s44
	v_bfe_i32 v23, v38, 0, 16
	s_delay_alu instid0(VALU_DEP_1) | instskip(NEXT) | instid1(VALU_DEP_1)
	v_and_b32_e32 v23, 0x80000000, v23
	v_lshl_add_u32 v2, v2, 23, v23
	s_delay_alu instid0(VALU_DEP_1) | instskip(NEXT) | instid1(VALU_DEP_1)
	v_lshl_or_b32 v2, v3, 21, v2
                                        ; implicit-def: $vgpr3
	v_add_nc_u32_e32 v2, 0x38000000, v2
.LBB6_6918:                             ;   in Loop: Header=BB6_5133 Depth=2
	s_and_not1_saveexec_b32 s43, s43
; %bb.6919:                             ;   in Loop: Header=BB6_5133 Depth=2
	v_cmp_lt_i16_e32 vcc_lo, -1, v38
	v_cndmask_b32_e32 v2, 0xff800000, v44, vcc_lo
	v_cmp_eq_u32_e32 vcc_lo, 0, v3
	s_delay_alu instid0(VALU_DEP_2)
	v_cndmask_b32_e32 v2, 0x7f800001, v2, vcc_lo
; %bb.6920:                             ;   in Loop: Header=BB6_5133 Depth=2
	s_or_b32 exec_lo, exec_lo, s43
.LBB6_6921:                             ;   in Loop: Header=BB6_5133 Depth=2
	s_delay_alu instid0(SALU_CYCLE_1)
	s_or_b32 exec_lo, exec_lo, s42
.LBB6_6922:                             ;   in Loop: Header=BB6_5133 Depth=2
	s_delay_alu instid0(SALU_CYCLE_1) | instskip(NEXT) | instid1(VALU_DEP_1)
	s_or_b32 exec_lo, exec_lo, s11
	v_dual_max_num_f32 v2, v2, v2 :: v_dual_max_num_f32 v1, v1, v1
	s_mov_b32 s11, 0
	s_delay_alu instid0(VALU_DEP_1)
	v_max_num_f32_e32 v1, v1, v2
.LBB6_6923:                             ;   in Loop: Header=BB6_5133 Depth=2
	s_and_b32 vcc_lo, exec_lo, s11
	s_cbranch_vccz .LBB6_6945
; %bb.6924:                             ;   in Loop: Header=BB6_5133 Depth=2
	v_dual_mov_b32 v2, 0 :: v_dual_mov_b32 v1, 0
	s_and_saveexec_b32 s11, s10
	s_cbranch_execz .LBB6_6934
; %bb.6925:                             ;   in Loop: Header=BB6_5133 Depth=2
	v_bfrev_b32_e32 v1, 1
	s_mov_b32 s10, exec_lo
	v_cmpx_ne_u16_e32 0xff80, v48
	s_cbranch_execz .LBB6_6933
; %bb.6926:                             ;   in Loop: Header=BB6_5133 Depth=2
	v_and_b32_e32 v1, 0x7c, v0
	v_and_b32_e32 v3, 3, v0
	s_delay_alu instid0(VALU_DEP_2) | instskip(SKIP_1) | instid1(SALU_CYCLE_1)
	v_cmp_ne_u32_e32 vcc_lo, 0x7c, v1
                                        ; implicit-def: $vgpr1
	s_and_saveexec_b32 s42, vcc_lo
	s_xor_b32 s42, exec_lo, s42
	s_cbranch_execz .LBB6_6930
; %bb.6927:                             ;   in Loop: Header=BB6_5133 Depth=2
	v_bfe_u32 v0, v0, 2, 5
	s_mov_b32 s43, exec_lo
	s_delay_alu instid0(VALU_DEP_1)
	v_cmpx_eq_u32_e32 0, v0
	s_cbranch_execz .LBB6_6929
; %bb.6928:                             ;   in Loop: Header=BB6_5133 Depth=2
	v_clz_i32_u32_e32 v0, v3
	s_delay_alu instid0(VALU_DEP_1) | instskip(SKIP_1) | instid1(VALU_DEP_2)
	v_min_u32_e32 v0, 32, v0
	v_mov_b32_e32 v49, v25
	v_subrev_nc_u32_e32 v1, 29, v0
	v_sub_nc_u32_e32 v0, 30, v0
	s_delay_alu instid0(VALU_DEP_2) | instskip(NEXT) | instid1(VALU_DEP_1)
	v_lshlrev_b64_e32 v[68:69], v1, v[48:49]
	v_and_b32_e32 v3, 3, v68
.LBB6_6929:                             ;   in Loop: Header=BB6_5133 Depth=2
	s_or_b32 exec_lo, exec_lo, s43
	v_bfe_i32 v1, v48, 0, 16
                                        ; implicit-def: $vgpr48
	s_delay_alu instid0(VALU_DEP_1) | instskip(NEXT) | instid1(VALU_DEP_1)
	v_and_b32_e32 v1, 0x80000000, v1
	v_lshl_add_u32 v0, v0, 23, v1
	s_delay_alu instid0(VALU_DEP_1) | instskip(NEXT) | instid1(VALU_DEP_1)
	v_lshl_or_b32 v0, v3, 21, v0
                                        ; implicit-def: $vgpr3
	v_add_nc_u32_e32 v1, 0x38000000, v0
.LBB6_6930:                             ;   in Loop: Header=BB6_5133 Depth=2
	s_and_not1_saveexec_b32 s42, s42
; %bb.6931:                             ;   in Loop: Header=BB6_5133 Depth=2
	v_cmp_lt_i16_e32 vcc_lo, -1, v48
	v_cndmask_b32_e32 v0, 0xff800000, v44, vcc_lo
	v_cmp_eq_u32_e32 vcc_lo, 0, v3
	s_delay_alu instid0(VALU_DEP_2)
	v_cndmask_b32_e32 v1, 0x7f800001, v0, vcc_lo
; %bb.6932:                             ;   in Loop: Header=BB6_5133 Depth=2
	s_or_b32 exec_lo, exec_lo, s42
.LBB6_6933:                             ;   in Loop: Header=BB6_5133 Depth=2
	s_delay_alu instid0(SALU_CYCLE_1)
	s_or_b32 exec_lo, exec_lo, s10
.LBB6_6934:                             ;   in Loop: Header=BB6_5133 Depth=2
	s_delay_alu instid0(SALU_CYCLE_1) | instskip(NEXT) | instid1(SALU_CYCLE_1)
	s_or_b32 exec_lo, exec_lo, s11
	s_mov_b32 s10, exec_lo
	v_cmpx_ne_u16_e32 0, v38
	s_cbranch_execz .LBB6_6944
; %bb.6935:                             ;   in Loop: Header=BB6_5133 Depth=2
	v_bfrev_b32_e32 v2, 1
	s_mov_b32 s11, exec_lo
	v_cmpx_ne_u16_e32 0xff80, v38
	s_cbranch_execz .LBB6_6943
; %bb.6936:                             ;   in Loop: Header=BB6_5133 Depth=2
	v_and_b32_e32 v2, 0x7c, v38
	v_and_b32_e32 v0, 3, v38
	s_delay_alu instid0(VALU_DEP_2) | instskip(SKIP_1) | instid1(SALU_CYCLE_1)
	v_cmp_ne_u32_e32 vcc_lo, 0x7c, v2
                                        ; implicit-def: $vgpr2
	s_and_saveexec_b32 s42, vcc_lo
	s_xor_b32 s42, exec_lo, s42
	s_cbranch_execz .LBB6_6940
; %bb.6937:                             ;   in Loop: Header=BB6_5133 Depth=2
	v_and_b32_e32 v2, 0xff, v38
	s_mov_b32 s43, exec_lo
	s_delay_alu instid0(VALU_DEP_1) | instskip(NEXT) | instid1(VALU_DEP_1)
	v_bfe_u32 v2, v2, 2, 5
	v_cmpx_eq_u32_e32 0, v2
	s_cbranch_execz .LBB6_6939
; %bb.6938:                             ;   in Loop: Header=BB6_5133 Depth=2
	v_clz_i32_u32_e32 v0, v0
	s_delay_alu instid0(VALU_DEP_1) | instskip(SKIP_1) | instid1(VALU_DEP_2)
	v_min_u32_e32 v0, 32, v0
	v_mov_b32_e32 v39, v25
	v_subrev_nc_u32_e32 v2, 29, v0
	s_delay_alu instid0(VALU_DEP_1) | instskip(SKIP_1) | instid1(VALU_DEP_2)
	v_lshlrev_b64_e32 v[48:49], v2, v[38:39]
	v_sub_nc_u32_e32 v2, 30, v0
	v_and_b32_e32 v0, 3, v48
.LBB6_6939:                             ;   in Loop: Header=BB6_5133 Depth=2
	s_or_b32 exec_lo, exec_lo, s43
	v_bfe_i32 v3, v38, 0, 16
                                        ; implicit-def: $vgpr38
	s_delay_alu instid0(VALU_DEP_1) | instskip(NEXT) | instid1(VALU_DEP_1)
	v_and_b32_e32 v3, 0x80000000, v3
	v_lshl_add_u32 v2, v2, 23, v3
	s_delay_alu instid0(VALU_DEP_1) | instskip(NEXT) | instid1(VALU_DEP_1)
	v_lshl_or_b32 v0, v0, 21, v2
	v_add_nc_u32_e32 v2, 0x38000000, v0
                                        ; implicit-def: $vgpr0
.LBB6_6940:                             ;   in Loop: Header=BB6_5133 Depth=2
	s_and_not1_saveexec_b32 s42, s42
; %bb.6941:                             ;   in Loop: Header=BB6_5133 Depth=2
	v_cmp_lt_i16_e32 vcc_lo, -1, v38
	v_cndmask_b32_e32 v2, 0xff800000, v44, vcc_lo
	v_cmp_eq_u32_e32 vcc_lo, 0, v0
	s_delay_alu instid0(VALU_DEP_2)
	v_cndmask_b32_e32 v2, 0x7f800001, v2, vcc_lo
; %bb.6942:                             ;   in Loop: Header=BB6_5133 Depth=2
	s_or_b32 exec_lo, exec_lo, s42
.LBB6_6943:                             ;   in Loop: Header=BB6_5133 Depth=2
	s_delay_alu instid0(SALU_CYCLE_1)
	s_or_b32 exec_lo, exec_lo, s11
.LBB6_6944:                             ;   in Loop: Header=BB6_5133 Depth=2
	s_delay_alu instid0(SALU_CYCLE_1) | instskip(NEXT) | instid1(VALU_DEP_1)
	s_or_b32 exec_lo, exec_lo, s10
	v_dual_max_num_f32 v0, v2, v2 :: v_dual_max_num_f32 v1, v1, v1
	s_delay_alu instid0(VALU_DEP_1)
	v_min_num_f32_e32 v1, v1, v0
.LBB6_6945:                             ;   in Loop: Header=BB6_5133 Depth=2
	s_delay_alu instid0(VALU_DEP_1) | instskip(SKIP_3) | instid1(VALU_DEP_2)
	v_and_b32_e32 v2, 0x7f800000, v1
	v_mov_b32_e32 v3, v25
	v_and_b32_e32 v24, 0x7fffff, v1
                                        ; implicit-def: $vgpr38
	s_mov_b32 s10, exec_lo
	v_cmpx_ne_u64_e32 0x7f800000, v[2:3]
	s_xor_b32 s11, exec_lo, s10
	s_cbranch_execz .LBB6_6963
; %bb.6946:                             ;   in Loop: Header=BB6_5133 Depth=2
	v_dual_mov_b32 v3, v25 :: v_dual_lshrrev_b32 v0, 24, v1
	v_and_b32_e32 v2, 0x7fffffff, v1
                                        ; implicit-def: $vgpr38
	s_mov_b32 s10, exec_lo
	s_delay_alu instid0(VALU_DEP_2) | instskip(NEXT) | instid1(VALU_DEP_2)
	v_and_b32_e32 v23, 0x80, v0
	v_cmpx_gt_u64_e32 0x47600001, v[2:3]
	s_xor_b32 s42, exec_lo, s10
	s_cbranch_execz .LBB6_6960
; %bb.6947:                             ;   in Loop: Header=BB6_5133 Depth=2
	v_mov_b32_e32 v38, 0
	s_mov_b32 s43, exec_lo
	v_cmpx_ne_u32_e32 0, v1
	s_cbranch_execz .LBB6_6959
; %bb.6948:                             ;   in Loop: Header=BB6_5133 Depth=2
	v_bfe_u32 v27, v1, 23, 8
	v_or_b32_e32 v2, 0x800000, v24
	s_delay_alu instid0(VALU_DEP_2) | instskip(SKIP_1) | instid1(VALU_DEP_2)
	v_sub_nc_u32_e32 v0, 0x71, v27
	v_cmp_gt_u32_e32 vcc_lo, 0x72, v27
	v_cndmask_b32_e32 v0, 0, v0, vcc_lo
	v_cmp_eq_u32_e32 vcc_lo, 0, v27
	s_delay_alu instid0(VALU_DEP_2) | instskip(NEXT) | instid1(VALU_DEP_1)
	v_cndmask_b32_e64 v33, v0, 0x70, vcc_lo
	v_dual_cndmask_b32 v24, v2, v24, vcc_lo :: v_dual_add_nc_u32 v0, 21, v33
	v_add_nc_u32_e32 v3, 20, v33
	s_delay_alu instid0(VALU_DEP_2) | instskip(NEXT) | instid1(VALU_DEP_2)
	v_lshlrev_b64_e64 v[0:1], v0, -1
	v_lshlrev_b64_e64 v[2:3], v3, 1
	s_delay_alu instid0(VALU_DEP_2) | instskip(NEXT) | instid1(VALU_DEP_3)
	v_bfi_b32 v39, v1, 0, 0
	v_bfi_b32 v38, v0, 0, v24
	v_lshrrev_b64 v[0:1], v33, v[24:25]
	s_delay_alu instid0(VALU_DEP_2) | instskip(NEXT) | instid1(VALU_DEP_2)
	v_cmp_eq_u64_e64 s10, v[38:39], v[2:3]
	v_mov_b64_e32 v[2:3], v[0:1]
	s_and_saveexec_b32 s44, s10
; %bb.6949:                             ;   in Loop: Header=BB6_5133 Depth=2
	v_bfe_u32 v24, v0, 21, 1
	s_delay_alu instid0(VALU_DEP_1) | instskip(NEXT) | instid1(VALU_DEP_1)
	v_add_nc_u64_e32 v[2:3], v[0:1], v[24:25]
	v_add_nc_u64_e32 v[2:3], -1, v[2:3]
; %bb.6950:                             ;   in Loop: Header=BB6_5133 Depth=2
	s_or_b32 exec_lo, exec_lo, s44
	v_add_nc_u32_e32 v1, 0xffffff81, v27
	v_lshrrev_b32_e32 v3, 23, v0
	s_mov_b32 s10, exec_lo
	s_delay_alu instid0(VALU_DEP_2) | instskip(NEXT) | instid1(VALU_DEP_1)
	v_cndmask_b32_e64 v1, v1, 0xffffff82, vcc_lo
	v_add3_u32 v3, v33, v1, v3
	v_and_b32_e32 v1, 0x1fffff, v2
                                        ; implicit-def: $vgpr2
	s_delay_alu instid0(VALU_DEP_1) | instskip(NEXT) | instid1(VALU_DEP_1)
	v_dual_add_nc_u32 v27, 14, v3 :: v_dual_add_nc_u32 v24, v1, v0
                                        ; implicit-def: $vgpr0_vgpr1
	v_cmpx_ne_u32_e32 0, v27
	s_xor_b32 s10, exec_lo, s10
; %bb.6951:                             ;   in Loop: Header=BB6_5133 Depth=2
	s_delay_alu instid0(VALU_DEP_2) | instskip(SKIP_1) | instid1(VALU_DEP_1)
	v_cmp_lt_u64_e32 vcc_lo, 0xffffff, v[24:25]
	v_add_nc_u32_e32 v0, 15, v3
	v_cndmask_b32_e32 v2, v27, v0, vcc_lo
	v_cndmask_b32_e64 v0, 0, 1, vcc_lo
	s_delay_alu instid0(VALU_DEP_1)
	v_lshrrev_b64 v[0:1], v0, v[24:25]
; %bb.6952:                             ;   in Loop: Header=BB6_5133 Depth=2
	s_and_not1_saveexec_b32 s10, s10
; %bb.6953:                             ;   in Loop: Header=BB6_5133 Depth=2
	v_mov_b64_e32 v[0:1], v[24:25]
	v_bfe_u32 v2, v24, 23, 1
; %bb.6954:                             ;   in Loop: Header=BB6_5133 Depth=2
	s_or_b32 exec_lo, exec_lo, s10
	s_delay_alu instid0(VALU_DEP_2) | instskip(NEXT) | instid1(VALU_DEP_2)
	v_lshrrev_b64 v[0:1], 21, v[0:1]
	v_cmp_gt_i32_e32 vcc_lo, 32, v2
	v_cmp_ne_u32_e64 s10, 0, v2
                                        ; implicit-def: $vgpr38
	s_delay_alu instid0(VALU_DEP_3) | instskip(NEXT) | instid1(VALU_DEP_1)
	v_dual_cndmask_b32 v1, 0, v1 :: v_dual_cndmask_b32 v0, 3, v0
	v_cmp_ne_u64_e32 vcc_lo, 0, v[0:1]
	s_or_b32 s10, s10, vcc_lo
	s_delay_alu instid0(SALU_CYCLE_1) | instskip(NEXT) | instid1(SALU_CYCLE_1)
	s_and_saveexec_b32 s44, s10
	s_xor_b32 s10, exec_lo, s44
; %bb.6955:                             ;   in Loop: Header=BB6_5133 Depth=2
	v_min_i32_e32 v1, 31, v2
	s_delay_alu instid0(VALU_DEP_1) | instskip(NEXT) | instid1(VALU_DEP_1)
	v_lshl_or_b32 v1, v1, 2, v23
                                        ; implicit-def: $vgpr23
	v_and_or_b32 v38, v0, 3, v1
; %bb.6956:                             ;   in Loop: Header=BB6_5133 Depth=2
	s_and_not1_saveexec_b32 s10, s10
; %bb.6957:                             ;   in Loop: Header=BB6_5133 Depth=2
	v_mov_b32_e32 v38, v23
; %bb.6958:                             ;   in Loop: Header=BB6_5133 Depth=2
	s_or_b32 exec_lo, exec_lo, s10
.LBB6_6959:                             ;   in Loop: Header=BB6_5133 Depth=2
	s_delay_alu instid0(SALU_CYCLE_1)
	s_or_b32 exec_lo, exec_lo, s43
                                        ; implicit-def: $vgpr23
.LBB6_6960:                             ;   in Loop: Header=BB6_5133 Depth=2
	s_and_not1_saveexec_b32 s10, s42
; %bb.6961:                             ;   in Loop: Header=BB6_5133 Depth=2
	v_or_b32_e32 v38, 0x7b, v23
; %bb.6962:                             ;   in Loop: Header=BB6_5133 Depth=2
	s_or_b32 exec_lo, exec_lo, s10
                                        ; implicit-def: $vgpr1
.LBB6_6963:                             ;   in Loop: Header=BB6_5133 Depth=2
	s_and_not1_saveexec_b32 s10, s11
	s_cbranch_execz .LBB6_6969
; %bb.6964:                             ;   in Loop: Header=BB6_5133 Depth=2
	s_mov_b32 s11, exec_lo
                                        ; implicit-def: $vgpr38
	v_cmpx_ne_u64_e32 0, v[24:25]
	s_xor_b32 s11, exec_lo, s11
; %bb.6965:                             ;   in Loop: Header=BB6_5133 Depth=2
	v_lshrrev_b32_e32 v0, 24, v1
                                        ; implicit-def: $vgpr1
	s_delay_alu instid0(VALU_DEP_1)
	v_or_b32_e32 v38, 0x7f, v0
; %bb.6966:                             ;   in Loop: Header=BB6_5133 Depth=2
	s_and_not1_saveexec_b32 s11, s11
; %bb.6967:                             ;   in Loop: Header=BB6_5133 Depth=2
	v_cmp_lt_i32_e32 vcc_lo, -1, v1
	v_cndmask_b32_e64 v38, -4, 0x7c, vcc_lo
; %bb.6968:                             ;   in Loop: Header=BB6_5133 Depth=2
	s_or_b32 exec_lo, exec_lo, s11
.LBB6_6969:                             ;   in Loop: Header=BB6_5133 Depth=2
	s_delay_alu instid0(SALU_CYCLE_1)
	s_or_b32 exec_lo, exec_lo, s10
	v_and_b32_e32 v0, 0xff, v88
	v_cmp_ne_u16_e64 s10, 0, v88
	s_and_not1_b32 vcc_lo, exec_lo, s15
	s_mov_b32 s11, -1
                                        ; implicit-def: $vgpr1
	s_cbranch_vccnz .LBB6_6991
; %bb.6970:                             ;   in Loop: Header=BB6_5133 Depth=2
	v_dual_mov_b32 v2, 0 :: v_dual_mov_b32 v1, 0
	s_and_saveexec_b32 s11, s10
	s_cbranch_execz .LBB6_6980
; %bb.6971:                             ;   in Loop: Header=BB6_5133 Depth=2
	v_bfrev_b32_e32 v1, 1
	s_mov_b32 s42, exec_lo
	v_cmpx_ne_u16_e32 0xff80, v88
	s_cbranch_execz .LBB6_6979
; %bb.6972:                             ;   in Loop: Header=BB6_5133 Depth=2
	v_and_b32_e32 v1, 0x7c, v0
	v_and_b32_e32 v3, 3, v0
	s_delay_alu instid0(VALU_DEP_2) | instskip(SKIP_1) | instid1(SALU_CYCLE_1)
	v_cmp_ne_u32_e32 vcc_lo, 0x7c, v1
                                        ; implicit-def: $vgpr1
	s_and_saveexec_b32 s43, vcc_lo
	s_xor_b32 s43, exec_lo, s43
	s_cbranch_execz .LBB6_6976
; %bb.6973:                             ;   in Loop: Header=BB6_5133 Depth=2
	v_bfe_u32 v1, v0, 2, 5
	s_mov_b32 s44, exec_lo
	s_delay_alu instid0(VALU_DEP_1)
	v_cmpx_eq_u32_e32 0, v1
	s_cbranch_execz .LBB6_6975
; %bb.6974:                             ;   in Loop: Header=BB6_5133 Depth=2
	v_clz_i32_u32_e32 v1, v3
	s_delay_alu instid0(VALU_DEP_1) | instskip(SKIP_1) | instid1(VALU_DEP_2)
	v_min_u32_e32 v1, 32, v1
	v_mov_b32_e32 v89, v25
	v_subrev_nc_u32_e32 v3, 29, v1
	v_sub_nc_u32_e32 v1, 30, v1
	s_delay_alu instid0(VALU_DEP_2) | instskip(NEXT) | instid1(VALU_DEP_1)
	v_lshlrev_b64_e32 v[48:49], v3, v[88:89]
	v_and_b32_e32 v3, 3, v48
.LBB6_6975:                             ;   in Loop: Header=BB6_5133 Depth=2
	s_or_b32 exec_lo, exec_lo, s44
	v_bfe_i32 v23, v88, 0, 16
	s_delay_alu instid0(VALU_DEP_1) | instskip(NEXT) | instid1(VALU_DEP_1)
	v_and_b32_e32 v23, 0x80000000, v23
	v_lshl_add_u32 v1, v1, 23, v23
	s_delay_alu instid0(VALU_DEP_1) | instskip(NEXT) | instid1(VALU_DEP_1)
	v_lshl_or_b32 v1, v3, 21, v1
                                        ; implicit-def: $vgpr3
	v_add_nc_u32_e32 v1, 0x38000000, v1
.LBB6_6976:                             ;   in Loop: Header=BB6_5133 Depth=2
	s_and_not1_saveexec_b32 s43, s43
; %bb.6977:                             ;   in Loop: Header=BB6_5133 Depth=2
	v_cmp_lt_i16_e32 vcc_lo, -1, v88
	v_cndmask_b32_e32 v1, 0xff800000, v44, vcc_lo
	v_cmp_eq_u32_e32 vcc_lo, 0, v3
	s_delay_alu instid0(VALU_DEP_2)
	v_cndmask_b32_e32 v1, 0x7f800001, v1, vcc_lo
; %bb.6978:                             ;   in Loop: Header=BB6_5133 Depth=2
	s_or_b32 exec_lo, exec_lo, s43
.LBB6_6979:                             ;   in Loop: Header=BB6_5133 Depth=2
	s_delay_alu instid0(SALU_CYCLE_1)
	s_or_b32 exec_lo, exec_lo, s42
.LBB6_6980:                             ;   in Loop: Header=BB6_5133 Depth=2
	s_delay_alu instid0(SALU_CYCLE_1) | instskip(NEXT) | instid1(SALU_CYCLE_1)
	s_or_b32 exec_lo, exec_lo, s11
	s_mov_b32 s11, exec_lo
	v_cmpx_ne_u16_e32 0, v34
	s_cbranch_execz .LBB6_6990
; %bb.6981:                             ;   in Loop: Header=BB6_5133 Depth=2
	v_bfrev_b32_e32 v2, 1
	s_mov_b32 s42, exec_lo
	v_cmpx_ne_u16_e32 0xff80, v34
	s_cbranch_execz .LBB6_6989
; %bb.6982:                             ;   in Loop: Header=BB6_5133 Depth=2
	v_and_b32_e32 v2, 0x7c, v34
	v_and_b32_e32 v3, 3, v34
	s_delay_alu instid0(VALU_DEP_2) | instskip(SKIP_1) | instid1(SALU_CYCLE_1)
	v_cmp_ne_u32_e32 vcc_lo, 0x7c, v2
                                        ; implicit-def: $vgpr2
	s_and_saveexec_b32 s43, vcc_lo
	s_xor_b32 s43, exec_lo, s43
	s_cbranch_execz .LBB6_6986
; %bb.6983:                             ;   in Loop: Header=BB6_5133 Depth=2
	v_and_b32_e32 v2, 0xff, v34
	s_mov_b32 s44, exec_lo
	s_delay_alu instid0(VALU_DEP_1) | instskip(NEXT) | instid1(VALU_DEP_1)
	v_bfe_u32 v2, v2, 2, 5
	v_cmpx_eq_u32_e32 0, v2
	s_cbranch_execz .LBB6_6985
; %bb.6984:                             ;   in Loop: Header=BB6_5133 Depth=2
	v_clz_i32_u32_e32 v2, v3
	s_delay_alu instid0(VALU_DEP_1) | instskip(SKIP_1) | instid1(VALU_DEP_2)
	v_min_u32_e32 v2, 32, v2
	v_mov_b32_e32 v35, v25
	v_subrev_nc_u32_e32 v3, 29, v2
	v_sub_nc_u32_e32 v2, 30, v2
	s_delay_alu instid0(VALU_DEP_2) | instskip(NEXT) | instid1(VALU_DEP_1)
	v_lshlrev_b64_e32 v[48:49], v3, v[34:35]
	v_and_b32_e32 v3, 3, v48
.LBB6_6985:                             ;   in Loop: Header=BB6_5133 Depth=2
	s_or_b32 exec_lo, exec_lo, s44
	v_bfe_i32 v23, v34, 0, 16
	s_delay_alu instid0(VALU_DEP_1) | instskip(NEXT) | instid1(VALU_DEP_1)
	v_and_b32_e32 v23, 0x80000000, v23
	v_lshl_add_u32 v2, v2, 23, v23
	s_delay_alu instid0(VALU_DEP_1) | instskip(NEXT) | instid1(VALU_DEP_1)
	v_lshl_or_b32 v2, v3, 21, v2
                                        ; implicit-def: $vgpr3
	v_add_nc_u32_e32 v2, 0x38000000, v2
.LBB6_6986:                             ;   in Loop: Header=BB6_5133 Depth=2
	s_and_not1_saveexec_b32 s43, s43
; %bb.6987:                             ;   in Loop: Header=BB6_5133 Depth=2
	v_cmp_lt_i16_e32 vcc_lo, -1, v34
	v_cndmask_b32_e32 v2, 0xff800000, v44, vcc_lo
	v_cmp_eq_u32_e32 vcc_lo, 0, v3
	s_delay_alu instid0(VALU_DEP_2)
	v_cndmask_b32_e32 v2, 0x7f800001, v2, vcc_lo
; %bb.6988:                             ;   in Loop: Header=BB6_5133 Depth=2
	s_or_b32 exec_lo, exec_lo, s43
.LBB6_6989:                             ;   in Loop: Header=BB6_5133 Depth=2
	s_delay_alu instid0(SALU_CYCLE_1)
	s_or_b32 exec_lo, exec_lo, s42
.LBB6_6990:                             ;   in Loop: Header=BB6_5133 Depth=2
	s_delay_alu instid0(SALU_CYCLE_1) | instskip(NEXT) | instid1(VALU_DEP_1)
	s_or_b32 exec_lo, exec_lo, s11
	v_dual_max_num_f32 v2, v2, v2 :: v_dual_max_num_f32 v1, v1, v1
	s_mov_b32 s11, 0
	s_delay_alu instid0(VALU_DEP_1)
	v_max_num_f32_e32 v1, v1, v2
.LBB6_6991:                             ;   in Loop: Header=BB6_5133 Depth=2
	s_and_b32 vcc_lo, exec_lo, s11
	s_cbranch_vccz .LBB6_7013
; %bb.6992:                             ;   in Loop: Header=BB6_5133 Depth=2
	v_dual_mov_b32 v2, 0 :: v_dual_mov_b32 v1, 0
	s_and_saveexec_b32 s11, s10
	s_cbranch_execz .LBB6_7002
; %bb.6993:                             ;   in Loop: Header=BB6_5133 Depth=2
	v_bfrev_b32_e32 v1, 1
	s_mov_b32 s10, exec_lo
	v_cmpx_ne_u16_e32 0xff80, v88
	s_cbranch_execz .LBB6_7001
; %bb.6994:                             ;   in Loop: Header=BB6_5133 Depth=2
	v_and_b32_e32 v1, 0x7c, v0
	v_and_b32_e32 v3, 3, v0
	s_delay_alu instid0(VALU_DEP_2) | instskip(SKIP_1) | instid1(SALU_CYCLE_1)
	v_cmp_ne_u32_e32 vcc_lo, 0x7c, v1
                                        ; implicit-def: $vgpr1
	s_and_saveexec_b32 s42, vcc_lo
	s_xor_b32 s42, exec_lo, s42
	s_cbranch_execz .LBB6_6998
; %bb.6995:                             ;   in Loop: Header=BB6_5133 Depth=2
	v_bfe_u32 v0, v0, 2, 5
	s_mov_b32 s43, exec_lo
	s_delay_alu instid0(VALU_DEP_1)
	v_cmpx_eq_u32_e32 0, v0
	s_cbranch_execz .LBB6_6997
; %bb.6996:                             ;   in Loop: Header=BB6_5133 Depth=2
	v_clz_i32_u32_e32 v0, v3
	s_delay_alu instid0(VALU_DEP_1) | instskip(SKIP_1) | instid1(VALU_DEP_2)
	v_min_u32_e32 v0, 32, v0
	v_mov_b32_e32 v89, v25
	v_subrev_nc_u32_e32 v1, 29, v0
	v_sub_nc_u32_e32 v0, 30, v0
	s_delay_alu instid0(VALU_DEP_2) | instskip(NEXT) | instid1(VALU_DEP_1)
	v_lshlrev_b64_e32 v[48:49], v1, v[88:89]
	v_and_b32_e32 v3, 3, v48
.LBB6_6997:                             ;   in Loop: Header=BB6_5133 Depth=2
	s_or_b32 exec_lo, exec_lo, s43
	v_bfe_i32 v1, v88, 0, 16
                                        ; implicit-def: $vgpr88
	s_delay_alu instid0(VALU_DEP_1) | instskip(NEXT) | instid1(VALU_DEP_1)
	v_and_b32_e32 v1, 0x80000000, v1
	v_lshl_add_u32 v0, v0, 23, v1
	s_delay_alu instid0(VALU_DEP_1) | instskip(NEXT) | instid1(VALU_DEP_1)
	v_lshl_or_b32 v0, v3, 21, v0
                                        ; implicit-def: $vgpr3
	v_add_nc_u32_e32 v1, 0x38000000, v0
.LBB6_6998:                             ;   in Loop: Header=BB6_5133 Depth=2
	s_and_not1_saveexec_b32 s42, s42
; %bb.6999:                             ;   in Loop: Header=BB6_5133 Depth=2
	v_cmp_lt_i16_e32 vcc_lo, -1, v88
	v_cndmask_b32_e32 v0, 0xff800000, v44, vcc_lo
	v_cmp_eq_u32_e32 vcc_lo, 0, v3
	s_delay_alu instid0(VALU_DEP_2)
	v_cndmask_b32_e32 v1, 0x7f800001, v0, vcc_lo
; %bb.7000:                             ;   in Loop: Header=BB6_5133 Depth=2
	s_or_b32 exec_lo, exec_lo, s42
.LBB6_7001:                             ;   in Loop: Header=BB6_5133 Depth=2
	s_delay_alu instid0(SALU_CYCLE_1)
	s_or_b32 exec_lo, exec_lo, s10
.LBB6_7002:                             ;   in Loop: Header=BB6_5133 Depth=2
	s_delay_alu instid0(SALU_CYCLE_1) | instskip(NEXT) | instid1(SALU_CYCLE_1)
	s_or_b32 exec_lo, exec_lo, s11
	s_mov_b32 s10, exec_lo
	v_cmpx_ne_u16_e32 0, v34
	s_cbranch_execz .LBB6_7012
; %bb.7003:                             ;   in Loop: Header=BB6_5133 Depth=2
	v_bfrev_b32_e32 v2, 1
	s_mov_b32 s11, exec_lo
	v_cmpx_ne_u16_e32 0xff80, v34
	s_cbranch_execz .LBB6_7011
; %bb.7004:                             ;   in Loop: Header=BB6_5133 Depth=2
	v_and_b32_e32 v2, 0x7c, v34
	v_and_b32_e32 v0, 3, v34
	s_delay_alu instid0(VALU_DEP_2) | instskip(SKIP_1) | instid1(SALU_CYCLE_1)
	v_cmp_ne_u32_e32 vcc_lo, 0x7c, v2
                                        ; implicit-def: $vgpr2
	s_and_saveexec_b32 s42, vcc_lo
	s_xor_b32 s42, exec_lo, s42
	s_cbranch_execz .LBB6_7008
; %bb.7005:                             ;   in Loop: Header=BB6_5133 Depth=2
	v_and_b32_e32 v2, 0xff, v34
	s_mov_b32 s43, exec_lo
	s_delay_alu instid0(VALU_DEP_1) | instskip(NEXT) | instid1(VALU_DEP_1)
	v_bfe_u32 v2, v2, 2, 5
	v_cmpx_eq_u32_e32 0, v2
	s_cbranch_execz .LBB6_7007
; %bb.7006:                             ;   in Loop: Header=BB6_5133 Depth=2
	v_clz_i32_u32_e32 v0, v0
	s_delay_alu instid0(VALU_DEP_1) | instskip(SKIP_1) | instid1(VALU_DEP_2)
	v_min_u32_e32 v0, 32, v0
	v_mov_b32_e32 v35, v25
	v_subrev_nc_u32_e32 v2, 29, v0
	s_delay_alu instid0(VALU_DEP_1) | instskip(SKIP_1) | instid1(VALU_DEP_2)
	v_lshlrev_b64_e32 v[36:37], v2, v[34:35]
	v_sub_nc_u32_e32 v2, 30, v0
	v_and_b32_e32 v0, 3, v36
.LBB6_7007:                             ;   in Loop: Header=BB6_5133 Depth=2
	s_or_b32 exec_lo, exec_lo, s43
	v_bfe_i32 v3, v34, 0, 16
                                        ; implicit-def: $vgpr34
	s_delay_alu instid0(VALU_DEP_1) | instskip(NEXT) | instid1(VALU_DEP_1)
	v_and_b32_e32 v3, 0x80000000, v3
	v_lshl_add_u32 v2, v2, 23, v3
	s_delay_alu instid0(VALU_DEP_1) | instskip(NEXT) | instid1(VALU_DEP_1)
	v_lshl_or_b32 v0, v0, 21, v2
	v_add_nc_u32_e32 v2, 0x38000000, v0
                                        ; implicit-def: $vgpr0
.LBB6_7008:                             ;   in Loop: Header=BB6_5133 Depth=2
	s_and_not1_saveexec_b32 s42, s42
; %bb.7009:                             ;   in Loop: Header=BB6_5133 Depth=2
	v_cmp_lt_i16_e32 vcc_lo, -1, v34
	v_cndmask_b32_e32 v2, 0xff800000, v44, vcc_lo
	v_cmp_eq_u32_e32 vcc_lo, 0, v0
	s_delay_alu instid0(VALU_DEP_2)
	v_cndmask_b32_e32 v2, 0x7f800001, v2, vcc_lo
; %bb.7010:                             ;   in Loop: Header=BB6_5133 Depth=2
	s_or_b32 exec_lo, exec_lo, s42
.LBB6_7011:                             ;   in Loop: Header=BB6_5133 Depth=2
	s_delay_alu instid0(SALU_CYCLE_1)
	s_or_b32 exec_lo, exec_lo, s11
.LBB6_7012:                             ;   in Loop: Header=BB6_5133 Depth=2
	s_delay_alu instid0(SALU_CYCLE_1) | instskip(NEXT) | instid1(VALU_DEP_1)
	s_or_b32 exec_lo, exec_lo, s10
	v_dual_max_num_f32 v0, v2, v2 :: v_dual_max_num_f32 v1, v1, v1
	s_delay_alu instid0(VALU_DEP_1)
	v_min_num_f32_e32 v1, v1, v0
.LBB6_7013:                             ;   in Loop: Header=BB6_5133 Depth=2
	s_delay_alu instid0(VALU_DEP_1) | instskip(SKIP_3) | instid1(VALU_DEP_2)
	v_and_b32_e32 v2, 0x7f800000, v1
	v_mov_b32_e32 v3, v25
	v_and_b32_e32 v24, 0x7fffff, v1
                                        ; implicit-def: $vgpr34
	s_mov_b32 s10, exec_lo
	v_cmpx_ne_u64_e32 0x7f800000, v[2:3]
	s_xor_b32 s11, exec_lo, s10
	s_cbranch_execz .LBB6_7031
; %bb.7014:                             ;   in Loop: Header=BB6_5133 Depth=2
	v_dual_mov_b32 v3, v25 :: v_dual_lshrrev_b32 v0, 24, v1
	v_and_b32_e32 v2, 0x7fffffff, v1
                                        ; implicit-def: $vgpr34
	s_mov_b32 s10, exec_lo
	s_delay_alu instid0(VALU_DEP_2) | instskip(NEXT) | instid1(VALU_DEP_2)
	v_and_b32_e32 v23, 0x80, v0
	v_cmpx_gt_u64_e32 0x47600001, v[2:3]
	s_xor_b32 s42, exec_lo, s10
	s_cbranch_execz .LBB6_7028
; %bb.7015:                             ;   in Loop: Header=BB6_5133 Depth=2
	v_mov_b32_e32 v34, 0
	s_mov_b32 s43, exec_lo
	v_cmpx_ne_u32_e32 0, v1
	s_cbranch_execz .LBB6_7027
; %bb.7016:                             ;   in Loop: Header=BB6_5133 Depth=2
	v_bfe_u32 v27, v1, 23, 8
	v_or_b32_e32 v2, 0x800000, v24
	s_delay_alu instid0(VALU_DEP_2) | instskip(SKIP_1) | instid1(VALU_DEP_2)
	v_sub_nc_u32_e32 v0, 0x71, v27
	v_cmp_gt_u32_e32 vcc_lo, 0x72, v27
	v_cndmask_b32_e32 v0, 0, v0, vcc_lo
	v_cmp_eq_u32_e32 vcc_lo, 0, v27
	s_delay_alu instid0(VALU_DEP_2) | instskip(NEXT) | instid1(VALU_DEP_1)
	v_cndmask_b32_e64 v33, v0, 0x70, vcc_lo
	v_dual_cndmask_b32 v24, v2, v24, vcc_lo :: v_dual_add_nc_u32 v0, 21, v33
	v_add_nc_u32_e32 v3, 20, v33
	s_delay_alu instid0(VALU_DEP_2) | instskip(NEXT) | instid1(VALU_DEP_2)
	v_lshlrev_b64_e64 v[0:1], v0, -1
	v_lshlrev_b64_e64 v[2:3], v3, 1
	s_delay_alu instid0(VALU_DEP_2) | instskip(NEXT) | instid1(VALU_DEP_3)
	v_bfi_b32 v35, v1, 0, 0
	v_bfi_b32 v34, v0, 0, v24
	v_lshrrev_b64 v[0:1], v33, v[24:25]
	s_delay_alu instid0(VALU_DEP_2) | instskip(NEXT) | instid1(VALU_DEP_2)
	v_cmp_eq_u64_e64 s10, v[34:35], v[2:3]
	v_mov_b64_e32 v[2:3], v[0:1]
	s_and_saveexec_b32 s44, s10
; %bb.7017:                             ;   in Loop: Header=BB6_5133 Depth=2
	v_bfe_u32 v24, v0, 21, 1
	s_delay_alu instid0(VALU_DEP_1) | instskip(NEXT) | instid1(VALU_DEP_1)
	v_add_nc_u64_e32 v[2:3], v[0:1], v[24:25]
	v_add_nc_u64_e32 v[2:3], -1, v[2:3]
; %bb.7018:                             ;   in Loop: Header=BB6_5133 Depth=2
	s_or_b32 exec_lo, exec_lo, s44
	v_add_nc_u32_e32 v1, 0xffffff81, v27
	v_lshrrev_b32_e32 v3, 23, v0
	s_mov_b32 s10, exec_lo
	s_delay_alu instid0(VALU_DEP_2) | instskip(NEXT) | instid1(VALU_DEP_1)
	v_cndmask_b32_e64 v1, v1, 0xffffff82, vcc_lo
	v_add3_u32 v3, v33, v1, v3
	v_and_b32_e32 v1, 0x1fffff, v2
                                        ; implicit-def: $vgpr2
	s_delay_alu instid0(VALU_DEP_1) | instskip(NEXT) | instid1(VALU_DEP_1)
	v_dual_add_nc_u32 v27, 14, v3 :: v_dual_add_nc_u32 v24, v1, v0
                                        ; implicit-def: $vgpr0_vgpr1
	v_cmpx_ne_u32_e32 0, v27
	s_xor_b32 s10, exec_lo, s10
; %bb.7019:                             ;   in Loop: Header=BB6_5133 Depth=2
	s_delay_alu instid0(VALU_DEP_2) | instskip(SKIP_1) | instid1(VALU_DEP_1)
	v_cmp_lt_u64_e32 vcc_lo, 0xffffff, v[24:25]
	v_add_nc_u32_e32 v0, 15, v3
	v_cndmask_b32_e32 v2, v27, v0, vcc_lo
	v_cndmask_b32_e64 v0, 0, 1, vcc_lo
	s_delay_alu instid0(VALU_DEP_1)
	v_lshrrev_b64 v[0:1], v0, v[24:25]
; %bb.7020:                             ;   in Loop: Header=BB6_5133 Depth=2
	s_and_not1_saveexec_b32 s10, s10
; %bb.7021:                             ;   in Loop: Header=BB6_5133 Depth=2
	v_mov_b64_e32 v[0:1], v[24:25]
	v_bfe_u32 v2, v24, 23, 1
; %bb.7022:                             ;   in Loop: Header=BB6_5133 Depth=2
	s_or_b32 exec_lo, exec_lo, s10
	s_delay_alu instid0(VALU_DEP_2) | instskip(NEXT) | instid1(VALU_DEP_2)
	v_lshrrev_b64 v[0:1], 21, v[0:1]
	v_cmp_gt_i32_e32 vcc_lo, 32, v2
	v_cmp_ne_u32_e64 s10, 0, v2
                                        ; implicit-def: $vgpr34
	s_delay_alu instid0(VALU_DEP_3) | instskip(NEXT) | instid1(VALU_DEP_1)
	v_dual_cndmask_b32 v1, 0, v1 :: v_dual_cndmask_b32 v0, 3, v0
	v_cmp_ne_u64_e32 vcc_lo, 0, v[0:1]
	s_or_b32 s10, s10, vcc_lo
	s_delay_alu instid0(SALU_CYCLE_1) | instskip(NEXT) | instid1(SALU_CYCLE_1)
	s_and_saveexec_b32 s44, s10
	s_xor_b32 s10, exec_lo, s44
; %bb.7023:                             ;   in Loop: Header=BB6_5133 Depth=2
	v_min_i32_e32 v1, 31, v2
	s_delay_alu instid0(VALU_DEP_1) | instskip(NEXT) | instid1(VALU_DEP_1)
	v_lshl_or_b32 v1, v1, 2, v23
                                        ; implicit-def: $vgpr23
	v_and_or_b32 v34, v0, 3, v1
; %bb.7024:                             ;   in Loop: Header=BB6_5133 Depth=2
	s_and_not1_saveexec_b32 s10, s10
; %bb.7025:                             ;   in Loop: Header=BB6_5133 Depth=2
	v_mov_b32_e32 v34, v23
; %bb.7026:                             ;   in Loop: Header=BB6_5133 Depth=2
	s_or_b32 exec_lo, exec_lo, s10
.LBB6_7027:                             ;   in Loop: Header=BB6_5133 Depth=2
	s_delay_alu instid0(SALU_CYCLE_1)
	s_or_b32 exec_lo, exec_lo, s43
                                        ; implicit-def: $vgpr23
.LBB6_7028:                             ;   in Loop: Header=BB6_5133 Depth=2
	s_and_not1_saveexec_b32 s10, s42
; %bb.7029:                             ;   in Loop: Header=BB6_5133 Depth=2
	v_or_b32_e32 v34, 0x7b, v23
; %bb.7030:                             ;   in Loop: Header=BB6_5133 Depth=2
	s_or_b32 exec_lo, exec_lo, s10
                                        ; implicit-def: $vgpr1
.LBB6_7031:                             ;   in Loop: Header=BB6_5133 Depth=2
	s_and_not1_saveexec_b32 s10, s11
	s_cbranch_execz .LBB6_7037
; %bb.7032:                             ;   in Loop: Header=BB6_5133 Depth=2
	s_mov_b32 s11, exec_lo
                                        ; implicit-def: $vgpr34
	v_cmpx_ne_u64_e32 0, v[24:25]
	s_xor_b32 s11, exec_lo, s11
; %bb.7033:                             ;   in Loop: Header=BB6_5133 Depth=2
	v_lshrrev_b32_e32 v0, 24, v1
                                        ; implicit-def: $vgpr1
	s_delay_alu instid0(VALU_DEP_1)
	v_or_b32_e32 v34, 0x7f, v0
; %bb.7034:                             ;   in Loop: Header=BB6_5133 Depth=2
	s_and_not1_saveexec_b32 s11, s11
; %bb.7035:                             ;   in Loop: Header=BB6_5133 Depth=2
	v_cmp_lt_i32_e32 vcc_lo, -1, v1
	v_cndmask_b32_e64 v34, -4, 0x7c, vcc_lo
; %bb.7036:                             ;   in Loop: Header=BB6_5133 Depth=2
	s_or_b32 exec_lo, exec_lo, s11
.LBB6_7037:                             ;   in Loop: Header=BB6_5133 Depth=2
	s_delay_alu instid0(SALU_CYCLE_1)
	s_or_b32 exec_lo, exec_lo, s10
	v_and_b32_e32 v0, 0xff, v32
	v_cmp_ne_u16_e64 s10, 0, v32
	s_and_not1_b32 vcc_lo, exec_lo, s15
	s_mov_b32 s11, -1
                                        ; implicit-def: $vgpr1
	s_cbranch_vccnz .LBB6_7059
; %bb.7038:                             ;   in Loop: Header=BB6_5133 Depth=2
	v_dual_mov_b32 v2, 0 :: v_dual_mov_b32 v1, 0
	s_and_saveexec_b32 s11, s10
	s_cbranch_execz .LBB6_7048
; %bb.7039:                             ;   in Loop: Header=BB6_5133 Depth=2
	v_bfrev_b32_e32 v1, 1
	s_mov_b32 s42, exec_lo
	v_cmpx_ne_u16_e32 0xff80, v32
	s_cbranch_execz .LBB6_7047
; %bb.7040:                             ;   in Loop: Header=BB6_5133 Depth=2
	v_and_b32_e32 v1, 0x7c, v0
	v_and_b32_e32 v3, 3, v0
	s_delay_alu instid0(VALU_DEP_2) | instskip(SKIP_1) | instid1(SALU_CYCLE_1)
	v_cmp_ne_u32_e32 vcc_lo, 0x7c, v1
                                        ; implicit-def: $vgpr1
	s_and_saveexec_b32 s43, vcc_lo
	s_xor_b32 s43, exec_lo, s43
	s_cbranch_execz .LBB6_7044
; %bb.7041:                             ;   in Loop: Header=BB6_5133 Depth=2
	v_bfe_u32 v1, v0, 2, 5
	s_mov_b32 s44, exec_lo
	s_delay_alu instid0(VALU_DEP_1)
	v_cmpx_eq_u32_e32 0, v1
	s_cbranch_execz .LBB6_7043
; %bb.7042:                             ;   in Loop: Header=BB6_5133 Depth=2
	v_clz_i32_u32_e32 v1, v3
	s_delay_alu instid0(VALU_DEP_1) | instskip(SKIP_1) | instid1(VALU_DEP_2)
	v_min_u32_e32 v1, 32, v1
	v_mov_b32_e32 v33, v25
	v_subrev_nc_u32_e32 v3, 29, v1
	v_sub_nc_u32_e32 v1, 30, v1
	s_delay_alu instid0(VALU_DEP_2) | instskip(NEXT) | instid1(VALU_DEP_1)
	v_lshlrev_b64_e32 v[36:37], v3, v[32:33]
	v_and_b32_e32 v3, 3, v36
.LBB6_7043:                             ;   in Loop: Header=BB6_5133 Depth=2
	s_or_b32 exec_lo, exec_lo, s44
	v_bfe_i32 v23, v32, 0, 16
	s_delay_alu instid0(VALU_DEP_1) | instskip(NEXT) | instid1(VALU_DEP_1)
	v_and_b32_e32 v23, 0x80000000, v23
	v_lshl_add_u32 v1, v1, 23, v23
	s_delay_alu instid0(VALU_DEP_1) | instskip(NEXT) | instid1(VALU_DEP_1)
	v_lshl_or_b32 v1, v3, 21, v1
                                        ; implicit-def: $vgpr3
	v_add_nc_u32_e32 v1, 0x38000000, v1
.LBB6_7044:                             ;   in Loop: Header=BB6_5133 Depth=2
	s_and_not1_saveexec_b32 s43, s43
; %bb.7045:                             ;   in Loop: Header=BB6_5133 Depth=2
	v_cmp_lt_i16_e32 vcc_lo, -1, v32
	v_cndmask_b32_e32 v1, 0xff800000, v44, vcc_lo
	v_cmp_eq_u32_e32 vcc_lo, 0, v3
	s_delay_alu instid0(VALU_DEP_2)
	v_cndmask_b32_e32 v1, 0x7f800001, v1, vcc_lo
; %bb.7046:                             ;   in Loop: Header=BB6_5133 Depth=2
	s_or_b32 exec_lo, exec_lo, s43
.LBB6_7047:                             ;   in Loop: Header=BB6_5133 Depth=2
	s_delay_alu instid0(SALU_CYCLE_1)
	s_or_b32 exec_lo, exec_lo, s42
.LBB6_7048:                             ;   in Loop: Header=BB6_5133 Depth=2
	s_delay_alu instid0(SALU_CYCLE_1) | instskip(NEXT) | instid1(SALU_CYCLE_1)
	s_or_b32 exec_lo, exec_lo, s11
	s_mov_b32 s11, exec_lo
	v_cmpx_ne_u16_e32 0, v100
	s_cbranch_execz .LBB6_7058
; %bb.7049:                             ;   in Loop: Header=BB6_5133 Depth=2
	v_bfrev_b32_e32 v2, 1
	s_mov_b32 s42, exec_lo
	v_cmpx_ne_u16_e32 0xff80, v100
	s_cbranch_execz .LBB6_7057
; %bb.7050:                             ;   in Loop: Header=BB6_5133 Depth=2
	v_and_b32_e32 v2, 0x7c, v100
	v_and_b32_e32 v3, 3, v100
	s_delay_alu instid0(VALU_DEP_2) | instskip(SKIP_1) | instid1(SALU_CYCLE_1)
	v_cmp_ne_u32_e32 vcc_lo, 0x7c, v2
                                        ; implicit-def: $vgpr2
	s_and_saveexec_b32 s43, vcc_lo
	s_xor_b32 s43, exec_lo, s43
	s_cbranch_execz .LBB6_7054
; %bb.7051:                             ;   in Loop: Header=BB6_5133 Depth=2
	v_and_b32_e32 v2, 0xff, v100
	s_mov_b32 s44, exec_lo
	s_delay_alu instid0(VALU_DEP_1) | instskip(NEXT) | instid1(VALU_DEP_1)
	v_bfe_u32 v2, v2, 2, 5
	v_cmpx_eq_u32_e32 0, v2
	s_cbranch_execz .LBB6_7053
; %bb.7052:                             ;   in Loop: Header=BB6_5133 Depth=2
	v_clz_i32_u32_e32 v2, v3
	s_delay_alu instid0(VALU_DEP_1) | instskip(SKIP_1) | instid1(VALU_DEP_2)
	v_min_u32_e32 v2, 32, v2
	v_mov_b32_e32 v101, v25
	v_subrev_nc_u32_e32 v3, 29, v2
	v_sub_nc_u32_e32 v2, 30, v2
	s_delay_alu instid0(VALU_DEP_2) | instskip(NEXT) | instid1(VALU_DEP_1)
	v_lshlrev_b64_e32 v[36:37], v3, v[100:101]
	v_and_b32_e32 v3, 3, v36
.LBB6_7053:                             ;   in Loop: Header=BB6_5133 Depth=2
	s_or_b32 exec_lo, exec_lo, s44
	v_bfe_i32 v23, v100, 0, 16
	s_delay_alu instid0(VALU_DEP_1) | instskip(NEXT) | instid1(VALU_DEP_1)
	v_and_b32_e32 v23, 0x80000000, v23
	v_lshl_add_u32 v2, v2, 23, v23
	s_delay_alu instid0(VALU_DEP_1) | instskip(NEXT) | instid1(VALU_DEP_1)
	v_lshl_or_b32 v2, v3, 21, v2
                                        ; implicit-def: $vgpr3
	v_add_nc_u32_e32 v2, 0x38000000, v2
.LBB6_7054:                             ;   in Loop: Header=BB6_5133 Depth=2
	s_and_not1_saveexec_b32 s43, s43
; %bb.7055:                             ;   in Loop: Header=BB6_5133 Depth=2
	v_cmp_lt_i16_e32 vcc_lo, -1, v100
	v_cndmask_b32_e32 v2, 0xff800000, v44, vcc_lo
	v_cmp_eq_u32_e32 vcc_lo, 0, v3
	s_delay_alu instid0(VALU_DEP_2)
	v_cndmask_b32_e32 v2, 0x7f800001, v2, vcc_lo
; %bb.7056:                             ;   in Loop: Header=BB6_5133 Depth=2
	s_or_b32 exec_lo, exec_lo, s43
.LBB6_7057:                             ;   in Loop: Header=BB6_5133 Depth=2
	s_delay_alu instid0(SALU_CYCLE_1)
	s_or_b32 exec_lo, exec_lo, s42
.LBB6_7058:                             ;   in Loop: Header=BB6_5133 Depth=2
	s_delay_alu instid0(SALU_CYCLE_1) | instskip(NEXT) | instid1(VALU_DEP_1)
	s_or_b32 exec_lo, exec_lo, s11
	v_dual_max_num_f32 v2, v2, v2 :: v_dual_max_num_f32 v1, v1, v1
	s_mov_b32 s11, 0
	s_delay_alu instid0(VALU_DEP_1)
	v_max_num_f32_e32 v1, v1, v2
.LBB6_7059:                             ;   in Loop: Header=BB6_5133 Depth=2
	s_and_b32 vcc_lo, exec_lo, s11
	s_cbranch_vccz .LBB6_7081
; %bb.7060:                             ;   in Loop: Header=BB6_5133 Depth=2
	v_dual_mov_b32 v2, 0 :: v_dual_mov_b32 v1, 0
	s_and_saveexec_b32 s11, s10
	s_cbranch_execz .LBB6_7070
; %bb.7061:                             ;   in Loop: Header=BB6_5133 Depth=2
	v_bfrev_b32_e32 v1, 1
	s_mov_b32 s10, exec_lo
	v_cmpx_ne_u16_e32 0xff80, v32
	s_cbranch_execz .LBB6_7069
; %bb.7062:                             ;   in Loop: Header=BB6_5133 Depth=2
	v_and_b32_e32 v1, 0x7c, v0
	v_and_b32_e32 v3, 3, v0
	s_delay_alu instid0(VALU_DEP_2) | instskip(SKIP_1) | instid1(SALU_CYCLE_1)
	v_cmp_ne_u32_e32 vcc_lo, 0x7c, v1
                                        ; implicit-def: $vgpr1
	s_and_saveexec_b32 s42, vcc_lo
	s_xor_b32 s42, exec_lo, s42
	s_cbranch_execz .LBB6_7066
; %bb.7063:                             ;   in Loop: Header=BB6_5133 Depth=2
	v_bfe_u32 v0, v0, 2, 5
	s_mov_b32 s43, exec_lo
	s_delay_alu instid0(VALU_DEP_1)
	v_cmpx_eq_u32_e32 0, v0
	s_cbranch_execz .LBB6_7065
; %bb.7064:                             ;   in Loop: Header=BB6_5133 Depth=2
	v_clz_i32_u32_e32 v0, v3
	s_delay_alu instid0(VALU_DEP_1) | instskip(SKIP_1) | instid1(VALU_DEP_2)
	v_min_u32_e32 v0, 32, v0
	v_mov_b32_e32 v33, v25
	v_subrev_nc_u32_e32 v1, 29, v0
	v_sub_nc_u32_e32 v0, 30, v0
	s_delay_alu instid0(VALU_DEP_2) | instskip(NEXT) | instid1(VALU_DEP_1)
	v_lshlrev_b64_e32 v[36:37], v1, v[32:33]
	v_and_b32_e32 v3, 3, v36
.LBB6_7065:                             ;   in Loop: Header=BB6_5133 Depth=2
	s_or_b32 exec_lo, exec_lo, s43
	v_bfe_i32 v1, v32, 0, 16
                                        ; implicit-def: $vgpr32
	s_delay_alu instid0(VALU_DEP_1) | instskip(NEXT) | instid1(VALU_DEP_1)
	v_and_b32_e32 v1, 0x80000000, v1
	v_lshl_add_u32 v0, v0, 23, v1
	s_delay_alu instid0(VALU_DEP_1) | instskip(NEXT) | instid1(VALU_DEP_1)
	v_lshl_or_b32 v0, v3, 21, v0
                                        ; implicit-def: $vgpr3
	v_add_nc_u32_e32 v1, 0x38000000, v0
.LBB6_7066:                             ;   in Loop: Header=BB6_5133 Depth=2
	s_and_not1_saveexec_b32 s42, s42
; %bb.7067:                             ;   in Loop: Header=BB6_5133 Depth=2
	v_cmp_lt_i16_e32 vcc_lo, -1, v32
	v_cndmask_b32_e32 v0, 0xff800000, v44, vcc_lo
	v_cmp_eq_u32_e32 vcc_lo, 0, v3
	s_delay_alu instid0(VALU_DEP_2)
	v_cndmask_b32_e32 v1, 0x7f800001, v0, vcc_lo
; %bb.7068:                             ;   in Loop: Header=BB6_5133 Depth=2
	s_or_b32 exec_lo, exec_lo, s42
.LBB6_7069:                             ;   in Loop: Header=BB6_5133 Depth=2
	s_delay_alu instid0(SALU_CYCLE_1)
	s_or_b32 exec_lo, exec_lo, s10
.LBB6_7070:                             ;   in Loop: Header=BB6_5133 Depth=2
	s_delay_alu instid0(SALU_CYCLE_1) | instskip(NEXT) | instid1(SALU_CYCLE_1)
	s_or_b32 exec_lo, exec_lo, s11
	s_mov_b32 s10, exec_lo
	v_cmpx_ne_u16_e32 0, v100
	s_cbranch_execz .LBB6_7080
; %bb.7071:                             ;   in Loop: Header=BB6_5133 Depth=2
	v_bfrev_b32_e32 v2, 1
	s_mov_b32 s11, exec_lo
	v_cmpx_ne_u16_e32 0xff80, v100
	s_cbranch_execz .LBB6_7079
; %bb.7072:                             ;   in Loop: Header=BB6_5133 Depth=2
	v_and_b32_e32 v2, 0x7c, v100
	v_and_b32_e32 v0, 3, v100
	s_delay_alu instid0(VALU_DEP_2) | instskip(SKIP_1) | instid1(SALU_CYCLE_1)
	v_cmp_ne_u32_e32 vcc_lo, 0x7c, v2
                                        ; implicit-def: $vgpr2
	s_and_saveexec_b32 s42, vcc_lo
	s_xor_b32 s42, exec_lo, s42
	s_cbranch_execz .LBB6_7076
; %bb.7073:                             ;   in Loop: Header=BB6_5133 Depth=2
	v_and_b32_e32 v2, 0xff, v100
	s_mov_b32 s43, exec_lo
	s_delay_alu instid0(VALU_DEP_1) | instskip(NEXT) | instid1(VALU_DEP_1)
	v_bfe_u32 v2, v2, 2, 5
	v_cmpx_eq_u32_e32 0, v2
	s_cbranch_execz .LBB6_7075
; %bb.7074:                             ;   in Loop: Header=BB6_5133 Depth=2
	v_clz_i32_u32_e32 v0, v0
	s_delay_alu instid0(VALU_DEP_1) | instskip(SKIP_1) | instid1(VALU_DEP_2)
	v_min_u32_e32 v0, 32, v0
	v_mov_b32_e32 v101, v25
	v_subrev_nc_u32_e32 v2, 29, v0
	s_delay_alu instid0(VALU_DEP_1) | instskip(SKIP_1) | instid1(VALU_DEP_2)
	v_lshlrev_b64_e32 v[32:33], v2, v[100:101]
	v_sub_nc_u32_e32 v2, 30, v0
	v_and_b32_e32 v0, 3, v32
.LBB6_7075:                             ;   in Loop: Header=BB6_5133 Depth=2
	s_or_b32 exec_lo, exec_lo, s43
	v_bfe_i32 v3, v100, 0, 16
                                        ; implicit-def: $vgpr100
	s_delay_alu instid0(VALU_DEP_1) | instskip(NEXT) | instid1(VALU_DEP_1)
	v_and_b32_e32 v3, 0x80000000, v3
	v_lshl_add_u32 v2, v2, 23, v3
	s_delay_alu instid0(VALU_DEP_1) | instskip(NEXT) | instid1(VALU_DEP_1)
	v_lshl_or_b32 v0, v0, 21, v2
	v_add_nc_u32_e32 v2, 0x38000000, v0
                                        ; implicit-def: $vgpr0
.LBB6_7076:                             ;   in Loop: Header=BB6_5133 Depth=2
	s_and_not1_saveexec_b32 s42, s42
; %bb.7077:                             ;   in Loop: Header=BB6_5133 Depth=2
	v_cmp_lt_i16_e32 vcc_lo, -1, v100
	v_cndmask_b32_e32 v2, 0xff800000, v44, vcc_lo
	v_cmp_eq_u32_e32 vcc_lo, 0, v0
	s_delay_alu instid0(VALU_DEP_2)
	v_cndmask_b32_e32 v2, 0x7f800001, v2, vcc_lo
; %bb.7078:                             ;   in Loop: Header=BB6_5133 Depth=2
	s_or_b32 exec_lo, exec_lo, s42
.LBB6_7079:                             ;   in Loop: Header=BB6_5133 Depth=2
	s_delay_alu instid0(SALU_CYCLE_1)
	s_or_b32 exec_lo, exec_lo, s11
.LBB6_7080:                             ;   in Loop: Header=BB6_5133 Depth=2
	s_delay_alu instid0(SALU_CYCLE_1) | instskip(NEXT) | instid1(VALU_DEP_1)
	s_or_b32 exec_lo, exec_lo, s10
	v_dual_max_num_f32 v0, v2, v2 :: v_dual_max_num_f32 v1, v1, v1
	s_delay_alu instid0(VALU_DEP_1)
	v_min_num_f32_e32 v1, v1, v0
.LBB6_7081:                             ;   in Loop: Header=BB6_5133 Depth=2
	s_delay_alu instid0(VALU_DEP_1) | instskip(SKIP_3) | instid1(VALU_DEP_2)
	v_and_b32_e32 v2, 0x7f800000, v1
	v_mov_b32_e32 v3, v25
	v_and_b32_e32 v24, 0x7fffff, v1
                                        ; implicit-def: $vgpr32
	s_mov_b32 s10, exec_lo
	v_cmpx_ne_u64_e32 0x7f800000, v[2:3]
	s_xor_b32 s11, exec_lo, s10
	s_cbranch_execz .LBB6_7099
; %bb.7082:                             ;   in Loop: Header=BB6_5133 Depth=2
	v_dual_mov_b32 v3, v25 :: v_dual_lshrrev_b32 v0, 24, v1
	v_and_b32_e32 v2, 0x7fffffff, v1
                                        ; implicit-def: $vgpr32
	s_mov_b32 s10, exec_lo
	s_delay_alu instid0(VALU_DEP_2) | instskip(NEXT) | instid1(VALU_DEP_2)
	v_and_b32_e32 v23, 0x80, v0
	v_cmpx_gt_u64_e32 0x47600001, v[2:3]
	s_xor_b32 s42, exec_lo, s10
	s_cbranch_execz .LBB6_7096
; %bb.7083:                             ;   in Loop: Header=BB6_5133 Depth=2
	v_mov_b32_e32 v32, 0
	s_mov_b32 s43, exec_lo
	v_cmpx_ne_u32_e32 0, v1
	s_cbranch_execz .LBB6_7095
; %bb.7084:                             ;   in Loop: Header=BB6_5133 Depth=2
	v_bfe_u32 v27, v1, 23, 8
	v_or_b32_e32 v2, 0x800000, v24
	s_delay_alu instid0(VALU_DEP_2) | instskip(SKIP_1) | instid1(VALU_DEP_2)
	v_sub_nc_u32_e32 v0, 0x71, v27
	v_cmp_gt_u32_e32 vcc_lo, 0x72, v27
	v_cndmask_b32_e32 v0, 0, v0, vcc_lo
	v_cmp_eq_u32_e32 vcc_lo, 0, v27
	s_delay_alu instid0(VALU_DEP_2) | instskip(SKIP_1) | instid1(VALU_DEP_2)
	v_cndmask_b32_e64 v32, v0, 0x70, vcc_lo
	v_cndmask_b32_e32 v24, v2, v24, vcc_lo
	v_dual_add_nc_u32 v0, 21, v32 :: v_dual_add_nc_u32 v3, 20, v32
	s_delay_alu instid0(VALU_DEP_1) | instskip(NEXT) | instid1(VALU_DEP_2)
	v_lshlrev_b64_e64 v[0:1], v0, -1
	v_lshlrev_b64_e64 v[2:3], v3, 1
	s_delay_alu instid0(VALU_DEP_2) | instskip(NEXT) | instid1(VALU_DEP_3)
	v_bfi_b32 v37, v1, 0, 0
	v_bfi_b32 v36, v0, 0, v24
	v_lshrrev_b64 v[0:1], v32, v[24:25]
	s_delay_alu instid0(VALU_DEP_2) | instskip(NEXT) | instid1(VALU_DEP_2)
	v_cmp_eq_u64_e64 s10, v[36:37], v[2:3]
	v_mov_b64_e32 v[2:3], v[0:1]
	s_and_saveexec_b32 s44, s10
; %bb.7085:                             ;   in Loop: Header=BB6_5133 Depth=2
	v_bfe_u32 v24, v0, 21, 1
	s_delay_alu instid0(VALU_DEP_1) | instskip(NEXT) | instid1(VALU_DEP_1)
	v_add_nc_u64_e32 v[2:3], v[0:1], v[24:25]
	v_add_nc_u64_e32 v[2:3], -1, v[2:3]
; %bb.7086:                             ;   in Loop: Header=BB6_5133 Depth=2
	s_or_b32 exec_lo, exec_lo, s44
	v_add_nc_u32_e32 v1, 0xffffff81, v27
	v_lshrrev_b32_e32 v3, 23, v0
	s_mov_b32 s10, exec_lo
	s_delay_alu instid0(VALU_DEP_2) | instskip(NEXT) | instid1(VALU_DEP_1)
	v_cndmask_b32_e64 v1, v1, 0xffffff82, vcc_lo
	v_add3_u32 v3, v32, v1, v3
	v_and_b32_e32 v1, 0x1fffff, v2
                                        ; implicit-def: $vgpr2
	s_delay_alu instid0(VALU_DEP_1) | instskip(NEXT) | instid1(VALU_DEP_1)
	v_dual_add_nc_u32 v27, 14, v3 :: v_dual_add_nc_u32 v24, v1, v0
                                        ; implicit-def: $vgpr0_vgpr1
	v_cmpx_ne_u32_e32 0, v27
	s_xor_b32 s10, exec_lo, s10
; %bb.7087:                             ;   in Loop: Header=BB6_5133 Depth=2
	s_delay_alu instid0(VALU_DEP_2) | instskip(SKIP_1) | instid1(VALU_DEP_1)
	v_cmp_lt_u64_e32 vcc_lo, 0xffffff, v[24:25]
	v_add_nc_u32_e32 v0, 15, v3
	v_cndmask_b32_e32 v2, v27, v0, vcc_lo
	v_cndmask_b32_e64 v0, 0, 1, vcc_lo
	s_delay_alu instid0(VALU_DEP_1)
	v_lshrrev_b64 v[0:1], v0, v[24:25]
; %bb.7088:                             ;   in Loop: Header=BB6_5133 Depth=2
	s_and_not1_saveexec_b32 s10, s10
; %bb.7089:                             ;   in Loop: Header=BB6_5133 Depth=2
	v_mov_b64_e32 v[0:1], v[24:25]
	v_bfe_u32 v2, v24, 23, 1
; %bb.7090:                             ;   in Loop: Header=BB6_5133 Depth=2
	s_or_b32 exec_lo, exec_lo, s10
	s_delay_alu instid0(VALU_DEP_2) | instskip(NEXT) | instid1(VALU_DEP_2)
	v_lshrrev_b64 v[0:1], 21, v[0:1]
	v_cmp_gt_i32_e32 vcc_lo, 32, v2
	v_cmp_ne_u32_e64 s10, 0, v2
                                        ; implicit-def: $vgpr32
	s_delay_alu instid0(VALU_DEP_3) | instskip(NEXT) | instid1(VALU_DEP_1)
	v_dual_cndmask_b32 v1, 0, v1 :: v_dual_cndmask_b32 v0, 3, v0
	v_cmp_ne_u64_e32 vcc_lo, 0, v[0:1]
	s_or_b32 s10, s10, vcc_lo
	s_delay_alu instid0(SALU_CYCLE_1) | instskip(NEXT) | instid1(SALU_CYCLE_1)
	s_and_saveexec_b32 s44, s10
	s_xor_b32 s10, exec_lo, s44
; %bb.7091:                             ;   in Loop: Header=BB6_5133 Depth=2
	v_min_i32_e32 v1, 31, v2
	s_delay_alu instid0(VALU_DEP_1) | instskip(NEXT) | instid1(VALU_DEP_1)
	v_lshl_or_b32 v1, v1, 2, v23
                                        ; implicit-def: $vgpr23
	v_and_or_b32 v32, v0, 3, v1
; %bb.7092:                             ;   in Loop: Header=BB6_5133 Depth=2
	s_and_not1_saveexec_b32 s10, s10
; %bb.7093:                             ;   in Loop: Header=BB6_5133 Depth=2
	v_mov_b32_e32 v32, v23
; %bb.7094:                             ;   in Loop: Header=BB6_5133 Depth=2
	s_or_b32 exec_lo, exec_lo, s10
.LBB6_7095:                             ;   in Loop: Header=BB6_5133 Depth=2
	s_delay_alu instid0(SALU_CYCLE_1)
	s_or_b32 exec_lo, exec_lo, s43
                                        ; implicit-def: $vgpr23
.LBB6_7096:                             ;   in Loop: Header=BB6_5133 Depth=2
	s_and_not1_saveexec_b32 s10, s42
; %bb.7097:                             ;   in Loop: Header=BB6_5133 Depth=2
	v_or_b32_e32 v32, 0x7b, v23
; %bb.7098:                             ;   in Loop: Header=BB6_5133 Depth=2
	s_or_b32 exec_lo, exec_lo, s10
                                        ; implicit-def: $vgpr1
.LBB6_7099:                             ;   in Loop: Header=BB6_5133 Depth=2
	s_and_not1_saveexec_b32 s10, s11
	s_cbranch_execz .LBB6_7105
; %bb.7100:                             ;   in Loop: Header=BB6_5133 Depth=2
	s_mov_b32 s11, exec_lo
                                        ; implicit-def: $vgpr32
	v_cmpx_ne_u64_e32 0, v[24:25]
	s_xor_b32 s11, exec_lo, s11
; %bb.7101:                             ;   in Loop: Header=BB6_5133 Depth=2
	v_lshrrev_b32_e32 v0, 24, v1
                                        ; implicit-def: $vgpr1
	s_delay_alu instid0(VALU_DEP_1)
	v_or_b32_e32 v32, 0x7f, v0
; %bb.7102:                             ;   in Loop: Header=BB6_5133 Depth=2
	s_and_not1_saveexec_b32 s11, s11
; %bb.7103:                             ;   in Loop: Header=BB6_5133 Depth=2
	v_cmp_lt_i32_e32 vcc_lo, -1, v1
	v_cndmask_b32_e64 v32, -4, 0x7c, vcc_lo
; %bb.7104:                             ;   in Loop: Header=BB6_5133 Depth=2
	s_or_b32 exec_lo, exec_lo, s11
.LBB6_7105:                             ;   in Loop: Header=BB6_5133 Depth=2
	s_delay_alu instid0(SALU_CYCLE_1)
	s_or_b32 exec_lo, exec_lo, s10
	v_and_b32_e32 v0, 0xff, v26
	v_cmp_ne_u16_e64 s10, 0, v26
	s_and_not1_b32 vcc_lo, exec_lo, s15
	s_mov_b32 s11, -1
                                        ; implicit-def: $vgpr1
	s_cbranch_vccnz .LBB6_7127
; %bb.7106:                             ;   in Loop: Header=BB6_5133 Depth=2
	v_dual_mov_b32 v2, 0 :: v_dual_mov_b32 v1, 0
	s_and_saveexec_b32 s11, s10
	s_cbranch_execz .LBB6_7116
; %bb.7107:                             ;   in Loop: Header=BB6_5133 Depth=2
	v_bfrev_b32_e32 v1, 1
	s_mov_b32 s42, exec_lo
	v_cmpx_ne_u16_e32 0xff80, v26
	s_cbranch_execz .LBB6_7115
; %bb.7108:                             ;   in Loop: Header=BB6_5133 Depth=2
	v_and_b32_e32 v1, 0x7c, v0
	v_and_b32_e32 v3, 3, v0
	s_delay_alu instid0(VALU_DEP_2) | instskip(SKIP_1) | instid1(SALU_CYCLE_1)
	v_cmp_ne_u32_e32 vcc_lo, 0x7c, v1
                                        ; implicit-def: $vgpr1
	s_and_saveexec_b32 s43, vcc_lo
	s_xor_b32 s43, exec_lo, s43
	s_cbranch_execz .LBB6_7112
; %bb.7109:                             ;   in Loop: Header=BB6_5133 Depth=2
	v_bfe_u32 v1, v0, 2, 5
	s_mov_b32 s44, exec_lo
	s_delay_alu instid0(VALU_DEP_1)
	v_cmpx_eq_u32_e32 0, v1
	s_cbranch_execz .LBB6_7111
; %bb.7110:                             ;   in Loop: Header=BB6_5133 Depth=2
	v_clz_i32_u32_e32 v1, v3
	s_delay_alu instid0(VALU_DEP_1) | instskip(SKIP_1) | instid1(VALU_DEP_2)
	v_min_u32_e32 v1, 32, v1
	v_mov_b32_e32 v27, v25
	v_subrev_nc_u32_e32 v3, 29, v1
	v_sub_nc_u32_e32 v1, 30, v1
	s_delay_alu instid0(VALU_DEP_2) | instskip(NEXT) | instid1(VALU_DEP_1)
	v_lshlrev_b64_e32 v[36:37], v3, v[26:27]
	v_and_b32_e32 v3, 3, v36
.LBB6_7111:                             ;   in Loop: Header=BB6_5133 Depth=2
	s_or_b32 exec_lo, exec_lo, s44
	v_bfe_i32 v23, v26, 0, 16
	s_delay_alu instid0(VALU_DEP_1) | instskip(NEXT) | instid1(VALU_DEP_1)
	v_and_b32_e32 v23, 0x80000000, v23
	v_lshl_add_u32 v1, v1, 23, v23
	s_delay_alu instid0(VALU_DEP_1) | instskip(NEXT) | instid1(VALU_DEP_1)
	v_lshl_or_b32 v1, v3, 21, v1
                                        ; implicit-def: $vgpr3
	v_add_nc_u32_e32 v1, 0x38000000, v1
.LBB6_7112:                             ;   in Loop: Header=BB6_5133 Depth=2
	s_and_not1_saveexec_b32 s43, s43
; %bb.7113:                             ;   in Loop: Header=BB6_5133 Depth=2
	v_cmp_lt_i16_e32 vcc_lo, -1, v26
	v_cndmask_b32_e32 v1, 0xff800000, v44, vcc_lo
	v_cmp_eq_u32_e32 vcc_lo, 0, v3
	s_delay_alu instid0(VALU_DEP_2)
	v_cndmask_b32_e32 v1, 0x7f800001, v1, vcc_lo
; %bb.7114:                             ;   in Loop: Header=BB6_5133 Depth=2
	s_or_b32 exec_lo, exec_lo, s43
.LBB6_7115:                             ;   in Loop: Header=BB6_5133 Depth=2
	s_delay_alu instid0(SALU_CYCLE_1)
	s_or_b32 exec_lo, exec_lo, s42
.LBB6_7116:                             ;   in Loop: Header=BB6_5133 Depth=2
	s_delay_alu instid0(SALU_CYCLE_1) | instskip(NEXT) | instid1(SALU_CYCLE_1)
	s_or_b32 exec_lo, exec_lo, s11
	s_mov_b32 s11, exec_lo
	v_cmpx_ne_u16_e32 0, v96
	s_cbranch_execz .LBB6_7126
; %bb.7117:                             ;   in Loop: Header=BB6_5133 Depth=2
	v_bfrev_b32_e32 v2, 1
	s_mov_b32 s42, exec_lo
	v_cmpx_ne_u16_e32 0xff80, v96
	s_cbranch_execz .LBB6_7125
; %bb.7118:                             ;   in Loop: Header=BB6_5133 Depth=2
	v_and_b32_e32 v2, 0x7c, v96
	v_and_b32_e32 v3, 3, v96
	s_delay_alu instid0(VALU_DEP_2) | instskip(SKIP_1) | instid1(SALU_CYCLE_1)
	v_cmp_ne_u32_e32 vcc_lo, 0x7c, v2
                                        ; implicit-def: $vgpr2
	s_and_saveexec_b32 s43, vcc_lo
	s_xor_b32 s43, exec_lo, s43
	s_cbranch_execz .LBB6_7122
; %bb.7119:                             ;   in Loop: Header=BB6_5133 Depth=2
	v_and_b32_e32 v2, 0xff, v96
	s_mov_b32 s44, exec_lo
	s_delay_alu instid0(VALU_DEP_1) | instskip(NEXT) | instid1(VALU_DEP_1)
	v_bfe_u32 v2, v2, 2, 5
	v_cmpx_eq_u32_e32 0, v2
	s_cbranch_execz .LBB6_7121
; %bb.7120:                             ;   in Loop: Header=BB6_5133 Depth=2
	v_clz_i32_u32_e32 v2, v3
	s_delay_alu instid0(VALU_DEP_1) | instskip(SKIP_1) | instid1(VALU_DEP_2)
	v_min_u32_e32 v2, 32, v2
	v_mov_b32_e32 v97, v25
	v_subrev_nc_u32_e32 v3, 29, v2
	v_sub_nc_u32_e32 v2, 30, v2
	s_delay_alu instid0(VALU_DEP_2) | instskip(NEXT) | instid1(VALU_DEP_1)
	v_lshlrev_b64_e32 v[36:37], v3, v[96:97]
	v_and_b32_e32 v3, 3, v36
.LBB6_7121:                             ;   in Loop: Header=BB6_5133 Depth=2
	s_or_b32 exec_lo, exec_lo, s44
	v_bfe_i32 v23, v96, 0, 16
	s_delay_alu instid0(VALU_DEP_1) | instskip(NEXT) | instid1(VALU_DEP_1)
	v_and_b32_e32 v23, 0x80000000, v23
	v_lshl_add_u32 v2, v2, 23, v23
	s_delay_alu instid0(VALU_DEP_1) | instskip(NEXT) | instid1(VALU_DEP_1)
	v_lshl_or_b32 v2, v3, 21, v2
                                        ; implicit-def: $vgpr3
	v_add_nc_u32_e32 v2, 0x38000000, v2
.LBB6_7122:                             ;   in Loop: Header=BB6_5133 Depth=2
	s_and_not1_saveexec_b32 s43, s43
; %bb.7123:                             ;   in Loop: Header=BB6_5133 Depth=2
	v_cmp_lt_i16_e32 vcc_lo, -1, v96
	v_cndmask_b32_e32 v2, 0xff800000, v44, vcc_lo
	v_cmp_eq_u32_e32 vcc_lo, 0, v3
	s_delay_alu instid0(VALU_DEP_2)
	v_cndmask_b32_e32 v2, 0x7f800001, v2, vcc_lo
; %bb.7124:                             ;   in Loop: Header=BB6_5133 Depth=2
	s_or_b32 exec_lo, exec_lo, s43
.LBB6_7125:                             ;   in Loop: Header=BB6_5133 Depth=2
	s_delay_alu instid0(SALU_CYCLE_1)
	s_or_b32 exec_lo, exec_lo, s42
.LBB6_7126:                             ;   in Loop: Header=BB6_5133 Depth=2
	s_delay_alu instid0(SALU_CYCLE_1) | instskip(NEXT) | instid1(VALU_DEP_1)
	s_or_b32 exec_lo, exec_lo, s11
	v_dual_max_num_f32 v2, v2, v2 :: v_dual_max_num_f32 v1, v1, v1
	s_mov_b32 s11, 0
	s_delay_alu instid0(VALU_DEP_1)
	v_max_num_f32_e32 v1, v1, v2
.LBB6_7127:                             ;   in Loop: Header=BB6_5133 Depth=2
	s_and_b32 vcc_lo, exec_lo, s11
	s_cbranch_vccz .LBB6_7149
; %bb.7128:                             ;   in Loop: Header=BB6_5133 Depth=2
	v_dual_mov_b32 v2, 0 :: v_dual_mov_b32 v1, 0
	s_and_saveexec_b32 s11, s10
	s_cbranch_execz .LBB6_7138
; %bb.7129:                             ;   in Loop: Header=BB6_5133 Depth=2
	v_bfrev_b32_e32 v1, 1
	s_mov_b32 s10, exec_lo
	v_cmpx_ne_u16_e32 0xff80, v26
	s_cbranch_execz .LBB6_7137
; %bb.7130:                             ;   in Loop: Header=BB6_5133 Depth=2
	v_and_b32_e32 v1, 0x7c, v0
	v_and_b32_e32 v3, 3, v0
	s_delay_alu instid0(VALU_DEP_2) | instskip(SKIP_1) | instid1(SALU_CYCLE_1)
	v_cmp_ne_u32_e32 vcc_lo, 0x7c, v1
                                        ; implicit-def: $vgpr1
	s_and_saveexec_b32 s42, vcc_lo
	s_xor_b32 s42, exec_lo, s42
	s_cbranch_execz .LBB6_7134
; %bb.7131:                             ;   in Loop: Header=BB6_5133 Depth=2
	v_bfe_u32 v0, v0, 2, 5
	s_mov_b32 s43, exec_lo
	s_delay_alu instid0(VALU_DEP_1)
	v_cmpx_eq_u32_e32 0, v0
	s_cbranch_execz .LBB6_7133
; %bb.7132:                             ;   in Loop: Header=BB6_5133 Depth=2
	v_clz_i32_u32_e32 v0, v3
	s_delay_alu instid0(VALU_DEP_1) | instskip(SKIP_1) | instid1(VALU_DEP_2)
	v_min_u32_e32 v0, 32, v0
	v_mov_b32_e32 v27, v25
	v_subrev_nc_u32_e32 v1, 29, v0
	v_sub_nc_u32_e32 v0, 30, v0
	s_delay_alu instid0(VALU_DEP_2) | instskip(NEXT) | instid1(VALU_DEP_1)
	v_lshlrev_b64_e32 v[36:37], v1, v[26:27]
	v_and_b32_e32 v3, 3, v36
.LBB6_7133:                             ;   in Loop: Header=BB6_5133 Depth=2
	s_or_b32 exec_lo, exec_lo, s43
	v_bfe_i32 v1, v26, 0, 16
                                        ; implicit-def: $vgpr26
	s_delay_alu instid0(VALU_DEP_1) | instskip(NEXT) | instid1(VALU_DEP_1)
	v_and_b32_e32 v1, 0x80000000, v1
	v_lshl_add_u32 v0, v0, 23, v1
	s_delay_alu instid0(VALU_DEP_1) | instskip(NEXT) | instid1(VALU_DEP_1)
	v_lshl_or_b32 v0, v3, 21, v0
                                        ; implicit-def: $vgpr3
	v_add_nc_u32_e32 v1, 0x38000000, v0
.LBB6_7134:                             ;   in Loop: Header=BB6_5133 Depth=2
	s_and_not1_saveexec_b32 s42, s42
; %bb.7135:                             ;   in Loop: Header=BB6_5133 Depth=2
	v_cmp_lt_i16_e32 vcc_lo, -1, v26
	v_cndmask_b32_e32 v0, 0xff800000, v44, vcc_lo
	v_cmp_eq_u32_e32 vcc_lo, 0, v3
	s_delay_alu instid0(VALU_DEP_2)
	v_cndmask_b32_e32 v1, 0x7f800001, v0, vcc_lo
; %bb.7136:                             ;   in Loop: Header=BB6_5133 Depth=2
	s_or_b32 exec_lo, exec_lo, s42
.LBB6_7137:                             ;   in Loop: Header=BB6_5133 Depth=2
	s_delay_alu instid0(SALU_CYCLE_1)
	s_or_b32 exec_lo, exec_lo, s10
.LBB6_7138:                             ;   in Loop: Header=BB6_5133 Depth=2
	s_delay_alu instid0(SALU_CYCLE_1) | instskip(NEXT) | instid1(SALU_CYCLE_1)
	s_or_b32 exec_lo, exec_lo, s11
	s_mov_b32 s10, exec_lo
	v_cmpx_ne_u16_e32 0, v96
	s_cbranch_execz .LBB6_7148
; %bb.7139:                             ;   in Loop: Header=BB6_5133 Depth=2
	v_bfrev_b32_e32 v2, 1
	s_mov_b32 s11, exec_lo
	v_cmpx_ne_u16_e32 0xff80, v96
	s_cbranch_execz .LBB6_7147
; %bb.7140:                             ;   in Loop: Header=BB6_5133 Depth=2
	v_and_b32_e32 v2, 0x7c, v96
	v_and_b32_e32 v0, 3, v96
	s_delay_alu instid0(VALU_DEP_2) | instskip(SKIP_1) | instid1(SALU_CYCLE_1)
	v_cmp_ne_u32_e32 vcc_lo, 0x7c, v2
                                        ; implicit-def: $vgpr2
	s_and_saveexec_b32 s42, vcc_lo
	s_xor_b32 s42, exec_lo, s42
	s_cbranch_execz .LBB6_7144
; %bb.7141:                             ;   in Loop: Header=BB6_5133 Depth=2
	v_and_b32_e32 v2, 0xff, v96
	s_mov_b32 s43, exec_lo
	s_delay_alu instid0(VALU_DEP_1) | instskip(NEXT) | instid1(VALU_DEP_1)
	v_bfe_u32 v2, v2, 2, 5
	v_cmpx_eq_u32_e32 0, v2
; %bb.7142:                             ;   in Loop: Header=BB6_5133 Depth=2
	v_clz_i32_u32_e32 v0, v0
	s_delay_alu instid0(VALU_DEP_1) | instskip(SKIP_1) | instid1(VALU_DEP_2)
	v_min_u32_e32 v0, 32, v0
	v_mov_b32_e32 v97, v25
	v_subrev_nc_u32_e32 v2, 29, v0
	s_delay_alu instid0(VALU_DEP_1) | instskip(NEXT) | instid1(VALU_DEP_1)
	v_lshlrev_b64_e32 v[26:27], v2, v[96:97]
	v_dual_sub_nc_u32 v2, 30, v0 :: v_dual_bitop2_b32 v0, 3, v26 bitop3:0x40
; %bb.7143:                             ;   in Loop: Header=BB6_5133 Depth=2
	s_or_b32 exec_lo, exec_lo, s43
	v_bfe_i32 v3, v96, 0, 16
                                        ; implicit-def: $vgpr96
	s_delay_alu instid0(VALU_DEP_1) | instskip(NEXT) | instid1(VALU_DEP_1)
	v_and_b32_e32 v3, 0x80000000, v3
	v_lshl_add_u32 v2, v2, 23, v3
	s_delay_alu instid0(VALU_DEP_1) | instskip(NEXT) | instid1(VALU_DEP_1)
	v_lshl_or_b32 v0, v0, 21, v2
	v_add_nc_u32_e32 v2, 0x38000000, v0
                                        ; implicit-def: $vgpr0
.LBB6_7144:                             ;   in Loop: Header=BB6_5133 Depth=2
	s_and_not1_saveexec_b32 s42, s42
; %bb.7145:                             ;   in Loop: Header=BB6_5133 Depth=2
	v_cmp_lt_i16_e32 vcc_lo, -1, v96
	v_cndmask_b32_e32 v2, 0xff800000, v44, vcc_lo
	v_cmp_eq_u32_e32 vcc_lo, 0, v0
	s_delay_alu instid0(VALU_DEP_2)
	v_cndmask_b32_e32 v2, 0x7f800001, v2, vcc_lo
; %bb.7146:                             ;   in Loop: Header=BB6_5133 Depth=2
	s_or_b32 exec_lo, exec_lo, s42
.LBB6_7147:                             ;   in Loop: Header=BB6_5133 Depth=2
	s_delay_alu instid0(SALU_CYCLE_1)
	s_or_b32 exec_lo, exec_lo, s11
.LBB6_7148:                             ;   in Loop: Header=BB6_5133 Depth=2
	s_delay_alu instid0(SALU_CYCLE_1) | instskip(NEXT) | instid1(VALU_DEP_1)
	s_or_b32 exec_lo, exec_lo, s10
	v_dual_max_num_f32 v0, v2, v2 :: v_dual_max_num_f32 v1, v1, v1
	s_delay_alu instid0(VALU_DEP_1)
	v_min_num_f32_e32 v1, v1, v0
.LBB6_7149:                             ;   in Loop: Header=BB6_5133 Depth=2
	s_delay_alu instid0(VALU_DEP_1) | instskip(SKIP_3) | instid1(VALU_DEP_2)
	v_and_b32_e32 v2, 0x7f800000, v1
	v_mov_b32_e32 v3, v25
	v_and_b32_e32 v24, 0x7fffff, v1
                                        ; implicit-def: $vgpr26
	s_mov_b32 s10, exec_lo
	v_cmpx_ne_u64_e32 0x7f800000, v[2:3]
	s_xor_b32 s11, exec_lo, s10
	s_cbranch_execz .LBB6_7167
; %bb.7150:                             ;   in Loop: Header=BB6_5133 Depth=2
	v_dual_mov_b32 v3, v25 :: v_dual_lshrrev_b32 v0, 24, v1
	v_and_b32_e32 v2, 0x7fffffff, v1
                                        ; implicit-def: $vgpr26
	s_mov_b32 s10, exec_lo
	s_delay_alu instid0(VALU_DEP_2) | instskip(NEXT) | instid1(VALU_DEP_2)
	v_and_b32_e32 v23, 0x80, v0
	v_cmpx_gt_u64_e32 0x47600001, v[2:3]
	s_xor_b32 s42, exec_lo, s10
	s_cbranch_execz .LBB6_7164
; %bb.7151:                             ;   in Loop: Header=BB6_5133 Depth=2
	v_mov_b32_e32 v26, 0
	s_mov_b32 s43, exec_lo
	v_cmpx_ne_u32_e32 0, v1
	s_cbranch_execz .LBB6_7163
; %bb.7152:                             ;   in Loop: Header=BB6_5133 Depth=2
	v_bfe_u32 v26, v1, 23, 8
	v_or_b32_e32 v2, 0x800000, v24
	s_delay_alu instid0(VALU_DEP_2) | instskip(SKIP_1) | instid1(VALU_DEP_2)
	v_sub_nc_u32_e32 v0, 0x71, v26
	v_cmp_gt_u32_e32 vcc_lo, 0x72, v26
	v_cndmask_b32_e32 v0, 0, v0, vcc_lo
	v_cmp_eq_u32_e32 vcc_lo, 0, v26
	s_delay_alu instid0(VALU_DEP_2) | instskip(NEXT) | instid1(VALU_DEP_1)
	v_cndmask_b32_e64 v27, v0, 0x70, vcc_lo
	v_dual_cndmask_b32 v24, v2, v24, vcc_lo :: v_dual_add_nc_u32 v0, 21, v27
	v_add_nc_u32_e32 v3, 20, v27
	s_delay_alu instid0(VALU_DEP_2) | instskip(NEXT) | instid1(VALU_DEP_2)
	v_lshlrev_b64_e64 v[0:1], v0, -1
	v_lshlrev_b64_e64 v[2:3], v3, 1
	s_delay_alu instid0(VALU_DEP_2) | instskip(NEXT) | instid1(VALU_DEP_3)
	v_bfi_b32 v37, v1, 0, 0
	v_bfi_b32 v36, v0, 0, v24
	v_lshrrev_b64 v[0:1], v27, v[24:25]
	s_delay_alu instid0(VALU_DEP_2) | instskip(NEXT) | instid1(VALU_DEP_2)
	v_cmp_eq_u64_e64 s10, v[36:37], v[2:3]
	v_mov_b64_e32 v[2:3], v[0:1]
	s_and_saveexec_b32 s44, s10
; %bb.7153:                             ;   in Loop: Header=BB6_5133 Depth=2
	v_bfe_u32 v24, v0, 21, 1
	s_delay_alu instid0(VALU_DEP_1) | instskip(NEXT) | instid1(VALU_DEP_1)
	v_add_nc_u64_e32 v[2:3], v[0:1], v[24:25]
	v_add_nc_u64_e32 v[2:3], -1, v[2:3]
; %bb.7154:                             ;   in Loop: Header=BB6_5133 Depth=2
	s_or_b32 exec_lo, exec_lo, s44
	v_add_nc_u32_e32 v1, 0xffffff81, v26
	v_lshrrev_b32_e32 v3, 23, v0
	s_mov_b32 s10, exec_lo
	s_delay_alu instid0(VALU_DEP_2) | instskip(NEXT) | instid1(VALU_DEP_1)
	v_cndmask_b32_e64 v1, v1, 0xffffff82, vcc_lo
	v_add3_u32 v3, v27, v1, v3
	v_and_b32_e32 v1, 0x1fffff, v2
                                        ; implicit-def: $vgpr2
	s_delay_alu instid0(VALU_DEP_1) | instskip(NEXT) | instid1(VALU_DEP_1)
	v_dual_add_nc_u32 v26, 14, v3 :: v_dual_add_nc_u32 v24, v1, v0
                                        ; implicit-def: $vgpr0_vgpr1
	v_cmpx_ne_u32_e32 0, v26
	s_xor_b32 s10, exec_lo, s10
; %bb.7155:                             ;   in Loop: Header=BB6_5133 Depth=2
	s_delay_alu instid0(VALU_DEP_2) | instskip(SKIP_1) | instid1(VALU_DEP_1)
	v_cmp_lt_u64_e32 vcc_lo, 0xffffff, v[24:25]
	v_add_nc_u32_e32 v0, 15, v3
	v_cndmask_b32_e32 v2, v26, v0, vcc_lo
	v_cndmask_b32_e64 v0, 0, 1, vcc_lo
	s_delay_alu instid0(VALU_DEP_1)
	v_lshrrev_b64 v[0:1], v0, v[24:25]
; %bb.7156:                             ;   in Loop: Header=BB6_5133 Depth=2
	s_and_not1_saveexec_b32 s10, s10
; %bb.7157:                             ;   in Loop: Header=BB6_5133 Depth=2
	v_mov_b64_e32 v[0:1], v[24:25]
	v_bfe_u32 v2, v24, 23, 1
; %bb.7158:                             ;   in Loop: Header=BB6_5133 Depth=2
	s_or_b32 exec_lo, exec_lo, s10
	s_delay_alu instid0(VALU_DEP_2) | instskip(NEXT) | instid1(VALU_DEP_2)
	v_lshrrev_b64 v[0:1], 21, v[0:1]
	v_cmp_gt_i32_e32 vcc_lo, 32, v2
	v_cmp_ne_u32_e64 s10, 0, v2
                                        ; implicit-def: $vgpr26
	s_delay_alu instid0(VALU_DEP_3) | instskip(NEXT) | instid1(VALU_DEP_1)
	v_dual_cndmask_b32 v1, 0, v1 :: v_dual_cndmask_b32 v0, 3, v0
	v_cmp_ne_u64_e32 vcc_lo, 0, v[0:1]
	s_or_b32 s10, s10, vcc_lo
	s_delay_alu instid0(SALU_CYCLE_1) | instskip(NEXT) | instid1(SALU_CYCLE_1)
	s_and_saveexec_b32 s44, s10
	s_xor_b32 s10, exec_lo, s44
; %bb.7159:                             ;   in Loop: Header=BB6_5133 Depth=2
	v_min_i32_e32 v1, 31, v2
	s_delay_alu instid0(VALU_DEP_1) | instskip(NEXT) | instid1(VALU_DEP_1)
	v_lshl_or_b32 v1, v1, 2, v23
                                        ; implicit-def: $vgpr23
	v_and_or_b32 v26, v0, 3, v1
; %bb.7160:                             ;   in Loop: Header=BB6_5133 Depth=2
	s_and_not1_saveexec_b32 s10, s10
; %bb.7161:                             ;   in Loop: Header=BB6_5133 Depth=2
	v_mov_b32_e32 v26, v23
; %bb.7162:                             ;   in Loop: Header=BB6_5133 Depth=2
	s_or_b32 exec_lo, exec_lo, s10
.LBB6_7163:                             ;   in Loop: Header=BB6_5133 Depth=2
	s_delay_alu instid0(SALU_CYCLE_1)
	s_or_b32 exec_lo, exec_lo, s43
                                        ; implicit-def: $vgpr23
.LBB6_7164:                             ;   in Loop: Header=BB6_5133 Depth=2
	s_and_not1_saveexec_b32 s10, s42
; %bb.7165:                             ;   in Loop: Header=BB6_5133 Depth=2
	v_or_b32_e32 v26, 0x7b, v23
; %bb.7166:                             ;   in Loop: Header=BB6_5133 Depth=2
	s_or_b32 exec_lo, exec_lo, s10
                                        ; implicit-def: $vgpr1
.LBB6_7167:                             ;   in Loop: Header=BB6_5133 Depth=2
	s_and_not1_saveexec_b32 s10, s11
	s_cbranch_execz .LBB6_7173
; %bb.7168:                             ;   in Loop: Header=BB6_5133 Depth=2
	s_mov_b32 s11, exec_lo
                                        ; implicit-def: $vgpr26
	v_cmpx_ne_u64_e32 0, v[24:25]
	s_xor_b32 s11, exec_lo, s11
; %bb.7169:                             ;   in Loop: Header=BB6_5133 Depth=2
	v_lshrrev_b32_e32 v0, 24, v1
                                        ; implicit-def: $vgpr1
	s_delay_alu instid0(VALU_DEP_1)
	v_or_b32_e32 v26, 0x7f, v0
; %bb.7170:                             ;   in Loop: Header=BB6_5133 Depth=2
	s_and_not1_saveexec_b32 s11, s11
; %bb.7171:                             ;   in Loop: Header=BB6_5133 Depth=2
	v_cmp_lt_i32_e32 vcc_lo, -1, v1
	v_cndmask_b32_e64 v26, -4, 0x7c, vcc_lo
; %bb.7172:                             ;   in Loop: Header=BB6_5133 Depth=2
	s_or_b32 exec_lo, exec_lo, s11
.LBB6_7173:                             ;   in Loop: Header=BB6_5133 Depth=2
	s_delay_alu instid0(SALU_CYCLE_1)
	s_or_b32 exec_lo, exec_lo, s10
	v_and_b32_e32 v0, 0xff, v22
	v_cmp_ne_u16_e64 s10, 0, v22
	s_and_not1_b32 vcc_lo, exec_lo, s15
	s_mov_b32 s11, -1
                                        ; implicit-def: $vgpr1
	s_cbranch_vccnz .LBB6_7195
; %bb.7174:                             ;   in Loop: Header=BB6_5133 Depth=2
	v_dual_mov_b32 v2, 0 :: v_dual_mov_b32 v1, 0
	s_and_saveexec_b32 s11, s10
	s_cbranch_execz .LBB6_7184
; %bb.7175:                             ;   in Loop: Header=BB6_5133 Depth=2
	v_bfrev_b32_e32 v1, 1
	s_mov_b32 s42, exec_lo
	v_cmpx_ne_u16_e32 0xff80, v22
	s_cbranch_execz .LBB6_7183
; %bb.7176:                             ;   in Loop: Header=BB6_5133 Depth=2
	v_and_b32_e32 v1, 0x7c, v0
	v_and_b32_e32 v3, 3, v0
	s_delay_alu instid0(VALU_DEP_2) | instskip(SKIP_1) | instid1(SALU_CYCLE_1)
	v_cmp_ne_u32_e32 vcc_lo, 0x7c, v1
                                        ; implicit-def: $vgpr1
	s_and_saveexec_b32 s43, vcc_lo
	s_xor_b32 s43, exec_lo, s43
	s_cbranch_execz .LBB6_7180
; %bb.7177:                             ;   in Loop: Header=BB6_5133 Depth=2
	v_bfe_u32 v1, v0, 2, 5
	s_mov_b32 s44, exec_lo
	s_delay_alu instid0(VALU_DEP_1)
	v_cmpx_eq_u32_e32 0, v1
	s_cbranch_execz .LBB6_7179
; %bb.7178:                             ;   in Loop: Header=BB6_5133 Depth=2
	v_clz_i32_u32_e32 v1, v3
	s_delay_alu instid0(VALU_DEP_1) | instskip(SKIP_1) | instid1(VALU_DEP_2)
	v_min_u32_e32 v1, 32, v1
	v_mov_b32_e32 v23, v25
	v_subrev_nc_u32_e32 v3, 29, v1
	v_sub_nc_u32_e32 v1, 30, v1
	s_delay_alu instid0(VALU_DEP_2) | instskip(NEXT) | instid1(VALU_DEP_1)
	v_lshlrev_b64_e32 v[36:37], v3, v[22:23]
	v_and_b32_e32 v3, 3, v36
.LBB6_7179:                             ;   in Loop: Header=BB6_5133 Depth=2
	s_or_b32 exec_lo, exec_lo, s44
	v_bfe_i32 v23, v22, 0, 16
	s_delay_alu instid0(VALU_DEP_1) | instskip(NEXT) | instid1(VALU_DEP_1)
	v_and_b32_e32 v23, 0x80000000, v23
	v_lshl_add_u32 v1, v1, 23, v23
	s_delay_alu instid0(VALU_DEP_1) | instskip(NEXT) | instid1(VALU_DEP_1)
	v_lshl_or_b32 v1, v3, 21, v1
                                        ; implicit-def: $vgpr3
	v_add_nc_u32_e32 v1, 0x38000000, v1
.LBB6_7180:                             ;   in Loop: Header=BB6_5133 Depth=2
	s_and_not1_saveexec_b32 s43, s43
; %bb.7181:                             ;   in Loop: Header=BB6_5133 Depth=2
	v_cmp_lt_i16_e32 vcc_lo, -1, v22
	v_cndmask_b32_e32 v1, 0xff800000, v44, vcc_lo
	v_cmp_eq_u32_e32 vcc_lo, 0, v3
	s_delay_alu instid0(VALU_DEP_2)
	v_cndmask_b32_e32 v1, 0x7f800001, v1, vcc_lo
; %bb.7182:                             ;   in Loop: Header=BB6_5133 Depth=2
	s_or_b32 exec_lo, exec_lo, s43
.LBB6_7183:                             ;   in Loop: Header=BB6_5133 Depth=2
	s_delay_alu instid0(SALU_CYCLE_1)
	s_or_b32 exec_lo, exec_lo, s42
.LBB6_7184:                             ;   in Loop: Header=BB6_5133 Depth=2
	s_delay_alu instid0(SALU_CYCLE_1) | instskip(NEXT) | instid1(SALU_CYCLE_1)
	s_or_b32 exec_lo, exec_lo, s11
	s_mov_b32 s11, exec_lo
	v_cmpx_ne_u16_e32 0, v82
	s_cbranch_execz .LBB6_7194
; %bb.7185:                             ;   in Loop: Header=BB6_5133 Depth=2
	v_bfrev_b32_e32 v2, 1
	s_mov_b32 s42, exec_lo
	v_cmpx_ne_u16_e32 0xff80, v82
	s_cbranch_execz .LBB6_7193
; %bb.7186:                             ;   in Loop: Header=BB6_5133 Depth=2
	v_and_b32_e32 v2, 0x7c, v82
	v_and_b32_e32 v3, 3, v82
	s_delay_alu instid0(VALU_DEP_2) | instskip(SKIP_1) | instid1(SALU_CYCLE_1)
	v_cmp_ne_u32_e32 vcc_lo, 0x7c, v2
                                        ; implicit-def: $vgpr2
	s_and_saveexec_b32 s43, vcc_lo
	s_xor_b32 s43, exec_lo, s43
	s_cbranch_execz .LBB6_7190
; %bb.7187:                             ;   in Loop: Header=BB6_5133 Depth=2
	v_and_b32_e32 v2, 0xff, v82
	s_mov_b32 s44, exec_lo
	s_delay_alu instid0(VALU_DEP_1) | instskip(NEXT) | instid1(VALU_DEP_1)
	v_bfe_u32 v2, v2, 2, 5
	v_cmpx_eq_u32_e32 0, v2
	s_cbranch_execz .LBB6_7189
; %bb.7188:                             ;   in Loop: Header=BB6_5133 Depth=2
	v_clz_i32_u32_e32 v2, v3
	s_delay_alu instid0(VALU_DEP_1) | instskip(SKIP_1) | instid1(VALU_DEP_2)
	v_min_u32_e32 v2, 32, v2
	v_mov_b32_e32 v83, v25
	v_subrev_nc_u32_e32 v3, 29, v2
	v_sub_nc_u32_e32 v2, 30, v2
	s_delay_alu instid0(VALU_DEP_2) | instskip(NEXT) | instid1(VALU_DEP_1)
	v_lshlrev_b64_e32 v[36:37], v3, v[82:83]
	v_and_b32_e32 v3, 3, v36
.LBB6_7189:                             ;   in Loop: Header=BB6_5133 Depth=2
	s_or_b32 exec_lo, exec_lo, s44
	v_bfe_i32 v23, v82, 0, 16
	s_delay_alu instid0(VALU_DEP_1) | instskip(NEXT) | instid1(VALU_DEP_1)
	v_and_b32_e32 v23, 0x80000000, v23
	v_lshl_add_u32 v2, v2, 23, v23
	s_delay_alu instid0(VALU_DEP_1) | instskip(NEXT) | instid1(VALU_DEP_1)
	v_lshl_or_b32 v2, v3, 21, v2
                                        ; implicit-def: $vgpr3
	v_add_nc_u32_e32 v2, 0x38000000, v2
.LBB6_7190:                             ;   in Loop: Header=BB6_5133 Depth=2
	s_and_not1_saveexec_b32 s43, s43
; %bb.7191:                             ;   in Loop: Header=BB6_5133 Depth=2
	v_cmp_lt_i16_e32 vcc_lo, -1, v82
	v_cndmask_b32_e32 v2, 0xff800000, v44, vcc_lo
	v_cmp_eq_u32_e32 vcc_lo, 0, v3
	s_delay_alu instid0(VALU_DEP_2)
	v_cndmask_b32_e32 v2, 0x7f800001, v2, vcc_lo
; %bb.7192:                             ;   in Loop: Header=BB6_5133 Depth=2
	s_or_b32 exec_lo, exec_lo, s43
.LBB6_7193:                             ;   in Loop: Header=BB6_5133 Depth=2
	s_delay_alu instid0(SALU_CYCLE_1)
	s_or_b32 exec_lo, exec_lo, s42
.LBB6_7194:                             ;   in Loop: Header=BB6_5133 Depth=2
	s_delay_alu instid0(SALU_CYCLE_1) | instskip(NEXT) | instid1(VALU_DEP_1)
	s_or_b32 exec_lo, exec_lo, s11
	v_dual_max_num_f32 v2, v2, v2 :: v_dual_max_num_f32 v1, v1, v1
	s_mov_b32 s11, 0
	s_delay_alu instid0(VALU_DEP_1)
	v_max_num_f32_e32 v1, v1, v2
.LBB6_7195:                             ;   in Loop: Header=BB6_5133 Depth=2
	s_and_b32 vcc_lo, exec_lo, s11
	s_cbranch_vccz .LBB6_7217
; %bb.7196:                             ;   in Loop: Header=BB6_5133 Depth=2
	v_dual_mov_b32 v2, 0 :: v_dual_mov_b32 v1, 0
	s_and_saveexec_b32 s11, s10
	s_cbranch_execz .LBB6_7206
; %bb.7197:                             ;   in Loop: Header=BB6_5133 Depth=2
	v_bfrev_b32_e32 v1, 1
	s_mov_b32 s10, exec_lo
	v_cmpx_ne_u16_e32 0xff80, v22
	s_cbranch_execz .LBB6_7205
; %bb.7198:                             ;   in Loop: Header=BB6_5133 Depth=2
	v_and_b32_e32 v1, 0x7c, v0
	v_and_b32_e32 v3, 3, v0
	s_delay_alu instid0(VALU_DEP_2) | instskip(SKIP_1) | instid1(SALU_CYCLE_1)
	v_cmp_ne_u32_e32 vcc_lo, 0x7c, v1
                                        ; implicit-def: $vgpr1
	s_and_saveexec_b32 s42, vcc_lo
	s_xor_b32 s42, exec_lo, s42
	s_cbranch_execz .LBB6_7202
; %bb.7199:                             ;   in Loop: Header=BB6_5133 Depth=2
	v_bfe_u32 v0, v0, 2, 5
	s_mov_b32 s43, exec_lo
	s_delay_alu instid0(VALU_DEP_1)
	v_cmpx_eq_u32_e32 0, v0
	s_cbranch_execz .LBB6_7201
; %bb.7200:                             ;   in Loop: Header=BB6_5133 Depth=2
	v_clz_i32_u32_e32 v0, v3
	s_delay_alu instid0(VALU_DEP_1) | instskip(SKIP_1) | instid1(VALU_DEP_2)
	v_min_u32_e32 v0, 32, v0
	v_mov_b32_e32 v23, v25
	v_subrev_nc_u32_e32 v1, 29, v0
	v_sub_nc_u32_e32 v0, 30, v0
	s_delay_alu instid0(VALU_DEP_2) | instskip(NEXT) | instid1(VALU_DEP_1)
	v_lshlrev_b64_e32 v[36:37], v1, v[22:23]
	v_and_b32_e32 v3, 3, v36
.LBB6_7201:                             ;   in Loop: Header=BB6_5133 Depth=2
	s_or_b32 exec_lo, exec_lo, s43
	v_bfe_i32 v1, v22, 0, 16
                                        ; implicit-def: $vgpr22
	s_delay_alu instid0(VALU_DEP_1) | instskip(NEXT) | instid1(VALU_DEP_1)
	v_and_b32_e32 v1, 0x80000000, v1
	v_lshl_add_u32 v0, v0, 23, v1
	s_delay_alu instid0(VALU_DEP_1) | instskip(NEXT) | instid1(VALU_DEP_1)
	v_lshl_or_b32 v0, v3, 21, v0
                                        ; implicit-def: $vgpr3
	v_add_nc_u32_e32 v1, 0x38000000, v0
.LBB6_7202:                             ;   in Loop: Header=BB6_5133 Depth=2
	s_and_not1_saveexec_b32 s42, s42
; %bb.7203:                             ;   in Loop: Header=BB6_5133 Depth=2
	v_cmp_lt_i16_e32 vcc_lo, -1, v22
	v_cndmask_b32_e32 v0, 0xff800000, v44, vcc_lo
	v_cmp_eq_u32_e32 vcc_lo, 0, v3
	s_delay_alu instid0(VALU_DEP_2)
	v_cndmask_b32_e32 v1, 0x7f800001, v0, vcc_lo
; %bb.7204:                             ;   in Loop: Header=BB6_5133 Depth=2
	s_or_b32 exec_lo, exec_lo, s42
.LBB6_7205:                             ;   in Loop: Header=BB6_5133 Depth=2
	s_delay_alu instid0(SALU_CYCLE_1)
	s_or_b32 exec_lo, exec_lo, s10
.LBB6_7206:                             ;   in Loop: Header=BB6_5133 Depth=2
	s_delay_alu instid0(SALU_CYCLE_1) | instskip(NEXT) | instid1(SALU_CYCLE_1)
	s_or_b32 exec_lo, exec_lo, s11
	s_mov_b32 s10, exec_lo
	v_cmpx_ne_u16_e32 0, v82
	s_cbranch_execz .LBB6_7216
; %bb.7207:                             ;   in Loop: Header=BB6_5133 Depth=2
	v_bfrev_b32_e32 v2, 1
	s_mov_b32 s11, exec_lo
	v_cmpx_ne_u16_e32 0xff80, v82
	s_cbranch_execz .LBB6_7215
; %bb.7208:                             ;   in Loop: Header=BB6_5133 Depth=2
	v_and_b32_e32 v2, 0x7c, v82
	v_and_b32_e32 v0, 3, v82
	s_delay_alu instid0(VALU_DEP_2) | instskip(SKIP_1) | instid1(SALU_CYCLE_1)
	v_cmp_ne_u32_e32 vcc_lo, 0x7c, v2
                                        ; implicit-def: $vgpr2
	s_and_saveexec_b32 s42, vcc_lo
	s_xor_b32 s42, exec_lo, s42
	s_cbranch_execz .LBB6_7212
; %bb.7209:                             ;   in Loop: Header=BB6_5133 Depth=2
	v_and_b32_e32 v2, 0xff, v82
	s_mov_b32 s43, exec_lo
	s_delay_alu instid0(VALU_DEP_1) | instskip(NEXT) | instid1(VALU_DEP_1)
	v_bfe_u32 v2, v2, 2, 5
	v_cmpx_eq_u32_e32 0, v2
; %bb.7210:                             ;   in Loop: Header=BB6_5133 Depth=2
	v_clz_i32_u32_e32 v0, v0
	s_delay_alu instid0(VALU_DEP_1) | instskip(SKIP_1) | instid1(VALU_DEP_2)
	v_min_u32_e32 v0, 32, v0
	v_mov_b32_e32 v83, v25
	v_subrev_nc_u32_e32 v2, 29, v0
	s_delay_alu instid0(VALU_DEP_1) | instskip(NEXT) | instid1(VALU_DEP_1)
	v_lshlrev_b64_e32 v[22:23], v2, v[82:83]
	v_dual_sub_nc_u32 v2, 30, v0 :: v_dual_bitop2_b32 v0, 3, v22 bitop3:0x40
; %bb.7211:                             ;   in Loop: Header=BB6_5133 Depth=2
	s_or_b32 exec_lo, exec_lo, s43
	v_bfe_i32 v3, v82, 0, 16
                                        ; implicit-def: $vgpr82
	s_delay_alu instid0(VALU_DEP_1) | instskip(NEXT) | instid1(VALU_DEP_1)
	v_and_b32_e32 v3, 0x80000000, v3
	v_lshl_add_u32 v2, v2, 23, v3
	s_delay_alu instid0(VALU_DEP_1) | instskip(NEXT) | instid1(VALU_DEP_1)
	v_lshl_or_b32 v0, v0, 21, v2
	v_add_nc_u32_e32 v2, 0x38000000, v0
                                        ; implicit-def: $vgpr0
.LBB6_7212:                             ;   in Loop: Header=BB6_5133 Depth=2
	s_and_not1_saveexec_b32 s42, s42
; %bb.7213:                             ;   in Loop: Header=BB6_5133 Depth=2
	v_cmp_lt_i16_e32 vcc_lo, -1, v82
	v_cndmask_b32_e32 v2, 0xff800000, v44, vcc_lo
	v_cmp_eq_u32_e32 vcc_lo, 0, v0
	s_delay_alu instid0(VALU_DEP_2)
	v_cndmask_b32_e32 v2, 0x7f800001, v2, vcc_lo
; %bb.7214:                             ;   in Loop: Header=BB6_5133 Depth=2
	s_or_b32 exec_lo, exec_lo, s42
.LBB6_7215:                             ;   in Loop: Header=BB6_5133 Depth=2
	s_delay_alu instid0(SALU_CYCLE_1)
	s_or_b32 exec_lo, exec_lo, s11
.LBB6_7216:                             ;   in Loop: Header=BB6_5133 Depth=2
	s_delay_alu instid0(SALU_CYCLE_1) | instskip(NEXT) | instid1(VALU_DEP_1)
	s_or_b32 exec_lo, exec_lo, s10
	v_dual_max_num_f32 v0, v2, v2 :: v_dual_max_num_f32 v1, v1, v1
	s_delay_alu instid0(VALU_DEP_1)
	v_min_num_f32_e32 v1, v1, v0
.LBB6_7217:                             ;   in Loop: Header=BB6_5133 Depth=2
	s_delay_alu instid0(VALU_DEP_1) | instskip(SKIP_3) | instid1(VALU_DEP_2)
	v_and_b32_e32 v2, 0x7f800000, v1
	v_mov_b32_e32 v3, v25
	v_and_b32_e32 v24, 0x7fffff, v1
                                        ; implicit-def: $vgpr22
	s_mov_b32 s10, exec_lo
	v_cmpx_ne_u64_e32 0x7f800000, v[2:3]
	s_xor_b32 s11, exec_lo, s10
	s_cbranch_execz .LBB6_7235
; %bb.7218:                             ;   in Loop: Header=BB6_5133 Depth=2
	v_dual_mov_b32 v3, v25 :: v_dual_lshrrev_b32 v0, 24, v1
	v_and_b32_e32 v2, 0x7fffffff, v1
                                        ; implicit-def: $vgpr22
	s_mov_b32 s10, exec_lo
	s_delay_alu instid0(VALU_DEP_2) | instskip(NEXT) | instid1(VALU_DEP_2)
	v_and_b32_e32 v23, 0x80, v0
	v_cmpx_gt_u64_e32 0x47600001, v[2:3]
	s_xor_b32 s42, exec_lo, s10
	s_cbranch_execz .LBB6_7232
; %bb.7219:                             ;   in Loop: Header=BB6_5133 Depth=2
	v_mov_b32_e32 v22, 0
	s_mov_b32 s43, exec_lo
	v_cmpx_ne_u32_e32 0, v1
	s_cbranch_execz .LBB6_7231
; %bb.7220:                             ;   in Loop: Header=BB6_5133 Depth=2
	v_bfe_u32 v22, v1, 23, 8
	v_or_b32_e32 v2, 0x800000, v24
	s_delay_alu instid0(VALU_DEP_2) | instskip(SKIP_1) | instid1(VALU_DEP_2)
	v_sub_nc_u32_e32 v0, 0x71, v22
	v_cmp_gt_u32_e32 vcc_lo, 0x72, v22
	v_cndmask_b32_e32 v0, 0, v0, vcc_lo
	v_cmp_eq_u32_e32 vcc_lo, 0, v22
	s_delay_alu instid0(VALU_DEP_2) | instskip(NEXT) | instid1(VALU_DEP_1)
	v_cndmask_b32_e64 v27, v0, 0x70, vcc_lo
	v_dual_cndmask_b32 v24, v2, v24, vcc_lo :: v_dual_add_nc_u32 v0, 21, v27
	v_add_nc_u32_e32 v3, 20, v27
	s_delay_alu instid0(VALU_DEP_2) | instskip(NEXT) | instid1(VALU_DEP_2)
	v_lshlrev_b64_e64 v[0:1], v0, -1
	v_lshlrev_b64_e64 v[2:3], v3, 1
	s_delay_alu instid0(VALU_DEP_2) | instskip(NEXT) | instid1(VALU_DEP_3)
	v_bfi_b32 v37, v1, 0, 0
	v_bfi_b32 v36, v0, 0, v24
	v_lshrrev_b64 v[0:1], v27, v[24:25]
	s_delay_alu instid0(VALU_DEP_2) | instskip(NEXT) | instid1(VALU_DEP_2)
	v_cmp_eq_u64_e64 s10, v[36:37], v[2:3]
	v_mov_b64_e32 v[2:3], v[0:1]
	s_and_saveexec_b32 s44, s10
; %bb.7221:                             ;   in Loop: Header=BB6_5133 Depth=2
	v_bfe_u32 v24, v0, 21, 1
	s_delay_alu instid0(VALU_DEP_1) | instskip(NEXT) | instid1(VALU_DEP_1)
	v_add_nc_u64_e32 v[2:3], v[0:1], v[24:25]
	v_add_nc_u64_e32 v[2:3], -1, v[2:3]
; %bb.7222:                             ;   in Loop: Header=BB6_5133 Depth=2
	s_or_b32 exec_lo, exec_lo, s44
	v_add_nc_u32_e32 v1, 0xffffff81, v22
	v_lshrrev_b32_e32 v3, 23, v0
	s_mov_b32 s10, exec_lo
	s_delay_alu instid0(VALU_DEP_2) | instskip(NEXT) | instid1(VALU_DEP_1)
	v_cndmask_b32_e64 v1, v1, 0xffffff82, vcc_lo
	v_add3_u32 v3, v27, v1, v3
	v_and_b32_e32 v1, 0x1fffff, v2
                                        ; implicit-def: $vgpr2
	s_delay_alu instid0(VALU_DEP_1) | instskip(NEXT) | instid1(VALU_DEP_1)
	v_dual_add_nc_u32 v22, 14, v3 :: v_dual_add_nc_u32 v24, v1, v0
                                        ; implicit-def: $vgpr0_vgpr1
	v_cmpx_ne_u32_e32 0, v22
	s_xor_b32 s10, exec_lo, s10
; %bb.7223:                             ;   in Loop: Header=BB6_5133 Depth=2
	s_delay_alu instid0(VALU_DEP_2) | instskip(SKIP_1) | instid1(VALU_DEP_1)
	v_cmp_lt_u64_e32 vcc_lo, 0xffffff, v[24:25]
	v_add_nc_u32_e32 v0, 15, v3
	v_cndmask_b32_e32 v2, v22, v0, vcc_lo
	v_cndmask_b32_e64 v0, 0, 1, vcc_lo
	s_delay_alu instid0(VALU_DEP_1)
	v_lshrrev_b64 v[0:1], v0, v[24:25]
; %bb.7224:                             ;   in Loop: Header=BB6_5133 Depth=2
	s_and_not1_saveexec_b32 s10, s10
; %bb.7225:                             ;   in Loop: Header=BB6_5133 Depth=2
	v_mov_b64_e32 v[0:1], v[24:25]
	v_bfe_u32 v2, v24, 23, 1
; %bb.7226:                             ;   in Loop: Header=BB6_5133 Depth=2
	s_or_b32 exec_lo, exec_lo, s10
	s_delay_alu instid0(VALU_DEP_2) | instskip(NEXT) | instid1(VALU_DEP_2)
	v_lshrrev_b64 v[0:1], 21, v[0:1]
	v_cmp_gt_i32_e32 vcc_lo, 32, v2
	v_cmp_ne_u32_e64 s10, 0, v2
                                        ; implicit-def: $vgpr22
	s_delay_alu instid0(VALU_DEP_3) | instskip(NEXT) | instid1(VALU_DEP_1)
	v_dual_cndmask_b32 v1, 0, v1 :: v_dual_cndmask_b32 v0, 3, v0
	v_cmp_ne_u64_e32 vcc_lo, 0, v[0:1]
	s_or_b32 s10, s10, vcc_lo
	s_delay_alu instid0(SALU_CYCLE_1) | instskip(NEXT) | instid1(SALU_CYCLE_1)
	s_and_saveexec_b32 s44, s10
	s_xor_b32 s10, exec_lo, s44
; %bb.7227:                             ;   in Loop: Header=BB6_5133 Depth=2
	v_min_i32_e32 v1, 31, v2
	s_delay_alu instid0(VALU_DEP_1) | instskip(NEXT) | instid1(VALU_DEP_1)
	v_lshl_or_b32 v1, v1, 2, v23
                                        ; implicit-def: $vgpr23
	v_and_or_b32 v22, v0, 3, v1
; %bb.7228:                             ;   in Loop: Header=BB6_5133 Depth=2
	s_and_not1_saveexec_b32 s10, s10
; %bb.7229:                             ;   in Loop: Header=BB6_5133 Depth=2
	v_mov_b32_e32 v22, v23
; %bb.7230:                             ;   in Loop: Header=BB6_5133 Depth=2
	s_or_b32 exec_lo, exec_lo, s10
.LBB6_7231:                             ;   in Loop: Header=BB6_5133 Depth=2
	s_delay_alu instid0(SALU_CYCLE_1)
	s_or_b32 exec_lo, exec_lo, s43
                                        ; implicit-def: $vgpr23
.LBB6_7232:                             ;   in Loop: Header=BB6_5133 Depth=2
	s_and_not1_saveexec_b32 s10, s42
; %bb.7233:                             ;   in Loop: Header=BB6_5133 Depth=2
	v_or_b32_e32 v22, 0x7b, v23
; %bb.7234:                             ;   in Loop: Header=BB6_5133 Depth=2
	s_or_b32 exec_lo, exec_lo, s10
                                        ; implicit-def: $vgpr1
.LBB6_7235:                             ;   in Loop: Header=BB6_5133 Depth=2
	s_and_not1_saveexec_b32 s10, s11
	s_cbranch_execz .LBB6_7241
; %bb.7236:                             ;   in Loop: Header=BB6_5133 Depth=2
	s_mov_b32 s11, exec_lo
                                        ; implicit-def: $vgpr22
	v_cmpx_ne_u64_e32 0, v[24:25]
	s_xor_b32 s11, exec_lo, s11
; %bb.7237:                             ;   in Loop: Header=BB6_5133 Depth=2
	v_lshrrev_b32_e32 v0, 24, v1
                                        ; implicit-def: $vgpr1
	s_delay_alu instid0(VALU_DEP_1)
	v_or_b32_e32 v22, 0x7f, v0
; %bb.7238:                             ;   in Loop: Header=BB6_5133 Depth=2
	s_and_not1_saveexec_b32 s11, s11
; %bb.7239:                             ;   in Loop: Header=BB6_5133 Depth=2
	v_cmp_lt_i32_e32 vcc_lo, -1, v1
	v_cndmask_b32_e64 v22, -4, 0x7c, vcc_lo
; %bb.7240:                             ;   in Loop: Header=BB6_5133 Depth=2
	s_or_b32 exec_lo, exec_lo, s11
.LBB6_7241:                             ;   in Loop: Header=BB6_5133 Depth=2
	s_delay_alu instid0(SALU_CYCLE_1)
	s_or_b32 exec_lo, exec_lo, s10
	v_and_b32_e32 v0, 0xff, v60
	v_cmp_ne_u16_e64 s10, 0, v60
	s_and_not1_b32 vcc_lo, exec_lo, s15
	s_mov_b32 s11, -1
                                        ; implicit-def: $vgpr2
	s_cbranch_vccnz .LBB6_7263
; %bb.7242:                             ;   in Loop: Header=BB6_5133 Depth=2
	v_dual_mov_b32 v2, 0 :: v_dual_mov_b32 v1, 0
	s_and_saveexec_b32 s11, s10
	s_cbranch_execz .LBB6_7252
; %bb.7243:                             ;   in Loop: Header=BB6_5133 Depth=2
	v_bfrev_b32_e32 v1, 1
	s_mov_b32 s42, exec_lo
	v_cmpx_ne_u16_e32 0xff80, v60
	s_cbranch_execz .LBB6_7251
; %bb.7244:                             ;   in Loop: Header=BB6_5133 Depth=2
	v_and_b32_e32 v1, 0x7c, v0
	v_and_b32_e32 v3, 3, v0
	s_delay_alu instid0(VALU_DEP_2) | instskip(SKIP_1) | instid1(SALU_CYCLE_1)
	v_cmp_ne_u32_e32 vcc_lo, 0x7c, v1
                                        ; implicit-def: $vgpr1
	s_and_saveexec_b32 s43, vcc_lo
	s_xor_b32 s43, exec_lo, s43
	s_cbranch_execz .LBB6_7248
; %bb.7245:                             ;   in Loop: Header=BB6_5133 Depth=2
	v_bfe_u32 v1, v0, 2, 5
	s_mov_b32 s44, exec_lo
	s_delay_alu instid0(VALU_DEP_1)
	v_cmpx_eq_u32_e32 0, v1
	s_cbranch_execz .LBB6_7247
; %bb.7246:                             ;   in Loop: Header=BB6_5133 Depth=2
	v_clz_i32_u32_e32 v1, v3
	s_delay_alu instid0(VALU_DEP_1) | instskip(SKIP_1) | instid1(VALU_DEP_2)
	v_min_u32_e32 v1, 32, v1
	v_mov_b32_e32 v61, v25
	v_subrev_nc_u32_e32 v3, 29, v1
	v_sub_nc_u32_e32 v1, 30, v1
	s_delay_alu instid0(VALU_DEP_2) | instskip(NEXT) | instid1(VALU_DEP_1)
	v_lshlrev_b64_e32 v[36:37], v3, v[60:61]
	v_and_b32_e32 v3, 3, v36
.LBB6_7247:                             ;   in Loop: Header=BB6_5133 Depth=2
	s_or_b32 exec_lo, exec_lo, s44
	v_bfe_i32 v23, v60, 0, 16
	s_delay_alu instid0(VALU_DEP_1) | instskip(NEXT) | instid1(VALU_DEP_1)
	v_and_b32_e32 v23, 0x80000000, v23
	v_lshl_add_u32 v1, v1, 23, v23
	s_delay_alu instid0(VALU_DEP_1) | instskip(NEXT) | instid1(VALU_DEP_1)
	v_lshl_or_b32 v1, v3, 21, v1
                                        ; implicit-def: $vgpr3
	v_add_nc_u32_e32 v1, 0x38000000, v1
.LBB6_7248:                             ;   in Loop: Header=BB6_5133 Depth=2
	s_and_not1_saveexec_b32 s43, s43
; %bb.7249:                             ;   in Loop: Header=BB6_5133 Depth=2
	v_cmp_lt_i16_e32 vcc_lo, -1, v60
	v_cndmask_b32_e32 v1, 0xff800000, v44, vcc_lo
	v_cmp_eq_u32_e32 vcc_lo, 0, v3
	s_delay_alu instid0(VALU_DEP_2)
	v_cndmask_b32_e32 v1, 0x7f800001, v1, vcc_lo
; %bb.7250:                             ;   in Loop: Header=BB6_5133 Depth=2
	s_or_b32 exec_lo, exec_lo, s43
.LBB6_7251:                             ;   in Loop: Header=BB6_5133 Depth=2
	s_delay_alu instid0(SALU_CYCLE_1)
	s_or_b32 exec_lo, exec_lo, s42
.LBB6_7252:                             ;   in Loop: Header=BB6_5133 Depth=2
	s_delay_alu instid0(SALU_CYCLE_1) | instskip(NEXT) | instid1(SALU_CYCLE_1)
	s_or_b32 exec_lo, exec_lo, s11
	s_mov_b32 s11, exec_lo
	v_cmpx_ne_u16_e32 0, v70
	s_cbranch_execz .LBB6_7262
; %bb.7253:                             ;   in Loop: Header=BB6_5133 Depth=2
	v_bfrev_b32_e32 v2, 1
	s_mov_b32 s42, exec_lo
	v_cmpx_ne_u16_e32 0xff80, v70
	s_cbranch_execz .LBB6_7261
; %bb.7254:                             ;   in Loop: Header=BB6_5133 Depth=2
	v_and_b32_e32 v2, 0x7c, v70
	v_and_b32_e32 v3, 3, v70
	s_delay_alu instid0(VALU_DEP_2) | instskip(SKIP_1) | instid1(SALU_CYCLE_1)
	v_cmp_ne_u32_e32 vcc_lo, 0x7c, v2
                                        ; implicit-def: $vgpr2
	s_and_saveexec_b32 s43, vcc_lo
	s_xor_b32 s43, exec_lo, s43
	s_cbranch_execz .LBB6_7258
; %bb.7255:                             ;   in Loop: Header=BB6_5133 Depth=2
	v_and_b32_e32 v2, 0xff, v70
	s_mov_b32 s44, exec_lo
	s_delay_alu instid0(VALU_DEP_1) | instskip(NEXT) | instid1(VALU_DEP_1)
	v_bfe_u32 v2, v2, 2, 5
	v_cmpx_eq_u32_e32 0, v2
	s_cbranch_execz .LBB6_7257
; %bb.7256:                             ;   in Loop: Header=BB6_5133 Depth=2
	v_clz_i32_u32_e32 v2, v3
	s_delay_alu instid0(VALU_DEP_1) | instskip(SKIP_1) | instid1(VALU_DEP_2)
	v_min_u32_e32 v2, 32, v2
	v_mov_b32_e32 v71, v25
	v_subrev_nc_u32_e32 v3, 29, v2
	v_sub_nc_u32_e32 v2, 30, v2
	s_delay_alu instid0(VALU_DEP_2) | instskip(NEXT) | instid1(VALU_DEP_1)
	v_lshlrev_b64_e32 v[36:37], v3, v[70:71]
	v_and_b32_e32 v3, 3, v36
.LBB6_7257:                             ;   in Loop: Header=BB6_5133 Depth=2
	s_or_b32 exec_lo, exec_lo, s44
	v_bfe_i32 v23, v70, 0, 16
	s_delay_alu instid0(VALU_DEP_1) | instskip(NEXT) | instid1(VALU_DEP_1)
	v_and_b32_e32 v23, 0x80000000, v23
	v_lshl_add_u32 v2, v2, 23, v23
	s_delay_alu instid0(VALU_DEP_1) | instskip(NEXT) | instid1(VALU_DEP_1)
	v_lshl_or_b32 v2, v3, 21, v2
                                        ; implicit-def: $vgpr3
	v_add_nc_u32_e32 v2, 0x38000000, v2
.LBB6_7258:                             ;   in Loop: Header=BB6_5133 Depth=2
	s_and_not1_saveexec_b32 s43, s43
; %bb.7259:                             ;   in Loop: Header=BB6_5133 Depth=2
	v_cmp_lt_i16_e32 vcc_lo, -1, v70
	v_cndmask_b32_e32 v2, 0xff800000, v44, vcc_lo
	v_cmp_eq_u32_e32 vcc_lo, 0, v3
	s_delay_alu instid0(VALU_DEP_2)
	v_cndmask_b32_e32 v2, 0x7f800001, v2, vcc_lo
; %bb.7260:                             ;   in Loop: Header=BB6_5133 Depth=2
	s_or_b32 exec_lo, exec_lo, s43
.LBB6_7261:                             ;   in Loop: Header=BB6_5133 Depth=2
	s_delay_alu instid0(SALU_CYCLE_1)
	s_or_b32 exec_lo, exec_lo, s42
.LBB6_7262:                             ;   in Loop: Header=BB6_5133 Depth=2
	s_delay_alu instid0(SALU_CYCLE_1) | instskip(NEXT) | instid1(VALU_DEP_1)
	s_or_b32 exec_lo, exec_lo, s11
	v_dual_max_num_f32 v2, v2, v2 :: v_dual_max_num_f32 v1, v1, v1
	s_mov_b32 s11, 0
	s_delay_alu instid0(VALU_DEP_1)
	v_max_num_f32_e32 v2, v1, v2
.LBB6_7263:                             ;   in Loop: Header=BB6_5133 Depth=2
	s_and_b32 vcc_lo, exec_lo, s11
	s_cbranch_vccz .LBB6_7285
; %bb.7264:                             ;   in Loop: Header=BB6_5133 Depth=2
	v_dual_mov_b32 v2, 0 :: v_dual_mov_b32 v1, 0
	s_and_saveexec_b32 s11, s10
	s_cbranch_execz .LBB6_7274
; %bb.7265:                             ;   in Loop: Header=BB6_5133 Depth=2
	v_bfrev_b32_e32 v1, 1
	s_mov_b32 s10, exec_lo
	v_cmpx_ne_u16_e32 0xff80, v60
	s_cbranch_execz .LBB6_7273
; %bb.7266:                             ;   in Loop: Header=BB6_5133 Depth=2
	v_and_b32_e32 v1, 0x7c, v0
	v_and_b32_e32 v3, 3, v0
	s_delay_alu instid0(VALU_DEP_2) | instskip(SKIP_1) | instid1(SALU_CYCLE_1)
	v_cmp_ne_u32_e32 vcc_lo, 0x7c, v1
                                        ; implicit-def: $vgpr1
	s_and_saveexec_b32 s42, vcc_lo
	s_xor_b32 s42, exec_lo, s42
	s_cbranch_execz .LBB6_7270
; %bb.7267:                             ;   in Loop: Header=BB6_5133 Depth=2
	v_bfe_u32 v0, v0, 2, 5
	s_mov_b32 s43, exec_lo
	s_delay_alu instid0(VALU_DEP_1)
	v_cmpx_eq_u32_e32 0, v0
	s_cbranch_execz .LBB6_7269
; %bb.7268:                             ;   in Loop: Header=BB6_5133 Depth=2
	v_clz_i32_u32_e32 v0, v3
	s_delay_alu instid0(VALU_DEP_1) | instskip(SKIP_1) | instid1(VALU_DEP_2)
	v_min_u32_e32 v0, 32, v0
	v_mov_b32_e32 v61, v25
	v_subrev_nc_u32_e32 v1, 29, v0
	v_sub_nc_u32_e32 v0, 30, v0
	s_delay_alu instid0(VALU_DEP_2) | instskip(NEXT) | instid1(VALU_DEP_1)
	v_lshlrev_b64_e32 v[36:37], v1, v[60:61]
	v_and_b32_e32 v3, 3, v36
.LBB6_7269:                             ;   in Loop: Header=BB6_5133 Depth=2
	s_or_b32 exec_lo, exec_lo, s43
	v_bfe_i32 v1, v60, 0, 16
                                        ; implicit-def: $vgpr60
	s_delay_alu instid0(VALU_DEP_1) | instskip(NEXT) | instid1(VALU_DEP_1)
	v_and_b32_e32 v1, 0x80000000, v1
	v_lshl_add_u32 v0, v0, 23, v1
	s_delay_alu instid0(VALU_DEP_1) | instskip(NEXT) | instid1(VALU_DEP_1)
	v_lshl_or_b32 v0, v3, 21, v0
                                        ; implicit-def: $vgpr3
	v_add_nc_u32_e32 v1, 0x38000000, v0
.LBB6_7270:                             ;   in Loop: Header=BB6_5133 Depth=2
	s_and_not1_saveexec_b32 s42, s42
; %bb.7271:                             ;   in Loop: Header=BB6_5133 Depth=2
	v_cmp_lt_i16_e32 vcc_lo, -1, v60
	v_cndmask_b32_e32 v0, 0xff800000, v44, vcc_lo
	v_cmp_eq_u32_e32 vcc_lo, 0, v3
	s_delay_alu instid0(VALU_DEP_2)
	v_cndmask_b32_e32 v1, 0x7f800001, v0, vcc_lo
; %bb.7272:                             ;   in Loop: Header=BB6_5133 Depth=2
	s_or_b32 exec_lo, exec_lo, s42
.LBB6_7273:                             ;   in Loop: Header=BB6_5133 Depth=2
	s_delay_alu instid0(SALU_CYCLE_1)
	s_or_b32 exec_lo, exec_lo, s10
.LBB6_7274:                             ;   in Loop: Header=BB6_5133 Depth=2
	s_delay_alu instid0(SALU_CYCLE_1) | instskip(NEXT) | instid1(SALU_CYCLE_1)
	s_or_b32 exec_lo, exec_lo, s11
	s_mov_b32 s10, exec_lo
	v_cmpx_ne_u16_e32 0, v70
	s_cbranch_execz .LBB6_7284
; %bb.7275:                             ;   in Loop: Header=BB6_5133 Depth=2
	v_bfrev_b32_e32 v2, 1
	s_mov_b32 s11, exec_lo
	v_cmpx_ne_u16_e32 0xff80, v70
	s_cbranch_execz .LBB6_7283
; %bb.7276:                             ;   in Loop: Header=BB6_5133 Depth=2
	v_and_b32_e32 v2, 0x7c, v70
	v_and_b32_e32 v0, 3, v70
	s_delay_alu instid0(VALU_DEP_2) | instskip(SKIP_1) | instid1(SALU_CYCLE_1)
	v_cmp_ne_u32_e32 vcc_lo, 0x7c, v2
                                        ; implicit-def: $vgpr2
	s_and_saveexec_b32 s42, vcc_lo
	s_xor_b32 s42, exec_lo, s42
	s_cbranch_execz .LBB6_7280
; %bb.7277:                             ;   in Loop: Header=BB6_5133 Depth=2
	v_and_b32_e32 v2, 0xff, v70
	s_mov_b32 s43, exec_lo
	s_delay_alu instid0(VALU_DEP_1) | instskip(NEXT) | instid1(VALU_DEP_1)
	v_bfe_u32 v2, v2, 2, 5
	v_cmpx_eq_u32_e32 0, v2
	s_cbranch_execz .LBB6_7279
; %bb.7278:                             ;   in Loop: Header=BB6_5133 Depth=2
	v_clz_i32_u32_e32 v0, v0
	s_delay_alu instid0(VALU_DEP_1) | instskip(SKIP_1) | instid1(VALU_DEP_2)
	v_min_u32_e32 v0, 32, v0
	v_mov_b32_e32 v71, v25
	v_subrev_nc_u32_e32 v2, 29, v0
	s_delay_alu instid0(VALU_DEP_1) | instskip(SKIP_1) | instid1(VALU_DEP_2)
	v_lshlrev_b64_e32 v[36:37], v2, v[70:71]
	v_sub_nc_u32_e32 v2, 30, v0
	v_and_b32_e32 v0, 3, v36
.LBB6_7279:                             ;   in Loop: Header=BB6_5133 Depth=2
	s_or_b32 exec_lo, exec_lo, s43
	v_bfe_i32 v3, v70, 0, 16
                                        ; implicit-def: $vgpr70
	s_delay_alu instid0(VALU_DEP_1) | instskip(NEXT) | instid1(VALU_DEP_1)
	v_and_b32_e32 v3, 0x80000000, v3
	v_lshl_add_u32 v2, v2, 23, v3
	s_delay_alu instid0(VALU_DEP_1) | instskip(NEXT) | instid1(VALU_DEP_1)
	v_lshl_or_b32 v0, v0, 21, v2
	v_add_nc_u32_e32 v2, 0x38000000, v0
                                        ; implicit-def: $vgpr0
.LBB6_7280:                             ;   in Loop: Header=BB6_5133 Depth=2
	s_and_not1_saveexec_b32 s42, s42
; %bb.7281:                             ;   in Loop: Header=BB6_5133 Depth=2
	v_cmp_lt_i16_e32 vcc_lo, -1, v70
	v_cndmask_b32_e32 v2, 0xff800000, v44, vcc_lo
	v_cmp_eq_u32_e32 vcc_lo, 0, v0
	s_delay_alu instid0(VALU_DEP_2)
	v_cndmask_b32_e32 v2, 0x7f800001, v2, vcc_lo
; %bb.7282:                             ;   in Loop: Header=BB6_5133 Depth=2
	s_or_b32 exec_lo, exec_lo, s42
.LBB6_7283:                             ;   in Loop: Header=BB6_5133 Depth=2
	s_delay_alu instid0(SALU_CYCLE_1)
	s_or_b32 exec_lo, exec_lo, s11
.LBB6_7284:                             ;   in Loop: Header=BB6_5133 Depth=2
	s_delay_alu instid0(SALU_CYCLE_1) | instskip(NEXT) | instid1(VALU_DEP_1)
	s_or_b32 exec_lo, exec_lo, s10
	v_dual_max_num_f32 v0, v2, v2 :: v_dual_max_num_f32 v1, v1, v1
	s_delay_alu instid0(VALU_DEP_1)
	v_min_num_f32_e32 v2, v1, v0
.LBB6_7285:                             ;   in Loop: Header=BB6_5133 Depth=2
	s_delay_alu instid0(VALU_DEP_1) | instskip(SKIP_2) | instid1(VALU_DEP_2)
	v_and_b32_e32 v0, 0x7f800000, v2
	v_mov_b32_e32 v1, v25
	v_and_b32_e32 v24, 0x7fffff, v2
	v_cmp_ne_u64_e32 vcc_lo, 0x7f800000, v[0:1]
                                        ; implicit-def: $vgpr1
	s_and_saveexec_b32 s10, vcc_lo
	s_delay_alu instid0(SALU_CYCLE_1)
	s_xor_b32 s11, exec_lo, s10
	s_cbranch_execz .LBB6_7303
; %bb.7286:                             ;   in Loop: Header=BB6_5133 Depth=2
	v_and_b32_e32 v0, 0x7fffffff, v2
	v_dual_mov_b32 v1, v25 :: v_dual_lshrrev_b32 v3, 24, v2
	s_delay_alu instid0(VALU_DEP_1) | instskip(NEXT) | instid1(VALU_DEP_2)
	v_cmp_gt_u64_e32 vcc_lo, 0x47600001, v[0:1]
	v_and_b32_e32 v23, 0x80, v3
                                        ; implicit-def: $vgpr1
	s_and_saveexec_b32 s10, vcc_lo
	s_delay_alu instid0(SALU_CYCLE_1)
	s_xor_b32 s42, exec_lo, s10
	s_cbranch_execz .LBB6_7300
; %bb.7287:                             ;   in Loop: Header=BB6_5133 Depth=2
	v_mov_b32_e32 v1, 0
	s_mov_b32 s43, exec_lo
	v_cmpx_ne_u32_e32 0, v2
	s_cbranch_execz .LBB6_7299
; %bb.7288:                             ;   in Loop: Header=BB6_5133 Depth=2
	v_bfe_u32 v27, v2, 23, 8
	v_or_b32_e32 v2, 0x800000, v24
	s_delay_alu instid0(VALU_DEP_2) | instskip(SKIP_1) | instid1(VALU_DEP_2)
	v_sub_nc_u32_e32 v0, 0x71, v27
	v_cmp_gt_u32_e32 vcc_lo, 0x72, v27
	v_cndmask_b32_e32 v0, 0, v0, vcc_lo
	v_cmp_eq_u32_e32 vcc_lo, 0, v27
	s_delay_alu instid0(VALU_DEP_2) | instskip(NEXT) | instid1(VALU_DEP_1)
	v_cndmask_b32_e64 v33, v0, 0x70, vcc_lo
	v_dual_cndmask_b32 v24, v2, v24, vcc_lo :: v_dual_add_nc_u32 v0, 21, v33
	v_add_nc_u32_e32 v3, 20, v33
	s_delay_alu instid0(VALU_DEP_2) | instskip(NEXT) | instid1(VALU_DEP_2)
	v_lshlrev_b64_e64 v[0:1], v0, -1
	v_lshlrev_b64_e64 v[2:3], v3, 1
	s_delay_alu instid0(VALU_DEP_2) | instskip(NEXT) | instid1(VALU_DEP_3)
	v_bfi_b32 v37, v1, 0, 0
	v_bfi_b32 v36, v0, 0, v24
	v_lshrrev_b64 v[0:1], v33, v[24:25]
	s_delay_alu instid0(VALU_DEP_2) | instskip(NEXT) | instid1(VALU_DEP_2)
	v_cmp_eq_u64_e64 s10, v[36:37], v[2:3]
	v_mov_b64_e32 v[2:3], v[0:1]
	s_and_saveexec_b32 s44, s10
; %bb.7289:                             ;   in Loop: Header=BB6_5133 Depth=2
	v_bfe_u32 v24, v0, 21, 1
	s_delay_alu instid0(VALU_DEP_1) | instskip(NEXT) | instid1(VALU_DEP_1)
	v_add_nc_u64_e32 v[2:3], v[0:1], v[24:25]
	v_add_nc_u64_e32 v[2:3], -1, v[2:3]
; %bb.7290:                             ;   in Loop: Header=BB6_5133 Depth=2
	s_or_b32 exec_lo, exec_lo, s44
	v_add_nc_u32_e32 v1, 0xffffff81, v27
	v_lshrrev_b32_e32 v3, 23, v0
	s_mov_b32 s10, exec_lo
	s_delay_alu instid0(VALU_DEP_2) | instskip(NEXT) | instid1(VALU_DEP_1)
	v_cndmask_b32_e64 v1, v1, 0xffffff82, vcc_lo
	v_add3_u32 v3, v33, v1, v3
	v_and_b32_e32 v1, 0x1fffff, v2
                                        ; implicit-def: $vgpr2
	s_delay_alu instid0(VALU_DEP_1) | instskip(NEXT) | instid1(VALU_DEP_1)
	v_dual_add_nc_u32 v27, 14, v3 :: v_dual_add_nc_u32 v24, v1, v0
                                        ; implicit-def: $vgpr0_vgpr1
	v_cmpx_ne_u32_e32 0, v27
	s_xor_b32 s10, exec_lo, s10
; %bb.7291:                             ;   in Loop: Header=BB6_5133 Depth=2
	s_delay_alu instid0(VALU_DEP_2) | instskip(SKIP_1) | instid1(VALU_DEP_1)
	v_cmp_lt_u64_e32 vcc_lo, 0xffffff, v[24:25]
	v_add_nc_u32_e32 v0, 15, v3
	v_cndmask_b32_e32 v2, v27, v0, vcc_lo
	v_cndmask_b32_e64 v0, 0, 1, vcc_lo
	s_delay_alu instid0(VALU_DEP_1)
	v_lshrrev_b64 v[0:1], v0, v[24:25]
; %bb.7292:                             ;   in Loop: Header=BB6_5133 Depth=2
	s_and_not1_saveexec_b32 s10, s10
; %bb.7293:                             ;   in Loop: Header=BB6_5133 Depth=2
	v_mov_b64_e32 v[0:1], v[24:25]
	v_bfe_u32 v2, v24, 23, 1
; %bb.7294:                             ;   in Loop: Header=BB6_5133 Depth=2
	s_or_b32 exec_lo, exec_lo, s10
	s_delay_alu instid0(VALU_DEP_2) | instskip(NEXT) | instid1(VALU_DEP_2)
	v_lshrrev_b64 v[0:1], 21, v[0:1]
	v_cmp_gt_i32_e32 vcc_lo, 32, v2
	v_cmp_ne_u32_e64 s10, 0, v2
	s_delay_alu instid0(VALU_DEP_3) | instskip(NEXT) | instid1(VALU_DEP_1)
	v_dual_cndmask_b32 v1, 0, v1 :: v_dual_cndmask_b32 v0, 3, v0
	v_cmp_ne_u64_e32 vcc_lo, 0, v[0:1]
                                        ; implicit-def: $vgpr1
	s_or_b32 s10, s10, vcc_lo
	s_delay_alu instid0(SALU_CYCLE_1) | instskip(NEXT) | instid1(SALU_CYCLE_1)
	s_and_saveexec_b32 s44, s10
	s_xor_b32 s10, exec_lo, s44
; %bb.7295:                             ;   in Loop: Header=BB6_5133 Depth=2
	v_min_i32_e32 v1, 31, v2
	s_delay_alu instid0(VALU_DEP_1) | instskip(NEXT) | instid1(VALU_DEP_1)
	v_lshl_or_b32 v1, v1, 2, v23
                                        ; implicit-def: $vgpr23
	v_and_or_b32 v1, v0, 3, v1
; %bb.7296:                             ;   in Loop: Header=BB6_5133 Depth=2
	s_and_not1_saveexec_b32 s10, s10
; %bb.7297:                             ;   in Loop: Header=BB6_5133 Depth=2
	v_mov_b32_e32 v1, v23
; %bb.7298:                             ;   in Loop: Header=BB6_5133 Depth=2
	s_or_b32 exec_lo, exec_lo, s10
.LBB6_7299:                             ;   in Loop: Header=BB6_5133 Depth=2
	s_delay_alu instid0(SALU_CYCLE_1)
	s_or_b32 exec_lo, exec_lo, s43
                                        ; implicit-def: $vgpr23
.LBB6_7300:                             ;   in Loop: Header=BB6_5133 Depth=2
	s_and_not1_saveexec_b32 s10, s42
; %bb.7301:                             ;   in Loop: Header=BB6_5133 Depth=2
	v_or_b32_e32 v1, 0x7b, v23
; %bb.7302:                             ;   in Loop: Header=BB6_5133 Depth=2
	s_or_b32 exec_lo, exec_lo, s10
                                        ; implicit-def: $vgpr2
.LBB6_7303:                             ;   in Loop: Header=BB6_5133 Depth=2
	s_and_not1_saveexec_b32 s10, s11
	s_cbranch_execz .LBB6_5132
; %bb.7304:                             ;   in Loop: Header=BB6_5133 Depth=2
	s_mov_b32 s11, exec_lo
                                        ; implicit-def: $vgpr1
	v_cmpx_ne_u64_e32 0, v[24:25]
	s_xor_b32 s11, exec_lo, s11
; %bb.7305:                             ;   in Loop: Header=BB6_5133 Depth=2
	v_lshrrev_b32_e32 v0, 24, v2
                                        ; implicit-def: $vgpr2
	s_delay_alu instid0(VALU_DEP_1)
	v_or_b32_e32 v1, 0x7f, v0
; %bb.7306:                             ;   in Loop: Header=BB6_5133 Depth=2
	s_and_not1_saveexec_b32 s11, s11
	s_cbranch_execz .LBB6_5131
; %bb.7307:                             ;   in Loop: Header=BB6_5133 Depth=2
	v_cmp_lt_i32_e32 vcc_lo, -1, v2
	v_cndmask_b32_e64 v1, -4, 0x7c, vcc_lo
	s_branch .LBB6_5131
.LBB6_7308:                             ;   in Loop: Header=BB6_49 Depth=1
	s_or_b32 exec_lo, exec_lo, s14
	s_clause 0x13
	scratch_load_b32 v102, off, s33 offset:348
	scratch_load_b32 v103, off, s33 offset:352
	scratch_load_b32 v112, off, s33 offset:324
	scratch_load_b32 v58, off, s33 offset:344
	scratch_load_b64 v[114:115], off, s33 offset:328
	scratch_load_b64 v[72:73], off, s33 offset:356
	scratch_load_b32 v59, off, s33 offset:364
	scratch_load_b64 v[46:47], off, s33 offset:336
	scratch_load_b64 v[74:75], off, s33 offset:416
	scratch_load_b32 v76, off, s33 offset:424
	scratch_load_b64 v[78:79], off, s33 offset:428
	scratch_load_b64 v[88:89], off, s33 offset:436
	;; [unrolled: 1-line block ×6, first 2 shown]
	scratch_load_b32 v9, off, s33 offset:400
	scratch_load_b32 v3, off, s33 offset:404
	scratch_load_b32 v4, off, s33 offset:408
	scratch_load_b32 v5, off, s33 offset:412
	v_dual_mov_b32 v77, 1 :: v_dual_mov_b32 v92, 0x90
	v_mov_b32_e32 v93, 0x7c
.LBB6_7309:                             ;   in Loop: Header=BB6_49 Depth=1
	s_wait_xcnt 0x0
	s_or_b32 exec_lo, exec_lo, s12
	s_wait_loadcnt 0x2
	v_and_b32_e32 v0, 0xfffffc00, v3
	s_delay_alu instid0(VALU_DEP_1)
	v_cmp_ne_u32_e32 vcc_lo, v3, v0
	s_and_b32 exec_lo, exec_lo, vcc_lo
	s_cbranch_execz .LBB6_7381
; %bb.7310:                             ;   in Loop: Header=BB6_49 Depth=1
	s_wait_loadcnt 0x0
	v_dual_lshlrev_b32 v1, 5, v5 :: v_dual_lshlrev_b32 v2, 5, v126
	s_delay_alu instid0(VALU_DEP_1) | instskip(NEXT) | instid1(VALU_DEP_1)
	v_sub_nc_u32_e32 v1, v4, v1
	v_sub_nc_u32_e32 v1, v1, v2
	v_and_b32_e32 v2, 0x3ff, v3
	s_delay_alu instid0(VALU_DEP_1) | instskip(NEXT) | instid1(VALU_DEP_1)
	v_sub_nc_u32_e32 v10, v2, v1
	v_cmp_lt_i32_e32 vcc_lo, 0, v10
	s_and_b32 exec_lo, exec_lo, vcc_lo
	s_cbranch_execz .LBB6_7381
; %bb.7311:                             ;   in Loop: Header=BB6_49 Depth=1
	s_trap 2
	ds_load_b128 v[2:5], v0
	ds_load_b64 v[6:7], v0
	v_add3_u32 v8, v0, v9, v1
	s_bitcmp1_b32 s41, 0
	s_mov_b32 s14, 0
	s_cselect_b32 s15, -1, 0
	s_delay_alu instid0(VALU_DEP_1) | instskip(SKIP_1) | instid1(VALU_DEP_1)
	v_ashrrev_i32_e32 v9, 31, v8
	s_wait_dscnt 0x1
	v_add_nc_u64_e32 v[0:1], v[2:3], v[8:9]
	v_add_nc_u64_e32 v[2:3], v[4:5], v[8:9]
	s_wait_dscnt 0x0
	v_add_nc_u64_e32 v[4:5], v[6:7], v[8:9]
	s_branch .LBB6_7314
.LBB6_7312:                             ;   in Loop: Header=BB6_7314 Depth=2
	s_or_b32 exec_lo, exec_lo, s11
.LBB6_7313:                             ;   in Loop: Header=BB6_7314 Depth=2
	s_delay_alu instid0(SALU_CYCLE_1)
	s_or_b32 exec_lo, exec_lo, s10
	v_sub_nc_u32_e32 v10, v10, v90
	flat_store_b8 v[4:5], v7 th:TH_STORE_NT
	v_add_nc_u64_e32 v[0:1], v[0:1], v[90:91]
	v_add_nc_u64_e32 v[2:3], v[2:3], v[90:91]
	s_wait_xcnt 0x0
	v_add_nc_u64_e32 v[4:5], v[4:5], v[90:91]
	v_cmp_gt_i32_e32 vcc_lo, 1, v10
	s_or_b32 s14, vcc_lo, s14
	s_delay_alu instid0(SALU_CYCLE_1)
	s_and_not1_b32 exec_lo, exec_lo, s14
	s_cbranch_execz .LBB6_7381
.LBB6_7314:                             ;   Parent Loop BB6_49 Depth=1
                                        ; =>  This Inner Loop Header: Depth=2
	flat_load_u8 v7, v[0:1] th:TH_LOAD_NT
	flat_load_u8 v8, v[2:3] th:TH_LOAD_NT
	v_mov_b32_e32 v17, 0x7f800000
	s_mov_b32 s41, -1
                                        ; implicit-def: $vgpr13
	s_wait_loadcnt_dscnt 0x101
	v_bfe_i32 v6, v7, 0, 8
	s_wait_loadcnt_dscnt 0x0
	v_bfe_i32 v9, v8, 0, 8
	v_lshlrev_b32_e32 v11, 24, v8
	v_cmp_ne_u16_e64 s11, 0, v8
	v_and_b32_e32 v24, 0xffff, v8
	v_cmp_ne_u16_e64 s10, 0x80, v8
	v_cmp_lt_i16_e32 vcc_lo, -1, v9
	v_and_b32_e32 v12, 0xffff, v7
	v_cmp_ne_u16_e64 s12, 0, v7
	v_and_or_b32 v8, 0x80000000, v11, s28
	v_cndmask_b32_e32 v11, 0xff800000, v17, vcc_lo
	s_and_b32 vcc_lo, exec_lo, s15
	s_cbranch_vccz .LBB6_7336
; %bb.7315:                             ;   in Loop: Header=BB6_7314 Depth=2
	v_dual_mov_b32 v13, 0 :: v_dual_mov_b32 v7, 0
	s_wait_xcnt 0x0
	s_and_saveexec_b32 s41, s12
	s_cbranch_execz .LBB6_7325
; %bb.7316:                             ;   in Loop: Header=BB6_7314 Depth=2
	v_bfrev_b32_e32 v7, 1
	s_mov_b32 s42, exec_lo
	v_cmpx_ne_u16_e32 0xff80, v6
	s_cbranch_execz .LBB6_7324
; %bb.7317:                             ;   in Loop: Header=BB6_7314 Depth=2
	v_and_b32_e32 v7, 0x7c, v12
	v_and_b32_e32 v14, 3, v12
	s_delay_alu instid0(VALU_DEP_2) | instskip(SKIP_1) | instid1(SALU_CYCLE_1)
	v_cmp_ne_u32_e32 vcc_lo, 0x7c, v7
                                        ; implicit-def: $vgpr7
	s_and_saveexec_b32 s43, vcc_lo
	s_xor_b32 s43, exec_lo, s43
	s_cbranch_execz .LBB6_7321
; %bb.7318:                             ;   in Loop: Header=BB6_7314 Depth=2
	v_bfe_u32 v7, v12, 2, 5
	s_mov_b32 s44, exec_lo
	s_delay_alu instid0(VALU_DEP_1)
	v_cmpx_eq_u32_e32 0, v7
; %bb.7319:                             ;   in Loop: Header=BB6_7314 Depth=2
	v_clz_i32_u32_e32 v7, v14
	s_delay_alu instid0(VALU_DEP_1) | instskip(SKIP_1) | instid1(VALU_DEP_2)
	v_min_u32_e32 v16, 32, v7
	v_mov_b32_e32 v7, v25
	v_subrev_nc_u32_e32 v14, 29, v16
	s_delay_alu instid0(VALU_DEP_1) | instskip(NEXT) | instid1(VALU_DEP_1)
	v_lshlrev_b64_e32 v[14:15], v14, v[6:7]
	v_dual_sub_nc_u32 v7, 30, v16 :: v_dual_bitop2_b32 v14, 3, v14 bitop3:0x40
; %bb.7320:                             ;   in Loop: Header=BB6_7314 Depth=2
	s_or_b32 exec_lo, exec_lo, s44
	v_bfe_i32 v15, v6, 0, 16
	s_delay_alu instid0(VALU_DEP_1) | instskip(NEXT) | instid1(VALU_DEP_1)
	v_and_b32_e32 v15, 0x80000000, v15
	v_lshl_add_u32 v7, v7, 23, v15
	s_delay_alu instid0(VALU_DEP_1) | instskip(NEXT) | instid1(VALU_DEP_1)
	v_lshl_or_b32 v7, v14, 21, v7
                                        ; implicit-def: $vgpr14
	v_add_nc_u32_e32 v7, 0x38000000, v7
.LBB6_7321:                             ;   in Loop: Header=BB6_7314 Depth=2
	s_and_not1_saveexec_b32 s43, s43
; %bb.7322:                             ;   in Loop: Header=BB6_7314 Depth=2
	v_cmp_lt_i16_e32 vcc_lo, -1, v6
	v_cndmask_b32_e32 v7, 0xff800000, v17, vcc_lo
	v_cmp_eq_u32_e32 vcc_lo, 0, v14
	s_delay_alu instid0(VALU_DEP_2)
	v_cndmask_b32_e32 v7, 0x7f800001, v7, vcc_lo
; %bb.7323:                             ;   in Loop: Header=BB6_7314 Depth=2
	s_or_b32 exec_lo, exec_lo, s43
.LBB6_7324:                             ;   in Loop: Header=BB6_7314 Depth=2
	s_delay_alu instid0(SALU_CYCLE_1)
	s_or_b32 exec_lo, exec_lo, s42
.LBB6_7325:                             ;   in Loop: Header=BB6_7314 Depth=2
	s_delay_alu instid0(SALU_CYCLE_1)
	s_or_b32 exec_lo, exec_lo, s41
	s_and_saveexec_b32 s41, s11
	s_cbranch_execz .LBB6_7335
; %bb.7326:                             ;   in Loop: Header=BB6_7314 Depth=2
	v_bfrev_b32_e32 v13, 1
	s_and_saveexec_b32 s42, s10
	s_cbranch_execz .LBB6_7334
; %bb.7327:                             ;   in Loop: Header=BB6_7314 Depth=2
	v_and_b32_e32 v13, 0x7c, v9
	v_and_b32_e32 v14, 3, v9
	s_delay_alu instid0(VALU_DEP_2) | instskip(SKIP_1) | instid1(SALU_CYCLE_1)
	v_cmp_ne_u32_e32 vcc_lo, 0x7c, v13
                                        ; implicit-def: $vgpr13
	s_and_saveexec_b32 s43, vcc_lo
	s_xor_b32 s43, exec_lo, s43
	s_cbranch_execz .LBB6_7331
; %bb.7328:                             ;   in Loop: Header=BB6_7314 Depth=2
	v_and_b32_e32 v13, 0xff, v9
	s_mov_b32 s44, exec_lo
	s_delay_alu instid0(VALU_DEP_1) | instskip(NEXT) | instid1(VALU_DEP_1)
	v_bfe_u32 v13, v13, 2, 5
	v_cmpx_eq_u32_e32 0, v13
; %bb.7329:                             ;   in Loop: Header=BB6_7314 Depth=2
	v_clz_i32_u32_e32 v13, v14
	s_delay_alu instid0(VALU_DEP_1) | instskip(NEXT) | instid1(VALU_DEP_1)
	v_min_u32_e32 v13, 32, v13
	v_subrev_nc_u32_e32 v14, 29, v13
	s_delay_alu instid0(VALU_DEP_1) | instskip(NEXT) | instid1(VALU_DEP_1)
	v_lshlrev_b64_e32 v[14:15], v14, v[24:25]
	v_dual_sub_nc_u32 v13, 30, v13 :: v_dual_bitop2_b32 v14, 3, v14 bitop3:0x40
; %bb.7330:                             ;   in Loop: Header=BB6_7314 Depth=2
	s_or_b32 exec_lo, exec_lo, s44
	s_delay_alu instid0(VALU_DEP_1) | instskip(NEXT) | instid1(VALU_DEP_1)
	v_lshl_add_u32 v13, v13, 23, v8
	v_lshl_or_b32 v13, v14, 21, v13
                                        ; implicit-def: $vgpr14
.LBB6_7331:                             ;   in Loop: Header=BB6_7314 Depth=2
	s_and_not1_saveexec_b32 s43, s43
; %bb.7332:                             ;   in Loop: Header=BB6_7314 Depth=2
	v_cmp_eq_u32_e32 vcc_lo, 0, v14
	v_cndmask_b32_e32 v13, 0x7f800001, v11, vcc_lo
; %bb.7333:                             ;   in Loop: Header=BB6_7314 Depth=2
	s_or_b32 exec_lo, exec_lo, s43
.LBB6_7334:                             ;   in Loop: Header=BB6_7314 Depth=2
	s_delay_alu instid0(SALU_CYCLE_1)
	s_or_b32 exec_lo, exec_lo, s42
.LBB6_7335:                             ;   in Loop: Header=BB6_7314 Depth=2
	s_delay_alu instid0(SALU_CYCLE_1) | instskip(NEXT) | instid1(VALU_DEP_1)
	s_or_b32 exec_lo, exec_lo, s41
	v_dual_max_num_f32 v13, v13, v13 :: v_dual_max_num_f32 v7, v7, v7
	s_mov_b32 s41, 0
	s_delay_alu instid0(VALU_DEP_1)
	v_max_num_f32_e32 v13, v7, v13
.LBB6_7336:                             ;   in Loop: Header=BB6_7314 Depth=2
	s_and_b32 vcc_lo, exec_lo, s41
	s_cbranch_vccz .LBB6_7358
; %bb.7337:                             ;   in Loop: Header=BB6_7314 Depth=2
	v_dual_mov_b32 v13, 0 :: v_dual_mov_b32 v7, 0
	s_wait_xcnt 0x0
	s_and_saveexec_b32 s41, s12
	s_cbranch_execz .LBB6_7347
; %bb.7338:                             ;   in Loop: Header=BB6_7314 Depth=2
	v_bfrev_b32_e32 v7, 1
	s_mov_b32 s12, exec_lo
	v_cmpx_ne_u16_e32 0xff80, v6
	s_cbranch_execz .LBB6_7346
; %bb.7339:                             ;   in Loop: Header=BB6_7314 Depth=2
	v_and_b32_e32 v7, 0x7c, v12
	v_and_b32_e32 v14, 3, v12
	s_delay_alu instid0(VALU_DEP_2) | instskip(SKIP_1) | instid1(SALU_CYCLE_1)
	v_cmp_ne_u32_e32 vcc_lo, 0x7c, v7
                                        ; implicit-def: $vgpr7
	s_and_saveexec_b32 s42, vcc_lo
	s_xor_b32 s42, exec_lo, s42
	s_cbranch_execz .LBB6_7343
; %bb.7340:                             ;   in Loop: Header=BB6_7314 Depth=2
	v_bfe_u32 v7, v12, 2, 5
	s_mov_b32 s43, exec_lo
	s_delay_alu instid0(VALU_DEP_1)
	v_cmpx_eq_u32_e32 0, v7
; %bb.7341:                             ;   in Loop: Header=BB6_7314 Depth=2
	v_clz_i32_u32_e32 v7, v14
	s_delay_alu instid0(VALU_DEP_1) | instskip(SKIP_1) | instid1(VALU_DEP_2)
	v_min_u32_e32 v12, 32, v7
	v_mov_b32_e32 v7, v25
	v_subrev_nc_u32_e32 v14, 29, v12
	s_delay_alu instid0(VALU_DEP_1) | instskip(NEXT) | instid1(VALU_DEP_1)
	v_lshlrev_b64_e32 v[14:15], v14, v[6:7]
	v_dual_sub_nc_u32 v7, 30, v12 :: v_dual_bitop2_b32 v14, 3, v14 bitop3:0x40
; %bb.7342:                             ;   in Loop: Header=BB6_7314 Depth=2
	s_or_b32 exec_lo, exec_lo, s43
	v_bfe_i32 v6, v6, 0, 16
	s_delay_alu instid0(VALU_DEP_1) | instskip(NEXT) | instid1(VALU_DEP_1)
	v_and_b32_e32 v6, 0x80000000, v6
	v_lshl_add_u32 v6, v7, 23, v6
	s_delay_alu instid0(VALU_DEP_1) | instskip(NEXT) | instid1(VALU_DEP_1)
	v_lshl_or_b32 v6, v14, 21, v6
                                        ; implicit-def: $vgpr14
	v_add_nc_u32_e32 v7, 0x38000000, v6
                                        ; implicit-def: $vgpr6
.LBB6_7343:                             ;   in Loop: Header=BB6_7314 Depth=2
	s_and_not1_saveexec_b32 s42, s42
; %bb.7344:                             ;   in Loop: Header=BB6_7314 Depth=2
	v_cmp_lt_i16_e32 vcc_lo, -1, v6
	v_cndmask_b32_e32 v6, 0xff800000, v17, vcc_lo
	v_cmp_eq_u32_e32 vcc_lo, 0, v14
	s_delay_alu instid0(VALU_DEP_2)
	v_cndmask_b32_e32 v7, 0x7f800001, v6, vcc_lo
; %bb.7345:                             ;   in Loop: Header=BB6_7314 Depth=2
	s_or_b32 exec_lo, exec_lo, s42
.LBB6_7346:                             ;   in Loop: Header=BB6_7314 Depth=2
	s_delay_alu instid0(SALU_CYCLE_1)
	s_or_b32 exec_lo, exec_lo, s12
.LBB6_7347:                             ;   in Loop: Header=BB6_7314 Depth=2
	s_delay_alu instid0(SALU_CYCLE_1)
	s_or_b32 exec_lo, exec_lo, s41
	s_and_saveexec_b32 s12, s11
	s_cbranch_execz .LBB6_7357
; %bb.7348:                             ;   in Loop: Header=BB6_7314 Depth=2
	v_bfrev_b32_e32 v13, 1
	s_and_saveexec_b32 s11, s10
	s_cbranch_execz .LBB6_7356
; %bb.7349:                             ;   in Loop: Header=BB6_7314 Depth=2
	v_and_b32_e32 v12, 0x7c, v9
	v_and_b32_e32 v6, 3, v9
	s_mov_b32 s10, exec_lo
                                        ; implicit-def: $vgpr13
	s_delay_alu instid0(VALU_DEP_2)
	v_cmpx_ne_u32_e32 0x7c, v12
	s_xor_b32 s10, exec_lo, s10
	s_cbranch_execz .LBB6_7353
; %bb.7350:                             ;   in Loop: Header=BB6_7314 Depth=2
	v_and_b32_e32 v9, 0xff, v9
	s_mov_b32 s41, exec_lo
	s_delay_alu instid0(VALU_DEP_1) | instskip(NEXT) | instid1(VALU_DEP_1)
	v_bfe_u32 v9, v9, 2, 5
	v_cmpx_eq_u32_e32 0, v9
; %bb.7351:                             ;   in Loop: Header=BB6_7314 Depth=2
	v_clz_i32_u32_e32 v6, v6
	s_delay_alu instid0(VALU_DEP_1) | instskip(NEXT) | instid1(VALU_DEP_1)
	v_min_u32_e32 v6, 32, v6
	v_subrev_nc_u32_e32 v9, 29, v6
	s_delay_alu instid0(VALU_DEP_1) | instskip(NEXT) | instid1(VALU_DEP_1)
	v_lshlrev_b64_e32 v[12:13], v9, v[24:25]
	v_dual_sub_nc_u32 v9, 30, v6 :: v_dual_bitop2_b32 v6, 3, v12 bitop3:0x40
; %bb.7352:                             ;   in Loop: Header=BB6_7314 Depth=2
	s_or_b32 exec_lo, exec_lo, s41
	s_delay_alu instid0(VALU_DEP_1) | instskip(NEXT) | instid1(VALU_DEP_1)
	v_lshl_add_u32 v8, v9, 23, v8
                                        ; implicit-def: $vgpr11
	v_lshl_or_b32 v13, v6, 21, v8
                                        ; implicit-def: $vgpr6
.LBB6_7353:                             ;   in Loop: Header=BB6_7314 Depth=2
	s_and_not1_saveexec_b32 s10, s10
; %bb.7354:                             ;   in Loop: Header=BB6_7314 Depth=2
	v_cmp_eq_u32_e32 vcc_lo, 0, v6
	v_cndmask_b32_e32 v13, 0x7f800001, v11, vcc_lo
; %bb.7355:                             ;   in Loop: Header=BB6_7314 Depth=2
	s_or_b32 exec_lo, exec_lo, s10
.LBB6_7356:                             ;   in Loop: Header=BB6_7314 Depth=2
	s_delay_alu instid0(SALU_CYCLE_1)
	s_or_b32 exec_lo, exec_lo, s11
.LBB6_7357:                             ;   in Loop: Header=BB6_7314 Depth=2
	s_delay_alu instid0(SALU_CYCLE_1) | instskip(NEXT) | instid1(VALU_DEP_1)
	s_or_b32 exec_lo, exec_lo, s12
	v_dual_max_num_f32 v6, v13, v13 :: v_dual_max_num_f32 v7, v7, v7
	s_delay_alu instid0(VALU_DEP_1)
	v_min_num_f32_e32 v13, v7, v6
.LBB6_7358:                             ;   in Loop: Header=BB6_7314 Depth=2
	s_delay_alu instid0(VALU_DEP_1) | instskip(SKIP_2) | instid1(VALU_DEP_2)
	v_and_b32_e32 v6, 0x7f800000, v13
	v_mov_b32_e32 v7, v25
	v_and_b32_e32 v24, 0x7fffff, v13
	v_cmp_ne_u64_e32 vcc_lo, 0x7f800000, v[6:7]
                                        ; implicit-def: $vgpr7
	s_wait_xcnt 0x0
	s_and_saveexec_b32 s10, vcc_lo
	s_delay_alu instid0(SALU_CYCLE_1)
	s_xor_b32 s11, exec_lo, s10
	s_cbranch_execz .LBB6_7376
; %bb.7359:                             ;   in Loop: Header=BB6_7314 Depth=2
	v_and_b32_e32 v6, 0x7fffffff, v13
	v_dual_mov_b32 v7, v25 :: v_dual_lshrrev_b32 v8, 24, v13
	s_delay_alu instid0(VALU_DEP_1) | instskip(NEXT) | instid1(VALU_DEP_2)
	v_cmp_gt_u64_e32 vcc_lo, 0x47600001, v[6:7]
	v_and_b32_e32 v11, 0x80, v8
                                        ; implicit-def: $vgpr7
	s_and_saveexec_b32 s10, vcc_lo
	s_delay_alu instid0(SALU_CYCLE_1)
	s_xor_b32 s12, exec_lo, s10
	s_cbranch_execz .LBB6_7373
; %bb.7360:                             ;   in Loop: Header=BB6_7314 Depth=2
	v_mov_b32_e32 v7, 0
	s_mov_b32 s41, exec_lo
	v_cmpx_ne_u32_e32 0, v13
	s_cbranch_execz .LBB6_7372
; %bb.7361:                             ;   in Loop: Header=BB6_7314 Depth=2
	v_bfe_u32 v12, v13, 23, 8
	v_or_b32_e32 v8, 0x800000, v24
	s_delay_alu instid0(VALU_DEP_2) | instskip(SKIP_1) | instid1(VALU_DEP_2)
	v_sub_nc_u32_e32 v6, 0x71, v12
	v_cmp_gt_u32_e32 vcc_lo, 0x72, v12
	v_cndmask_b32_e32 v6, 0, v6, vcc_lo
	v_cmp_eq_u32_e32 vcc_lo, 0, v12
	s_delay_alu instid0(VALU_DEP_2) | instskip(NEXT) | instid1(VALU_DEP_1)
	v_cndmask_b32_e64 v13, v6, 0x70, vcc_lo
	v_dual_cndmask_b32 v24, v8, v24, vcc_lo :: v_dual_add_nc_u32 v6, 21, v13
	v_add_nc_u32_e32 v9, 20, v13
	s_delay_alu instid0(VALU_DEP_2) | instskip(NEXT) | instid1(VALU_DEP_2)
	v_lshlrev_b64_e64 v[6:7], v6, -1
	v_lshlrev_b64_e64 v[8:9], v9, 1
	s_delay_alu instid0(VALU_DEP_2) | instskip(NEXT) | instid1(VALU_DEP_3)
	v_bfi_b32 v15, v7, 0, 0
	v_bfi_b32 v14, v6, 0, v24
	v_lshrrev_b64 v[6:7], v13, v[24:25]
	s_delay_alu instid0(VALU_DEP_2) | instskip(NEXT) | instid1(VALU_DEP_2)
	v_cmp_eq_u64_e64 s10, v[14:15], v[8:9]
	v_mov_b64_e32 v[8:9], v[6:7]
	s_and_saveexec_b32 s42, s10
; %bb.7362:                             ;   in Loop: Header=BB6_7314 Depth=2
	v_bfe_u32 v24, v6, 21, 1
	s_delay_alu instid0(VALU_DEP_1) | instskip(NEXT) | instid1(VALU_DEP_1)
	v_add_nc_u64_e32 v[8:9], v[6:7], v[24:25]
	v_add_nc_u64_e32 v[8:9], -1, v[8:9]
; %bb.7363:                             ;   in Loop: Header=BB6_7314 Depth=2
	s_or_b32 exec_lo, exec_lo, s42
	v_add_nc_u32_e32 v7, 0xffffff81, v12
	v_lshrrev_b32_e32 v9, 23, v6
	s_mov_b32 s10, exec_lo
	s_delay_alu instid0(VALU_DEP_2) | instskip(NEXT) | instid1(VALU_DEP_1)
	v_cndmask_b32_e64 v7, v7, 0xffffff82, vcc_lo
	v_add3_u32 v9, v13, v7, v9
	v_and_b32_e32 v7, 0x1fffff, v8
                                        ; implicit-def: $vgpr8
	s_delay_alu instid0(VALU_DEP_1) | instskip(NEXT) | instid1(VALU_DEP_1)
	v_dual_add_nc_u32 v12, 14, v9 :: v_dual_add_nc_u32 v24, v7, v6
                                        ; implicit-def: $vgpr6_vgpr7
	v_cmpx_ne_u32_e32 0, v12
	s_xor_b32 s10, exec_lo, s10
; %bb.7364:                             ;   in Loop: Header=BB6_7314 Depth=2
	s_delay_alu instid0(VALU_DEP_2) | instskip(SKIP_1) | instid1(VALU_DEP_1)
	v_cmp_lt_u64_e32 vcc_lo, 0xffffff, v[24:25]
	v_add_nc_u32_e32 v6, 15, v9
	v_cndmask_b32_e32 v8, v12, v6, vcc_lo
	v_cndmask_b32_e64 v6, 0, 1, vcc_lo
	s_delay_alu instid0(VALU_DEP_1)
	v_lshrrev_b64 v[6:7], v6, v[24:25]
; %bb.7365:                             ;   in Loop: Header=BB6_7314 Depth=2
	s_and_not1_saveexec_b32 s10, s10
; %bb.7366:                             ;   in Loop: Header=BB6_7314 Depth=2
	v_mov_b64_e32 v[6:7], v[24:25]
	v_bfe_u32 v8, v24, 23, 1
; %bb.7367:                             ;   in Loop: Header=BB6_7314 Depth=2
	s_or_b32 exec_lo, exec_lo, s10
	s_delay_alu instid0(VALU_DEP_2) | instskip(NEXT) | instid1(VALU_DEP_2)
	v_lshrrev_b64 v[6:7], 21, v[6:7]
	v_cmp_gt_i32_e32 vcc_lo, 32, v8
	v_cmp_ne_u32_e64 s10, 0, v8
	s_delay_alu instid0(VALU_DEP_3) | instskip(NEXT) | instid1(VALU_DEP_1)
	v_dual_cndmask_b32 v7, 0, v7 :: v_dual_cndmask_b32 v6, 3, v6
	v_cmp_ne_u64_e32 vcc_lo, 0, v[6:7]
                                        ; implicit-def: $vgpr7
	s_or_b32 s10, s10, vcc_lo
	s_delay_alu instid0(SALU_CYCLE_1) | instskip(NEXT) | instid1(SALU_CYCLE_1)
	s_and_saveexec_b32 s42, s10
	s_xor_b32 s10, exec_lo, s42
; %bb.7368:                             ;   in Loop: Header=BB6_7314 Depth=2
	v_min_i32_e32 v7, 31, v8
	s_delay_alu instid0(VALU_DEP_1) | instskip(NEXT) | instid1(VALU_DEP_1)
	v_lshl_or_b32 v7, v7, 2, v11
                                        ; implicit-def: $vgpr11
	v_and_or_b32 v7, v6, 3, v7
; %bb.7369:                             ;   in Loop: Header=BB6_7314 Depth=2
	s_and_not1_saveexec_b32 s10, s10
; %bb.7370:                             ;   in Loop: Header=BB6_7314 Depth=2
	v_mov_b32_e32 v7, v11
; %bb.7371:                             ;   in Loop: Header=BB6_7314 Depth=2
	s_or_b32 exec_lo, exec_lo, s10
.LBB6_7372:                             ;   in Loop: Header=BB6_7314 Depth=2
	s_delay_alu instid0(SALU_CYCLE_1)
	s_or_b32 exec_lo, exec_lo, s41
                                        ; implicit-def: $vgpr11
.LBB6_7373:                             ;   in Loop: Header=BB6_7314 Depth=2
	s_and_not1_saveexec_b32 s10, s12
; %bb.7374:                             ;   in Loop: Header=BB6_7314 Depth=2
	v_or_b32_e32 v7, 0x7b, v11
; %bb.7375:                             ;   in Loop: Header=BB6_7314 Depth=2
	s_or_b32 exec_lo, exec_lo, s10
                                        ; implicit-def: $vgpr13
.LBB6_7376:                             ;   in Loop: Header=BB6_7314 Depth=2
	s_and_not1_saveexec_b32 s10, s11
	s_cbranch_execz .LBB6_7313
; %bb.7377:                             ;   in Loop: Header=BB6_7314 Depth=2
	s_mov_b32 s11, exec_lo
                                        ; implicit-def: $vgpr7
	v_cmpx_ne_u64_e32 0, v[24:25]
	s_xor_b32 s11, exec_lo, s11
; %bb.7378:                             ;   in Loop: Header=BB6_7314 Depth=2
	v_lshrrev_b32_e32 v6, 24, v13
                                        ; implicit-def: $vgpr13
	s_delay_alu instid0(VALU_DEP_1)
	v_or_b32_e32 v7, 0x7f, v6
; %bb.7379:                             ;   in Loop: Header=BB6_7314 Depth=2
	s_and_not1_saveexec_b32 s11, s11
	s_cbranch_execz .LBB6_7312
; %bb.7380:                             ;   in Loop: Header=BB6_7314 Depth=2
	v_cmp_lt_i32_e32 vcc_lo, -1, v13
	v_cndmask_b32_e64 v7, -4, 0x7c, vcc_lo
	s_branch .LBB6_7312
.LBB6_7381:                             ;   in Loop: Header=BB6_49 Depth=1
	s_or_b32 exec_lo, exec_lo, s13
	v_cmp_ne_u32_e64 s10, 0, v45
.LBB6_7382:                             ;   in Loop: Header=BB6_49 Depth=1
	s_clause 0x2
	scratch_load_b128 v[116:119], off, s33 offset:300
	scratch_load_b128 v[60:63], off, s33 offset:284
	scratch_load_b64 v[44:45], off, s33 offset:316
	s_wait_xcnt 0x0
	s_and_saveexec_b32 s11, s2
	s_cbranch_execz .LBB6_7401
.LBB6_7383:                             ;   in Loop: Header=BB6_49 Depth=1
	s_and_saveexec_b32 s12, s3
	s_delay_alu instid0(SALU_CYCLE_1)
	s_xor_b32 s12, exec_lo, s12
	s_cbranch_execz .LBB6_7398
; %bb.7384:                             ;   in Loop: Header=BB6_49 Depth=1
	s_and_saveexec_b32 s13, s4
	s_cbranch_execz .LBB6_7397
; %bb.7385:                             ;   in Loop: Header=BB6_49 Depth=1
	s_mov_b32 s15, exec_lo
	s_mov_b32 s14, exec_lo
	v_mbcnt_lo_u32_b32 v0, s15, 0
	global_wb scope:SCOPE_DEV
	s_wait_storecnt 0x0
	s_wait_loadcnt_dscnt 0x0
	global_inv scope:SCOPE_DEV
	v_cmpx_eq_u32_e32 0, v0
	s_cbranch_execz .LBB6_7387
; %bb.7386:                             ;   in Loop: Header=BB6_49 Depth=1
	s_bcnt1_i32_b32 s15, s15
	s_delay_alu instid0(SALU_CYCLE_1)
	v_mov_b32_e32 v24, s15
	s_wait_loadcnt 0x0
	ds_add_u64 v0, v[24:25]
	s_trap 2
.LBB6_7387:                             ;   in Loop: Header=BB6_49 Depth=1
	s_or_b32 exec_lo, exec_lo, s14
	s_trap 2
	ds_load_b64 v[0:1], v0
	s_wait_dscnt 0x0
	s_clause 0x1
	scratch_load_b64 v[2:3], off, s33 offset:196 th:TH_LOAD_LU
	scratch_load_b64 v[4:5], off, s33 offset:212
	s_mov_b32 s14, exec_lo
	s_wait_loadcnt 0x0
	v_add_nc_u64_e32 v[2:3], v[2:3], v[4:5]
	scratch_store_b64 off, v[2:3], s33 offset:196 ; 8-byte Folded Spill
	s_wait_xcnt 0x0
	v_cmpx_lt_u64_e64 v[0:1], v[2:3]
	s_cbranch_execz .LBB6_7396
; %bb.7388:                             ;   in Loop: Header=BB6_49 Depth=1
	s_mov_b32 s15, 0
	s_mov_b32 s43, 0
                                        ; implicit-def: $sgpr41
                                        ; implicit-def: $sgpr42
	s_branch .LBB6_7390
.LBB6_7389:                             ;   in Loop: Header=BB6_7390 Depth=2
	s_wait_xcnt 0x0
	s_or_b32 exec_lo, exec_lo, s45
	s_delay_alu instid0(SALU_CYCLE_1) | instskip(NEXT) | instid1(SALU_CYCLE_1)
	s_and_b32 s44, exec_lo, s46
	s_or_b32 s15, s44, s15
	s_and_not1_b32 s41, s41, exec_lo
	s_and_b32 s44, s42, exec_lo
	s_delay_alu instid0(SALU_CYCLE_1)
	s_or_b32 s41, s41, s44
	s_and_not1_b32 exec_lo, exec_lo, s15
	s_cbranch_execz .LBB6_7394
.LBB6_7390:                             ;   Parent Loop BB6_49 Depth=1
                                        ; =>  This Inner Loop Header: Depth=2
	s_add_co_i32 s43, s43, 1
	s_delay_alu instid0(SALU_CYCLE_1) | instskip(SKIP_1) | instid1(SALU_CYCLE_1)
	s_cmp_lg_u32 s43, 0x2710
	s_cselect_b32 s44, -1, 0
	s_and_b32 vcc_lo, exec_lo, s44
	s_cbranch_vccz .LBB6_7392
; %bb.7391:                             ;   in Loop: Header=BB6_7390 Depth=2
	s_mov_b32 s46, -1
	s_or_b32 s42, s42, exec_lo
	s_and_saveexec_b32 s45, s44
	s_cbranch_execz .LBB6_7389
	s_branch .LBB6_7393
.LBB6_7392:                             ;   in Loop: Header=BB6_7390 Depth=2
	s_trap 2
	ds_load_b64 v[0:1], v0
	s_and_not1_b32 s44, s44, exec_lo
	s_mov_b32 s43, 0
	s_wait_storecnt_dscnt 0x0
	flat_load_b32 v0, v[0:1] scope:SCOPE_SYS
	s_wait_loadcnt_dscnt 0x0
	global_inv scope:SCOPE_SYS
	v_cmp_eq_u32_e32 vcc_lo, 0, v0
	s_and_b32 s45, vcc_lo, exec_lo
	s_delay_alu instid0(SALU_CYCLE_1)
	s_or_b32 s44, s44, s45
	s_mov_b32 s46, -1
	s_or_b32 s42, s42, exec_lo
	s_wait_xcnt 0x0
	s_and_saveexec_b32 s45, s44
	s_cbranch_execz .LBB6_7389
.LBB6_7393:                             ;   in Loop: Header=BB6_7390 Depth=2
	s_sleep 1
	s_trap 2
	ds_load_b64 v[0:1], v0
	s_wait_dscnt 0x0
	scratch_load_b64 v[2:3], off, s33 offset:196 ; 8-byte Folded Reload
	s_and_not1_b32 s42, s42, exec_lo
	s_wait_loadcnt 0x0
	v_cmp_ge_u64_e32 vcc_lo, v[0:1], v[2:3]
	s_or_not1_b32 s46, vcc_lo, exec_lo
	s_branch .LBB6_7389
.LBB6_7394:                             ;   in Loop: Header=BB6_49 Depth=1
	s_or_b32 exec_lo, exec_lo, s15
	s_and_saveexec_b32 s15, s41
	s_delay_alu instid0(SALU_CYCLE_1)
	s_xor_b32 s15, exec_lo, s15
	s_cbranch_execz .LBB6_7396
; %bb.7395:                             ;   in Loop: Header=BB6_49 Depth=1
	ds_store_b32 v0, v77
	s_trap 2
.LBB6_7396:                             ;   in Loop: Header=BB6_49 Depth=1
	s_or_b32 exec_lo, exec_lo, s14
	;;#ASMSTART
	s_wakeup
	;;#ASMEND
.LBB6_7397:                             ;   in Loop: Header=BB6_49 Depth=1
	s_or_b32 exec_lo, exec_lo, s13
.LBB6_7398:                             ;   in Loop: Header=BB6_49 Depth=1
	s_and_not1_saveexec_b32 s12, s12
	s_cbranch_execz .LBB6_7400
; %bb.7399:                             ;   in Loop: Header=BB6_49 Depth=1
	global_wb scope:SCOPE_DEV
	s_wait_storecnt 0x0
	s_wait_loadcnt_dscnt 0x0
	global_inv scope:SCOPE_DEV
	s_barrier_signal -1
	s_barrier_wait -1
.LBB6_7400:                             ;   in Loop: Header=BB6_49 Depth=1
	s_or_b32 exec_lo, exec_lo, s12
.LBB6_7401:                             ;   in Loop: Header=BB6_49 Depth=1
	s_delay_alu instid0(SALU_CYCLE_1) | instskip(SKIP_1) | instid1(VALU_DEP_1)
	s_or_b32 exec_lo, exec_lo, s11
	v_and_b32_e32 v0, 16, v58
	v_cmp_ne_u32_e32 vcc_lo, 0, v0
	s_and_b32 s11, vcc_lo, s10
	s_delay_alu instid0(SALU_CYCLE_1)
	s_and_saveexec_b32 s10, s11
	s_cbranch_execz .LBB6_7403
; %bb.7402:                             ;   in Loop: Header=BB6_49 Depth=1
	global_wb scope:SCOPE_SYS
	s_wait_storecnt 0x0
	s_wait_loadcnt_dscnt 0x0
	global_inv scope:SCOPE_SYS
.LBB6_7403:                             ;   in Loop: Header=BB6_49 Depth=1
	s_or_b32 exec_lo, exec_lo, s10
	v_cmp_ne_u32_e32 vcc_lo, 0, v0
	s_xor_b32 s10, s7, -1
	s_delay_alu instid0(SALU_CYCLE_1) | instskip(NEXT) | instid1(SALU_CYCLE_1)
	s_and_b32 s11, vcc_lo, s10
	s_and_saveexec_b32 s10, s11
	s_cbranch_execz .LBB6_7405
; %bb.7404:                             ;   in Loop: Header=BB6_49 Depth=1
	global_wb scope:SCOPE_SYS
	s_wait_storecnt 0x0
	s_wait_loadcnt_dscnt 0x0
	flat_store_b32 v[74:75], v77 scope:SCOPE_SYS
.LBB6_7405:                             ;   in Loop: Header=BB6_49 Depth=1
	s_wait_xcnt 0x0
	s_or_b32 exec_lo, exec_lo, s10
	v_and_b32_e32 v0, 48, v58
	s_mov_b32 s10, exec_lo
	s_delay_alu instid0(VALU_DEP_1)
	v_cmpx_ne_u32_e32 0, v0
	s_cbranch_execz .LBB6_7407
; %bb.7406:                             ;   in Loop: Header=BB6_49 Depth=1
	s_wait_loadcnt 0x1
	v_add_nc_u64_e32 v[62:63], 1, v[62:63]
	global_wb scope:SCOPE_SYS
	s_wait_storecnt 0x0
	s_wait_loadcnt_dscnt 0x0
	flat_store_b64 v[46:47], v[62:63] scope:SCOPE_SYS
.LBB6_7407:                             ;   in Loop: Header=BB6_49 Depth=1
	s_wait_xcnt 0x0
	s_or_b32 exec_lo, exec_lo, s10
	v_mov_b32_e32 v0, v108
.LBB6_7408:                             ;   in Loop: Header=BB6_49 Depth=1
	s_or_b32 exec_lo, exec_lo, s40
	s_and_saveexec_b32 s11, s29
	s_cbranch_execnz .LBB6_7409
; %bb.15104:                            ;   in Loop: Header=BB6_49 Depth=1
	s_add_pc_i64 .LBB6_48-.Lpost_addpc18
.Lpost_addpc18:
.LBB6_7409:                             ;   in Loop: Header=BB6_49 Depth=1
	s_delay_alu instid0(VALU_DEP_1) | instskip(SKIP_1) | instid1(VALU_DEP_1)
	v_dual_sub_nc_u32 v0, v106, v0 :: v_dual_bitop2_b32 v1, 12, v58 bitop3:0x40
	s_mov_b32 s12, exec_lo
	v_min_i32_e32 v0, v108, v0
	s_delay_alu instid0(VALU_DEP_2)
	v_cmpx_ne_u32_e32 0, v1
	s_cbranch_execz .LBB6_7435
; %bb.7410:                             ;   in Loop: Header=BB6_49 Depth=1
	scratch_load_b64 v[2:3], off, s33 offset:188 ; 8-byte Folded Reload
	v_and_b32_e32 v24, 8, v58
	s_mov_b32 s13, exec_lo
	s_wait_loadcnt 0x0
	s_delay_alu instid0(VALU_DEP_1) | instskip(SKIP_3) | instid1(VALU_DEP_1)
	v_add_nc_u64_e32 v[4:5], v[2:3], v[24:25]
	s_wait_dscnt 0x0
	v_add_nc_u64_e32 v[2:3], 1, v[62:63]
	s_wait_xcnt 0x0
	v_cmpx_lt_u64_e64 v[4:5], v[2:3]
	s_cbranch_execz .LBB6_7422
; %bb.7411:                             ;   in Loop: Header=BB6_49 Depth=1
	v_and_b32_e32 v1, 64, v58
	s_mov_b32 s14, 0
	s_mov_b32 s41, 0
                                        ; implicit-def: $sgpr15
                                        ; implicit-def: $sgpr29
                                        ; implicit-def: $sgpr40
	s_delay_alu instid0(VALU_DEP_1)
	v_cmp_eq_u32_e32 vcc_lo, 0, v1
	s_branch .LBB6_7415
.LBB6_7412:                             ;   in Loop: Header=BB6_7415 Depth=2
	scratch_load_b64 v[4:5], off, s33 offset:188 ; 8-byte Folded Reload
	s_or_b32 s44, s44, exec_lo
	s_wait_loadcnt 0x0
	v_add_nc_u64_e32 v[4:5], v[4:5], v[24:25]
	s_delay_alu instid0(VALU_DEP_1)
	v_cmp_ge_u64_e64 s10, v[4:5], v[2:3]
	s_or_not1_b32 s43, s10, exec_lo
.LBB6_7413:                             ;   in Loop: Header=BB6_7415 Depth=2
	s_wait_xcnt 0x0
	s_or_b32 exec_lo, exec_lo, s46
	s_delay_alu instid0(SALU_CYCLE_1)
	s_and_not1_b32 s10, s40, exec_lo
	s_and_b32 s40, s44, exec_lo
	s_and_not1_b32 s29, s29, exec_lo
	s_and_b32 s43, s43, exec_lo
	s_or_b32 s40, s10, s40
	s_or_b32 s29, s29, s43
.LBB6_7414:                             ;   in Loop: Header=BB6_7415 Depth=2
	s_or_b32 exec_lo, exec_lo, s42
	s_delay_alu instid0(SALU_CYCLE_1) | instskip(NEXT) | instid1(SALU_CYCLE_1)
	s_and_b32 s10, exec_lo, s29
	s_or_b32 s14, s10, s14
	s_and_not1_b32 s10, s15, exec_lo
	s_and_b32 s15, s40, exec_lo
	s_delay_alu instid0(SALU_CYCLE_1)
	s_or_b32 s15, s10, s15
	s_and_not1_b32 exec_lo, exec_lo, s14
	s_cbranch_execz .LBB6_7419
.LBB6_7415:                             ;   Parent Loop BB6_49 Depth=1
                                        ; =>  This Inner Loop Header: Depth=2
	s_sleep 1
	flat_load_b64 v[4:5], v[46:47] scope:SCOPE_SYS
	s_or_b32 s40, s40, exec_lo
	s_or_b32 s29, s29, exec_lo
                                        ; implicit-def: $vgpr1
	s_wait_loadcnt_dscnt 0x0
	scratch_store_b64 off, v[4:5], s33 offset:188 ; 8-byte Folded Spill
	s_wait_xcnt 0x0
	s_and_saveexec_b32 s42, vcc_lo
	s_cbranch_execz .LBB6_7414
; %bb.7416:                             ;   in Loop: Header=BB6_7415 Depth=2
	s_cmp_lt_i32 s41, 0x270f
	s_mov_b32 s43, -1
	s_cselect_b32 s45, -1, 0
	s_cmp_gt_i32 s41, 0x270e
	s_cbranch_scc0 .LBB6_7418
; %bb.7417:                             ;   in Loop: Header=BB6_7415 Depth=2
	s_trap 2
	ds_load_b64 v[4:5], v0
	s_and_not1_b32 s41, s45, exec_lo
	s_mov_b32 s44, 0
	s_wait_storecnt_dscnt 0x0
	flat_load_b32 v1, v[4:5] scope:SCOPE_SYS
	s_wait_loadcnt_dscnt 0x0
	global_inv scope:SCOPE_SYS
	v_cmp_eq_u32_e64 s10, 0, v1
	s_and_b32 s10, s10, exec_lo
	s_delay_alu instid0(SALU_CYCLE_1)
	s_or_b32 s45, s41, s10
	s_mov_b32 s41, 0
	s_and_saveexec_b32 s46, s45
	s_cbranch_execz .LBB6_7413
	s_branch .LBB6_7412
.LBB6_7418:                             ;   in Loop: Header=BB6_7415 Depth=2
	s_add_co_i32 s41, s41, 1
	s_mov_b32 s44, -1
                                        ; implicit-def: $vgpr1
	s_and_saveexec_b32 s46, s45
	s_cbranch_execz .LBB6_7413
	s_branch .LBB6_7412
.LBB6_7419:                             ;   in Loop: Header=BB6_49 Depth=1
	s_or_b32 exec_lo, exec_lo, s14
	s_xor_b32 s10, s15, -1
	s_delay_alu instid0(SALU_CYCLE_1) | instskip(NEXT) | instid1(SALU_CYCLE_1)
	s_and_saveexec_b32 s14, s10
	s_xor_b32 s10, exec_lo, s14
	s_cbranch_execz .LBB6_7421
; %bb.7420:                             ;   in Loop: Header=BB6_49 Depth=1
	v_or_b32_e32 v58, 64, v58
	s_wait_loadcnt 0x0
	s_wait_storecnt 0x0
	ds_store_b32 v0, v1
	s_trap 2
.LBB6_7421:                             ;   in Loop: Header=BB6_49 Depth=1
	s_or_b32 exec_lo, exec_lo, s10
.LBB6_7422:                             ;   in Loop: Header=BB6_49 Depth=1
	s_delay_alu instid0(SALU_CYCLE_1) | instskip(SKIP_4) | instid1(VALU_DEP_2)
	s_or_b32 exec_lo, exec_lo, s13
	v_and_b32_e32 v1, 0x108, v58
	v_and_b32_e32 v4, 7, v62
	s_mov_b32 s10, exec_lo
	;;#ASMSTART
	s_wakeup
	;;#ASMEND
	v_cmpx_ne_u32_e32 0x108, v1
	s_xor_b32 s10, exec_lo, s10
; %bb.7423:                             ;   in Loop: Header=BB6_49 Depth=1
	v_mov_b32_e32 v5, v25
; %bb.7424:                             ;   in Loop: Header=BB6_49 Depth=1
	s_and_not1_saveexec_b32 s10, s10
	s_cbranch_execz .LBB6_7426
; %bb.7425:                             ;   in Loop: Header=BB6_49 Depth=1
	v_mad_nc_u64_u32 v[6:7], v4, 24, v[60:61]
	v_dual_ashrrev_i32 v1, 31, v0 :: v_dual_mov_b32 v5, v25
	flat_store_b64 v[6:7], v[0:1] offset:8
.LBB6_7426:                             ;   in Loop: Header=BB6_49 Depth=1
	s_wait_xcnt 0x0
	s_or_b32 exec_lo, exec_lo, s10
	v_and_b32_e32 v1, 0x100, v58
	s_mov_b32 s10, -1
	s_mov_b32 s13, exec_lo
                                        ; implicit-def: $vgpr6_vgpr7
	s_delay_alu instid0(VALU_DEP_1)
	v_cmpx_ne_u32_e32 0, v1
	s_cbranch_execz .LBB6_7430
; %bb.7427:                             ;   in Loop: Header=BB6_49 Depth=1
	v_mad_nc_u64_u32 v[8:9], v4, 24, v[60:61]
	s_mov_b32 s14, exec_lo
                                        ; implicit-def: $vgpr6_vgpr7
	s_delay_alu instid0(VALU_DEP_1)
	v_mad_u32 v9, v5, 24, v9
	flat_load_b32 v1, v[8:9]
	s_wait_loadcnt_dscnt 0x0
	v_cmp_ne_u32_e32 vcc_lo, 1, v1
	s_wait_xcnt 0x0
	v_cmpx_eq_u32_e32 1, v1
	s_cbranch_execz .LBB6_7429
; %bb.7428:                             ;   in Loop: Header=BB6_49 Depth=1
	flat_load_b32 v6, v[8:9] offset:4 scope:SCOPE_SYS
	s_wait_loadcnt_dscnt 0x0
	v_ashrrev_i32_e32 v7, 31, v6
.LBB6_7429:                             ;   in Loop: Header=BB6_49 Depth=1
	s_wait_xcnt 0x0
	s_or_b32 exec_lo, exec_lo, s14
	s_delay_alu instid0(SALU_CYCLE_1)
	s_or_not1_b32 s10, vcc_lo, exec_lo
.LBB6_7430:                             ;   in Loop: Header=BB6_49 Depth=1
	s_or_b32 exec_lo, exec_lo, s13
	s_and_saveexec_b32 s13, s10
; %bb.7431:                             ;   in Loop: Header=BB6_49 Depth=1
	v_mul_u64_e32 v[6:7], v[4:5], v[44:45]
; %bb.7432:                             ;   in Loop: Header=BB6_49 Depth=1
	s_or_b32 exec_lo, exec_lo, s13
	scratch_load_b64 v[4:5], off, s33 offset:268 ; 8-byte Folded Reload
	v_cmp_eq_u32_e32 vcc_lo, 0, v24
	v_and_b32_e32 v8, 0x2000, v58
	s_mov_b32 s10, exec_lo
	v_cndmask_b32_e32 v1, 0xc8, v92, vcc_lo
	s_delay_alu instid0(VALU_DEP_1)
	v_add_nc_u32_e32 v1, v0, v1
	s_wait_loadcnt 0x0
	v_add_nc_u64_e32 v[4:5], v[4:5], v[6:7]
	ds_store_b64 v1, v[4:5] offset:584
	s_wait_xcnt 0x0
	v_cmpx_ne_u32_e32 0, v8
	s_cbranch_execz .LBB6_7434
; %bb.7433:                             ;   in Loop: Header=BB6_49 Depth=1
	ds_load_b64 v[4:5], v0 offset:872
	s_wait_dscnt 0x0
	v_add_nc_u64_e32 v[4:5], 1, v[4:5]
	ds_store_b64 v0, v[4:5] offset:872
.LBB6_7434:                             ;   in Loop: Header=BB6_49 Depth=1
	s_or_b32 exec_lo, exec_lo, s10
	v_mov_b64_e32 v[62:63], v[2:3]
.LBB6_7435:                             ;   in Loop: Header=BB6_49 Depth=1
	s_or_b32 exec_lo, exec_lo, s12
	s_and_saveexec_b32 s10, s2
	s_cbranch_execz .LBB6_7454
; %bb.7436:                             ;   in Loop: Header=BB6_49 Depth=1
	s_and_saveexec_b32 s12, s3
	s_delay_alu instid0(SALU_CYCLE_1)
	s_xor_b32 s12, exec_lo, s12
	s_cbranch_execz .LBB6_7451
; %bb.7437:                             ;   in Loop: Header=BB6_49 Depth=1
	s_and_saveexec_b32 s13, s4
	s_cbranch_execz .LBB6_7450
; %bb.7438:                             ;   in Loop: Header=BB6_49 Depth=1
	s_mov_b32 s15, exec_lo
	s_mov_b32 s14, exec_lo
	v_mbcnt_lo_u32_b32 v1, s15, 0
	global_wb scope:SCOPE_DEV
	s_wait_storecnt 0x0
	s_wait_loadcnt_dscnt 0x0
	global_inv scope:SCOPE_DEV
	v_cmpx_eq_u32_e32 0, v1
	s_cbranch_execz .LBB6_7440
; %bb.7439:                             ;   in Loop: Header=BB6_49 Depth=1
	s_bcnt1_i32_b32 s15, s15
	s_delay_alu instid0(SALU_CYCLE_1)
	v_mov_b32_e32 v24, s15
	s_wait_loadcnt 0x0
	ds_add_u64 v0, v[24:25]
	s_trap 2
.LBB6_7440:                             ;   in Loop: Header=BB6_49 Depth=1
	s_or_b32 exec_lo, exec_lo, s14
	s_trap 2
	ds_load_b64 v[2:3], v0
	s_wait_dscnt 0x0
	s_clause 0x1
	scratch_load_b64 v[4:5], off, s33 offset:196 th:TH_LOAD_LU
	scratch_load_b64 v[6:7], off, s33 offset:212
	s_mov_b32 s14, exec_lo
	s_wait_loadcnt 0x0
	v_add_nc_u64_e32 v[4:5], v[4:5], v[6:7]
	scratch_store_b64 off, v[4:5], s33 offset:196 ; 8-byte Folded Spill
	s_wait_xcnt 0x0
	v_cmpx_lt_u64_e64 v[2:3], v[4:5]
	s_cbranch_execz .LBB6_7449
; %bb.7441:                             ;   in Loop: Header=BB6_49 Depth=1
	s_mov_b32 s15, 0
	s_mov_b32 s41, 0
                                        ; implicit-def: $sgpr29
                                        ; implicit-def: $sgpr40
	s_branch .LBB6_7443
.LBB6_7442:                             ;   in Loop: Header=BB6_7443 Depth=2
	s_wait_xcnt 0x0
	s_or_b32 exec_lo, exec_lo, s43
	s_delay_alu instid0(SALU_CYCLE_1) | instskip(NEXT) | instid1(SALU_CYCLE_1)
	s_and_b32 s42, exec_lo, s44
	s_or_b32 s15, s42, s15
	s_and_not1_b32 s29, s29, exec_lo
	s_and_b32 s42, s40, exec_lo
	s_delay_alu instid0(SALU_CYCLE_1)
	s_or_b32 s29, s29, s42
	s_and_not1_b32 exec_lo, exec_lo, s15
	s_cbranch_execz .LBB6_7447
.LBB6_7443:                             ;   Parent Loop BB6_49 Depth=1
                                        ; =>  This Inner Loop Header: Depth=2
	s_add_co_i32 s41, s41, 1
	s_delay_alu instid0(SALU_CYCLE_1) | instskip(SKIP_1) | instid1(SALU_CYCLE_1)
	s_cmp_lg_u32 s41, 0x2710
	s_cselect_b32 s42, -1, 0
	s_and_b32 vcc_lo, exec_lo, s42
	s_cbranch_vccz .LBB6_7445
; %bb.7444:                             ;   in Loop: Header=BB6_7443 Depth=2
	s_mov_b32 s44, -1
	s_or_b32 s40, s40, exec_lo
	s_and_saveexec_b32 s43, s42
	s_cbranch_execz .LBB6_7442
	s_branch .LBB6_7446
.LBB6_7445:                             ;   in Loop: Header=BB6_7443 Depth=2
	s_trap 2
	ds_load_b64 v[2:3], v0
	s_and_not1_b32 s42, s42, exec_lo
	s_mov_b32 s41, 0
	s_wait_storecnt_dscnt 0x0
	flat_load_b32 v1, v[2:3] scope:SCOPE_SYS
	s_wait_loadcnt_dscnt 0x0
	global_inv scope:SCOPE_SYS
	v_cmp_eq_u32_e32 vcc_lo, 0, v1
	s_and_b32 s43, vcc_lo, exec_lo
	s_delay_alu instid0(SALU_CYCLE_1)
	s_or_b32 s42, s42, s43
	s_mov_b32 s44, -1
	s_or_b32 s40, s40, exec_lo
	s_wait_xcnt 0x0
	s_and_saveexec_b32 s43, s42
	s_cbranch_execz .LBB6_7442
.LBB6_7446:                             ;   in Loop: Header=BB6_7443 Depth=2
	s_sleep 1
	s_trap 2
	ds_load_b64 v[2:3], v0
	s_wait_dscnt 0x0
	scratch_load_b64 v[4:5], off, s33 offset:196 ; 8-byte Folded Reload
	s_and_not1_b32 s40, s40, exec_lo
	s_wait_loadcnt 0x0
	v_cmp_ge_u64_e32 vcc_lo, v[2:3], v[4:5]
	s_or_not1_b32 s44, vcc_lo, exec_lo
	s_branch .LBB6_7442
.LBB6_7447:                             ;   in Loop: Header=BB6_49 Depth=1
	s_or_b32 exec_lo, exec_lo, s15
	s_and_saveexec_b32 s15, s29
	s_delay_alu instid0(SALU_CYCLE_1)
	s_xor_b32 s15, exec_lo, s15
	s_cbranch_execz .LBB6_7449
; %bb.7448:                             ;   in Loop: Header=BB6_49 Depth=1
	ds_store_b32 v0, v77
	s_trap 2
.LBB6_7449:                             ;   in Loop: Header=BB6_49 Depth=1
	s_or_b32 exec_lo, exec_lo, s14
	;;#ASMSTART
	s_wakeup
	;;#ASMEND
.LBB6_7450:                             ;   in Loop: Header=BB6_49 Depth=1
	s_or_b32 exec_lo, exec_lo, s13
.LBB6_7451:                             ;   in Loop: Header=BB6_49 Depth=1
	s_and_not1_saveexec_b32 s12, s12
	s_cbranch_execz .LBB6_7453
; %bb.7452:                             ;   in Loop: Header=BB6_49 Depth=1
	global_wb scope:SCOPE_DEV
	s_wait_storecnt 0x0
	s_wait_loadcnt_dscnt 0x0
	global_inv scope:SCOPE_DEV
	s_barrier_signal -1
	s_barrier_wait -1
.LBB6_7453:                             ;   in Loop: Header=BB6_49 Depth=1
	s_or_b32 exec_lo, exec_lo, s12
.LBB6_7454:                             ;   in Loop: Header=BB6_49 Depth=1
	s_delay_alu instid0(SALU_CYCLE_1)
	s_or_b32 exec_lo, exec_lo, s10
	s_trap 2
	ds_load_b32 v1, v0
	v_cmp_lt_i32_e32 vcc_lo, 0, v0
	s_wait_dscnt 0x0
	v_readfirstlane_b32 s10, v1
	v_and_b32_e32 v1, 16, v58
	s_cmp_eq_u32 s10, 0
	s_delay_alu instid0(VALU_DEP_1) | instskip(SKIP_1) | instid1(SALU_CYCLE_1)
	v_cmp_ne_u32_e64 s10, 0, v1
	s_cselect_b32 s12, -1, 0
	s_and_b32 s12, vcc_lo, s12
	s_delay_alu instid0(SALU_CYCLE_1) | instskip(NEXT) | instid1(SALU_CYCLE_1)
	s_and_b32 s12, s10, s12
	s_and_saveexec_b32 s10, s12
	s_cbranch_execz .LBB6_7456
; %bb.7455:                             ;   in Loop: Header=BB6_49 Depth=1
	global_wb scope:SCOPE_SYS
	s_wait_loadcnt 0x0
	s_wait_storecnt 0x0
	global_inv scope:SCOPE_SYS
.LBB6_7456:                             ;   in Loop: Header=BB6_49 Depth=1
	s_or_b32 exec_lo, exec_lo, s10
	v_cmp_ne_u32_e32 vcc_lo, 0, v1
	s_xor_b32 s10, s7, -1
	s_delay_alu instid0(SALU_CYCLE_1) | instskip(NEXT) | instid1(SALU_CYCLE_1)
	s_and_b32 s12, vcc_lo, s10
	s_and_saveexec_b32 s10, s12
	s_cbranch_execz .LBB6_7458
; %bb.7457:                             ;   in Loop: Header=BB6_49 Depth=1
	global_wb scope:SCOPE_SYS
	s_wait_loadcnt 0x0
	s_wait_storecnt 0x0
	flat_store_b32 v[74:75], v77 scope:SCOPE_SYS
.LBB6_7458:                             ;   in Loop: Header=BB6_49 Depth=1
	s_wait_xcnt 0x0
	s_or_b32 exec_lo, exec_lo, s10
	v_and_b32_e32 v0, 48, v58
	s_mov_b32 s10, exec_lo
	s_delay_alu instid0(VALU_DEP_1)
	v_cmpx_ne_u32_e32 0, v0
	s_cbranch_execnz .LBB6_7459
; %bb.15106:                            ;   in Loop: Header=BB6_49 Depth=1
	s_add_pc_i64 .LBB6_47-.Lpost_addpc19
.Lpost_addpc19:
.LBB6_7459:                             ;   in Loop: Header=BB6_49 Depth=1
	s_wait_loadcnt 0x1
	v_add_nc_u64_e32 v[62:63], 1, v[62:63]
	global_wb scope:SCOPE_SYS
	s_wait_storecnt 0x0
	s_wait_loadcnt_dscnt 0x0
	flat_store_b64 v[46:47], v[62:63] scope:SCOPE_SYS
; %bb.15082:                            ;   in Loop: Header=BB6_49 Depth=1
	s_add_pc_i64 .LBB6_47-.Lpost_addpc7
.Lpost_addpc7:
.LBB6_7460:
	s_or_b32 exec_lo, exec_lo, s26
.LBB6_7461:
	s_delay_alu instid0(SALU_CYCLE_1)
	s_or_b32 exec_lo, exec_lo, s24
                                        ; implicit-def: $vgpr0_vgpr1
                                        ; kill: killed $vgpr0_vgpr1
                                        ; implicit-def: $vgpr114_vgpr115
                                        ; implicit-def: $vgpr116_vgpr117
                                        ; implicit-def: $vgpr44
                                        ; implicit-def: $vgpr46_vgpr47
                                        ; implicit-def: $vgpr112
                                        ; implicit-def: $vgpr7
                                        ; implicit-def: $vgpr0_vgpr1
                                        ; kill: killed $vgpr0_vgpr1
                                        ; implicit-def: $vgpr0_vgpr1
                                        ; kill: killed $vgpr0_vgpr1
.LBB6_7462:
	s_and_not1_saveexec_b32 s15, s23
	s_cbranch_execnz .LBB6_7463
; %bb.15108:
	s_add_pc_i64 .LBB6_14866-.Lpost_addpc20
.Lpost_addpc20:
.LBB6_7463:
	v_mov_b64_e32 v[0:1], 0
	s_mov_b32 s23, exec_lo
	scratch_store_b64 off, v[0:1], s33 offset:196 ; 8-byte Folded Spill
	s_wait_xcnt 0x0
	v_cmpx_ne_u64_e32 0, v[116:117]
	s_cbranch_execnz .LBB6_7464
; %bb.15110:
	s_add_pc_i64 .LBB6_14865-.Lpost_addpc21
.Lpost_addpc21:
.LBB6_7464:
	v_dual_ashrrev_i32 v45, 31, v44 :: v_dual_bitop2_b32 v0, 31, v103 bitop3:0x40
	v_dual_mov_b32 v25, 0 :: v_dual_lshrrev_b32 v74, 5, v112
	v_dual_lshrrev_b32 v2, 5, v102 :: v_dual_bitop2_b32 v1, 31, v112 bitop3:0x40
	s_delay_alu instid0(VALU_DEP_3) | instskip(NEXT) | instid1(VALU_DEP_3)
	v_cmp_eq_u32_e64 s4, 0, v0
	v_dual_mov_b32 v3, v25 :: v_dual_lshlrev_b32 v0, 11, v74
	s_delay_alu instid0(VALU_DEP_3)
	v_cmp_le_u32_e64 s5, v1, v7
	v_cmp_eq_u32_e64 s6, 0, v1
	scratch_store_b32 off, v1, s33 offset:452 ; 4-byte Folded Spill
	v_lshl_or_b32 v0, v1, 4, v0
	s_wait_xcnt 0x0
	v_dual_mov_b32 v1, v25 :: v_dual_lshlrev_b32 v76, 11, v2
	v_dual_mov_b32 v79, v25 :: v_dual_mov_b32 v77, v25
	v_lshlrev_b32_e32 v78, 9, v2
	scratch_store_b64 off, v[0:1], s33 offset:456 ; 8-byte Folded Spill
	s_wait_xcnt 0x0
	v_lshlrev_b32_e32 v0, 10, v2
	s_ashr_i32 s2, s21, 31
	v_cmp_eq_u32_e32 vcc_lo, 32, v102
	s_lshr_b32 s2, s2, 24
	v_mov_b64_e32 v[90:91], 0
	scratch_store_b64 off, v[0:1], s33 offset:276 ; 8-byte Folded Spill
	s_wait_xcnt 0x0
	v_mov_b64_e32 v[0:1], 0
	scratch_store_b64 off, v[2:3], s33 offset:212 ; 8-byte Folded Spill
	s_add_co_i32 s2, s21, s2
	v_cmp_ge_u32_e64 s1, v112, v102
	s_ashr_i32 s24, s2, 8
	v_cmp_ne_u32_e64 s2, 32, v102
	v_cmp_ne_u32_e64 s3, v102, v59
	scratch_store_b64 off, v[0:1], s33 offset:196 ; 8-byte Folded Spill
	s_wait_xcnt 0x0
	v_mov_b64_e32 v[0:1], v[116:117]
	s_trap 2
	s_clause 0x5
	scratch_store_b32 off, v112, s33 offset:324
	scratch_store_b64 off, v[114:115], s33 offset:328
	scratch_store_b128 off, v[0:3], s33 offset:300
	scratch_store_b64 off, v[46:47], s33 offset:336
	scratch_store_b64 off, v[44:45], s33 offset:316
	scratch_load_b64 v[2:3], off, s33 offset:204
	v_and_b32_e32 v88, 0x1fe0, v102
	v_mov_b32_e32 v89, v25
	v_mov_b32_e32 v41, 0x7c
	s_mov_b64 s[16:17], 0xffffffffffffff
	s_mov_b64 s[18:19], 0x100000000000000
	s_mov_b32 s25, 0
	s_xor_b32 s26, vcc_lo, -1
	s_brev_b32 s27, 28
	s_clause 0x7
	scratch_store_b32 off, v102, s33 offset:348
	scratch_store_b32 off, v103, s33 offset:352
	scratch_store_b64 off, v[72:73], s33 offset:356
	scratch_store_b32 off, v59, s33 offset:364
	scratch_store_b32 off, v74, s33 offset:424
	scratch_store_b64 off, v[76:77], s33 offset:428
	scratch_store_b64 off, v[78:79], s33 offset:436
	;; [unrolled: 1-line block ×3, first 2 shown]
	s_branch .LBB6_7467
.LBB6_7465:                             ;   in Loop: Header=BB6_7467 Depth=1
	s_wait_xcnt 0x0
	s_or_b32 exec_lo, exec_lo, s7
.LBB6_7466:                             ;   in Loop: Header=BB6_7467 Depth=1
	s_delay_alu instid0(SALU_CYCLE_1) | instskip(SKIP_3) | instid1(VALU_DEP_1)
	s_or_b32 exec_lo, exec_lo, s10
	scratch_load_b64 v[2:3], off, s33 offset:204 ; 8-byte Folded Reload
	s_wait_loadcnt 0x0
	v_add_nc_u64_e32 v[90:91], v[90:91], v[2:3]
	v_cmp_ge_u64_e32 vcc_lo, v[90:91], v[116:117]
	s_or_b32 s25, vcc_lo, s25
	s_wait_xcnt 0x0
	s_and_not1_b32 exec_lo, exec_lo, s25
	s_cbranch_execnz .LBB6_7467
; %bb.15112:
	s_add_pc_i64 .LBB6_14864-.Lpost_addpc22
.Lpost_addpc22:
.LBB6_7467:                             ; =>This Loop Header: Depth=1
                                        ;     Child Loop BB6_7476 Depth 2
                                        ;     Child Loop BB6_7500 Depth 2
	;; [unrolled: 1-line block ×10, first 2 shown]
	v_sub_nc_u64_e32 v[0:1], v[116:117], v[90:91]
	v_mov_b32_e32 v6, v25
	s_wait_loadcnt 0x0
	s_delay_alu instid0(VALU_DEP_2) | instskip(NEXT) | instid1(VALU_DEP_1)
	v_min_u64 v[94:95], v[2:3], v[0:1]
	v_add_nc_u32_e32 v0, 15, v94
	s_delay_alu instid0(VALU_DEP_2) | instskip(NEXT) | instid1(VALU_DEP_2)
	v_cmp_eq_u64_e32 vcc_lo, 0, v[94:95]
	v_and_b32_e32 v0, 0x7ffffff0, v0
	s_or_b32 s28, s1, vcc_lo
	s_delay_alu instid0(SALU_CYCLE_1) | instskip(NEXT) | instid1(VALU_DEP_1)
	s_xor_b32 s7, s28, -1
	v_max_i32_e32 v95, s24, v0
	s_wait_xcnt 0x0
	s_and_saveexec_b32 s29, s7
	s_cbranch_execnz .LBB6_7468
; %bb.15114:                            ;   in Loop: Header=BB6_7467 Depth=1
	s_add_pc_i64 .LBB6_14818-.Lpost_addpc23
.Lpost_addpc23:
.LBB6_7468:                             ;   in Loop: Header=BB6_7467 Depth=1
	s_and_saveexec_b32 s7, s0
	s_cbranch_execz .LBB6_7470
; %bb.7469:                             ;   in Loop: Header=BB6_7467 Depth=1
	s_trap 2
	ds_load_b64 v[4:5], v0
	ds_load_2addr_b64 v[0:3], v0 offset1:1
	v_add_nc_u64_e32 v[6:7], v[90:91], v[114:115]
	s_wait_dscnt 0x1
	s_delay_alu instid0(VALU_DEP_1) | instskip(SKIP_4) | instid1(VALU_DEP_4)
	v_add_nc_u64_e32 v[8:9], v[4:5], v[6:7]
	v_cmp_ne_u64_e32 vcc_lo, 0, v[4:5]
	s_wait_dscnt 0x0
	v_add_nc_u64_e32 v[0:1], v[0:1], v[6:7]
	v_add_nc_u64_e32 v[2:3], v[2:3], v[6:7]
	v_dual_cndmask_b32 v5, 0, v9 :: v_dual_cndmask_b32 v4, 0, v8
	ds_store_b64 v0, v[0:1]
	ds_store_b64 v0, v[2:3]
	;; [unrolled: 1-line block ×3, first 2 shown]
.LBB6_7470:                             ;   in Loop: Header=BB6_7467 Depth=1
	s_or_b32 exec_lo, exec_lo, s7
	v_and_b32_e32 v0, 4, v58
	s_mov_b32 s10, exec_lo
	s_delay_alu instid0(VALU_DEP_1)
	v_cmpx_ne_u32_e32 0, v0
	s_cbranch_execz .LBB6_7492
; %bb.7471:                             ;   in Loop: Header=BB6_7467 Depth=1
	scratch_load_b64 v[2:3], off, s33 offset:188 ; 8-byte Folded Reload
	s_wait_dscnt 0x0
	v_add_nc_u64_e32 v[0:1], 1, v[62:63]
	s_mov_b32 s11, exec_lo
	s_wait_loadcnt 0x0
	s_wait_xcnt 0x0
	s_delay_alu instid0(VALU_DEP_1)
	v_cmpx_lt_u64_e64 v[2:3], v[0:1]
	s_cbranch_execz .LBB6_7483
; %bb.7472:                             ;   in Loop: Header=BB6_7467 Depth=1
	v_and_b32_e32 v2, 64, v58
	s_mov_b32 s12, 0
	s_mov_b32 s41, 0
                                        ; implicit-def: $sgpr13
                                        ; implicit-def: $sgpr14
                                        ; implicit-def: $sgpr40
	s_delay_alu instid0(VALU_DEP_1)
	v_cmp_eq_u32_e32 vcc_lo, 0, v2
	s_branch .LBB6_7476
.LBB6_7473:                             ;   in Loop: Header=BB6_7476 Depth=2
	scratch_load_b64 v[4:5], off, s33 offset:188 ; 8-byte Folded Reload
	s_or_b32 s44, s44, exec_lo
	s_wait_loadcnt 0x0
	v_cmp_ge_u64_e64 s7, v[4:5], v[0:1]
	s_or_not1_b32 s43, s7, exec_lo
.LBB6_7474:                             ;   in Loop: Header=BB6_7476 Depth=2
	s_wait_xcnt 0x0
	s_or_b32 exec_lo, exec_lo, s46
	s_delay_alu instid0(SALU_CYCLE_1)
	s_and_not1_b32 s7, s40, exec_lo
	s_and_b32 s40, s44, exec_lo
	s_and_not1_b32 s14, s14, exec_lo
	s_and_b32 s43, s43, exec_lo
	s_or_b32 s40, s7, s40
	s_or_b32 s14, s14, s43
.LBB6_7475:                             ;   in Loop: Header=BB6_7476 Depth=2
	s_or_b32 exec_lo, exec_lo, s42
	s_delay_alu instid0(SALU_CYCLE_1) | instskip(NEXT) | instid1(SALU_CYCLE_1)
	s_and_b32 s7, exec_lo, s14
	s_or_b32 s12, s7, s12
	s_and_not1_b32 s7, s13, exec_lo
	s_and_b32 s13, s40, exec_lo
	s_delay_alu instid0(SALU_CYCLE_1)
	s_or_b32 s13, s7, s13
	s_and_not1_b32 exec_lo, exec_lo, s12
	s_cbranch_execz .LBB6_7480
.LBB6_7476:                             ;   Parent Loop BB6_7467 Depth=1
                                        ; =>  This Inner Loop Header: Depth=2
	s_sleep 1
	flat_load_b64 v[2:3], v[46:47] scope:SCOPE_SYS
	s_or_b32 s40, s40, exec_lo
	s_or_b32 s14, s14, exec_lo
	s_wait_loadcnt_dscnt 0x0
	scratch_store_b64 off, v[2:3], s33 offset:188 ; 8-byte Folded Spill
                                        ; implicit-def: $vgpr2
	s_wait_xcnt 0x0
	s_and_saveexec_b32 s42, vcc_lo
	s_cbranch_execz .LBB6_7475
; %bb.7477:                             ;   in Loop: Header=BB6_7476 Depth=2
	s_cmp_lt_i32 s41, 0x270f
	s_mov_b32 s43, -1
	s_cselect_b32 s45, -1, 0
	s_cmp_gt_i32 s41, 0x270e
	s_cbranch_scc0 .LBB6_7479
; %bb.7478:                             ;   in Loop: Header=BB6_7476 Depth=2
	s_trap 2
	ds_load_b64 v[2:3], v0
	s_and_not1_b32 s41, s45, exec_lo
	s_mov_b32 s44, 0
	s_wait_storecnt_dscnt 0x0
	flat_load_b32 v2, v[2:3] scope:SCOPE_SYS
	s_wait_loadcnt_dscnt 0x0
	global_inv scope:SCOPE_SYS
	v_cmp_eq_u32_e64 s7, 0, v2
	s_and_b32 s7, s7, exec_lo
	s_delay_alu instid0(SALU_CYCLE_1)
	s_or_b32 s45, s41, s7
	s_mov_b32 s41, 0
	s_wait_xcnt 0x0
	s_and_saveexec_b32 s46, s45
	s_cbranch_execz .LBB6_7474
	s_branch .LBB6_7473
.LBB6_7479:                             ;   in Loop: Header=BB6_7476 Depth=2
	s_add_co_i32 s41, s41, 1
	s_mov_b32 s44, -1
                                        ; implicit-def: $vgpr2
	s_and_saveexec_b32 s46, s45
	s_cbranch_execz .LBB6_7474
	s_branch .LBB6_7473
.LBB6_7480:                             ;   in Loop: Header=BB6_7467 Depth=1
	s_or_b32 exec_lo, exec_lo, s12
	s_xor_b32 s7, s13, -1
	s_delay_alu instid0(SALU_CYCLE_1) | instskip(NEXT) | instid1(SALU_CYCLE_1)
	s_and_saveexec_b32 s12, s7
	s_xor_b32 s7, exec_lo, s12
	s_cbranch_execz .LBB6_7482
; %bb.7481:                             ;   in Loop: Header=BB6_7467 Depth=1
	v_or_b32_e32 v58, 64, v58
	s_wait_loadcnt 0x0
	s_wait_storecnt 0x0
	ds_store_b32 v0, v2
	s_trap 2
.LBB6_7482:                             ;   in Loop: Header=BB6_7467 Depth=1
	s_or_b32 exec_lo, exec_lo, s7
.LBB6_7483:                             ;   in Loop: Header=BB6_7467 Depth=1
	s_delay_alu instid0(SALU_CYCLE_1) | instskip(SKIP_4) | instid1(VALU_DEP_2)
	s_or_b32 exec_lo, exec_lo, s11
	v_and_b32_e32 v2, 0x100, v58
	v_and_b32_e32 v24, 7, v62
	s_mov_b32 s7, -1
	;;#ASMSTART
	s_wakeup
	;;#ASMEND
	v_cmp_ne_u32_e32 vcc_lo, 0, v2
                                        ; implicit-def: $vgpr2_vgpr3
	s_and_saveexec_b32 s11, vcc_lo
	s_cbranch_execz .LBB6_7487
; %bb.7484:                             ;   in Loop: Header=BB6_7467 Depth=1
	v_mad_nc_u64_u32 v[4:5], v24, 24, v[60:61]
	flat_load_b32 v2, v[4:5]
	s_wait_loadcnt_dscnt 0x0
	v_cmp_eq_u32_e64 s7, 1, v2
	v_cmp_ne_u32_e32 vcc_lo, 1, v2
                                        ; implicit-def: $vgpr2_vgpr3
	s_wait_xcnt 0x0
	s_and_saveexec_b32 s12, s7
	s_cbranch_execz .LBB6_7486
; %bb.7485:                             ;   in Loop: Header=BB6_7467 Depth=1
	flat_load_b32 v2, v[4:5] offset:4 scope:SCOPE_SYS
	s_wait_loadcnt_dscnt 0x0
	v_ashrrev_i32_e32 v3, 31, v2
.LBB6_7486:                             ;   in Loop: Header=BB6_7467 Depth=1
	s_wait_xcnt 0x0
	s_or_b32 exec_lo, exec_lo, s12
	s_delay_alu instid0(SALU_CYCLE_1)
	s_or_not1_b32 s7, vcc_lo, exec_lo
.LBB6_7487:                             ;   in Loop: Header=BB6_7467 Depth=1
	s_or_b32 exec_lo, exec_lo, s11
	s_and_saveexec_b32 s11, s7
; %bb.7488:                             ;   in Loop: Header=BB6_7467 Depth=1
	v_mul_u64_e32 v[2:3], v[24:25], v[44:45]
; %bb.7489:                             ;   in Loop: Header=BB6_7467 Depth=1
	s_or_b32 exec_lo, exec_lo, s11
	scratch_load_b64 v[6:7], off, s33 offset:268 ; 8-byte Folded Reload
	v_and_b32_e32 v4, 0x2000, v58
	s_mov_b32 s7, exec_lo
	s_wait_loadcnt 0x0
	v_add_nc_u64_e32 v[2:3], v[6:7], v[2:3]
	ds_store_b64 v0, v[2:3] offset:728
	s_wait_xcnt 0x0
	v_cmpx_ne_u32_e32 0, v4
	s_cbranch_execz .LBB6_7491
; %bb.7490:                             ;   in Loop: Header=BB6_7467 Depth=1
	ds_load_b64 v[2:3], v0 offset:872
	s_wait_dscnt 0x0
	v_add_nc_u64_e32 v[2:3], 1, v[2:3]
	ds_store_b64 v0, v[2:3] offset:872
.LBB6_7491:                             ;   in Loop: Header=BB6_7467 Depth=1
	s_or_b32 exec_lo, exec_lo, s7
	v_mov_b64_e32 v[62:63], v[0:1]
.LBB6_7492:                             ;   in Loop: Header=BB6_7467 Depth=1
	s_or_b32 exec_lo, exec_lo, s10
	s_and_saveexec_b32 s7, s2
	s_cbranch_execz .LBB6_7511
; %bb.7493:                             ;   in Loop: Header=BB6_7467 Depth=1
	s_and_saveexec_b32 s10, s3
	s_delay_alu instid0(SALU_CYCLE_1)
	s_xor_b32 s10, exec_lo, s10
	s_cbranch_execz .LBB6_7508
; %bb.7494:                             ;   in Loop: Header=BB6_7467 Depth=1
	s_and_saveexec_b32 s11, s4
	s_cbranch_execz .LBB6_7507
; %bb.7495:                             ;   in Loop: Header=BB6_7467 Depth=1
	s_mov_b32 s13, exec_lo
	s_mov_b32 s12, exec_lo
	v_mbcnt_lo_u32_b32 v0, s13, 0
	global_wb scope:SCOPE_DEV
	s_wait_storecnt_dscnt 0x0
	global_inv scope:SCOPE_DEV
	v_cmpx_eq_u32_e32 0, v0
	s_cbranch_execz .LBB6_7497
; %bb.7496:                             ;   in Loop: Header=BB6_7467 Depth=1
	s_bcnt1_i32_b32 s13, s13
	s_delay_alu instid0(SALU_CYCLE_1)
	v_mov_b32_e32 v24, s13
	s_wait_loadcnt 0x0
	ds_add_u64 v0, v[24:25]
	s_trap 2
.LBB6_7497:                             ;   in Loop: Header=BB6_7467 Depth=1
	s_or_b32 exec_lo, exec_lo, s12
	s_trap 2
	ds_load_b64 v[0:1], v0
	s_wait_dscnt 0x0
	s_clause 0x1
	scratch_load_b64 v[2:3], off, s33 offset:196 th:TH_LOAD_LU
	scratch_load_b64 v[4:5], off, s33 offset:212
	s_mov_b32 s12, exec_lo
	s_wait_loadcnt 0x0
	v_add_nc_u64_e32 v[2:3], v[2:3], v[4:5]
	scratch_store_b64 off, v[2:3], s33 offset:196 ; 8-byte Folded Spill
	s_wait_xcnt 0x0
	v_cmpx_lt_u64_e64 v[0:1], v[2:3]
	s_cbranch_execz .LBB6_7506
; %bb.7498:                             ;   in Loop: Header=BB6_7467 Depth=1
	s_mov_b32 s13, 0
	s_mov_b32 s41, 0
                                        ; implicit-def: $sgpr14
                                        ; implicit-def: $sgpr40
	s_branch .LBB6_7500
.LBB6_7499:                             ;   in Loop: Header=BB6_7500 Depth=2
	s_wait_xcnt 0x0
	s_or_b32 exec_lo, exec_lo, s43
	s_delay_alu instid0(SALU_CYCLE_1) | instskip(NEXT) | instid1(SALU_CYCLE_1)
	s_and_b32 s42, exec_lo, s44
	s_or_b32 s13, s42, s13
	s_and_not1_b32 s14, s14, exec_lo
	s_and_b32 s42, s40, exec_lo
	s_delay_alu instid0(SALU_CYCLE_1)
	s_or_b32 s14, s14, s42
	s_and_not1_b32 exec_lo, exec_lo, s13
	s_cbranch_execz .LBB6_7504
.LBB6_7500:                             ;   Parent Loop BB6_7467 Depth=1
                                        ; =>  This Inner Loop Header: Depth=2
	s_add_co_i32 s41, s41, 1
	s_delay_alu instid0(SALU_CYCLE_1) | instskip(SKIP_1) | instid1(SALU_CYCLE_1)
	s_cmp_lg_u32 s41, 0x2710
	s_cselect_b32 s42, -1, 0
	s_and_b32 vcc_lo, exec_lo, s42
	s_cbranch_vccz .LBB6_7502
; %bb.7501:                             ;   in Loop: Header=BB6_7500 Depth=2
	s_mov_b32 s44, -1
	s_or_b32 s40, s40, exec_lo
	s_and_saveexec_b32 s43, s42
	s_cbranch_execz .LBB6_7499
	s_branch .LBB6_7503
.LBB6_7502:                             ;   in Loop: Header=BB6_7500 Depth=2
	s_trap 2
	ds_load_b64 v[0:1], v0
	s_and_not1_b32 s42, s42, exec_lo
	s_mov_b32 s41, 0
	s_wait_storecnt_dscnt 0x0
	flat_load_b32 v0, v[0:1] scope:SCOPE_SYS
	s_wait_loadcnt_dscnt 0x0
	global_inv scope:SCOPE_SYS
	v_cmp_eq_u32_e32 vcc_lo, 0, v0
	s_and_b32 s43, vcc_lo, exec_lo
	s_delay_alu instid0(SALU_CYCLE_1)
	s_or_b32 s42, s42, s43
	s_mov_b32 s44, -1
	s_or_b32 s40, s40, exec_lo
	s_wait_xcnt 0x0
	s_and_saveexec_b32 s43, s42
	s_cbranch_execz .LBB6_7499
.LBB6_7503:                             ;   in Loop: Header=BB6_7500 Depth=2
	s_sleep 1
	s_trap 2
	ds_load_b64 v[0:1], v0
	s_wait_dscnt 0x0
	scratch_load_b64 v[2:3], off, s33 offset:196 ; 8-byte Folded Reload
	s_and_not1_b32 s40, s40, exec_lo
	s_wait_loadcnt 0x0
	v_cmp_ge_u64_e32 vcc_lo, v[0:1], v[2:3]
	s_or_not1_b32 s44, vcc_lo, exec_lo
	s_branch .LBB6_7499
.LBB6_7504:                             ;   in Loop: Header=BB6_7467 Depth=1
	s_or_b32 exec_lo, exec_lo, s13
	s_and_saveexec_b32 s13, s14
	s_delay_alu instid0(SALU_CYCLE_1)
	s_xor_b32 s13, exec_lo, s13
	s_cbranch_execz .LBB6_7506
; %bb.7505:                             ;   in Loop: Header=BB6_7467 Depth=1
	v_mov_b32_e32 v0, 1
	ds_store_b32 v0, v0
	s_trap 2
.LBB6_7506:                             ;   in Loop: Header=BB6_7467 Depth=1
	s_or_b32 exec_lo, exec_lo, s12
	;;#ASMSTART
	s_wakeup
	;;#ASMEND
.LBB6_7507:                             ;   in Loop: Header=BB6_7467 Depth=1
	s_or_b32 exec_lo, exec_lo, s11
.LBB6_7508:                             ;   in Loop: Header=BB6_7467 Depth=1
	s_and_not1_saveexec_b32 s10, s10
	s_cbranch_execz .LBB6_7510
; %bb.7509:                             ;   in Loop: Header=BB6_7467 Depth=1
	global_wb scope:SCOPE_DEV
	s_wait_storecnt 0x0
	s_wait_loadcnt_dscnt 0x0
	global_inv scope:SCOPE_DEV
	s_barrier_signal -1
	s_barrier_wait -1
.LBB6_7510:                             ;   in Loop: Header=BB6_7467 Depth=1
	s_or_b32 exec_lo, exec_lo, s10
.LBB6_7511:                             ;   in Loop: Header=BB6_7467 Depth=1
	s_delay_alu instid0(SALU_CYCLE_1) | instskip(SKIP_3) | instid1(VALU_DEP_1)
	s_or_b32 exec_lo, exec_lo, s7
	s_trap 2
	ds_load_b32 v0, v0
	v_and_b32_e32 v1, 0x4000, v58
	v_cmp_ne_u32_e32 vcc_lo, 0, v1
	s_and_b32 s10, s26, vcc_lo
	s_delay_alu instid0(SALU_CYCLE_1)
	s_and_saveexec_b32 s7, s10
	s_cbranch_execz .LBB6_7530
; %bb.7512:                             ;   in Loop: Header=BB6_7467 Depth=1
	s_and_saveexec_b32 s10, s3
	s_delay_alu instid0(SALU_CYCLE_1)
	s_xor_b32 s10, exec_lo, s10
	s_cbranch_execz .LBB6_7527
; %bb.7513:                             ;   in Loop: Header=BB6_7467 Depth=1
	s_and_saveexec_b32 s11, s4
	s_cbranch_execz .LBB6_7526
; %bb.7514:                             ;   in Loop: Header=BB6_7467 Depth=1
	s_mov_b32 s13, exec_lo
	s_mov_b32 s12, exec_lo
	v_mbcnt_lo_u32_b32 v1, s13, 0
	global_wb scope:SCOPE_DEV
	s_wait_storecnt 0x0
	s_wait_loadcnt_dscnt 0x0
	global_inv scope:SCOPE_DEV
	v_cmpx_eq_u32_e32 0, v1
	s_cbranch_execz .LBB6_7516
; %bb.7515:                             ;   in Loop: Header=BB6_7467 Depth=1
	s_bcnt1_i32_b32 s13, s13
	s_delay_alu instid0(SALU_CYCLE_1)
	v_mov_b32_e32 v24, s13
	s_wait_loadcnt 0x0
	ds_add_u64 v0, v[24:25]
	s_trap 2
.LBB6_7516:                             ;   in Loop: Header=BB6_7467 Depth=1
	s_or_b32 exec_lo, exec_lo, s12
	s_trap 2
	ds_load_b64 v[2:3], v0
	s_wait_dscnt 0x0
	s_clause 0x1
	scratch_load_b64 v[4:5], off, s33 offset:196 th:TH_LOAD_LU
	scratch_load_b64 v[6:7], off, s33 offset:212
	s_mov_b32 s12, exec_lo
	s_wait_loadcnt 0x0
	v_add_nc_u64_e32 v[4:5], v[4:5], v[6:7]
	scratch_store_b64 off, v[4:5], s33 offset:196 ; 8-byte Folded Spill
	s_wait_xcnt 0x0
	v_cmpx_lt_u64_e64 v[2:3], v[4:5]
	s_cbranch_execz .LBB6_7525
; %bb.7517:                             ;   in Loop: Header=BB6_7467 Depth=1
	s_mov_b32 s13, 0
	s_mov_b32 s41, 0
                                        ; implicit-def: $sgpr14
                                        ; implicit-def: $sgpr40
	s_branch .LBB6_7519
.LBB6_7518:                             ;   in Loop: Header=BB6_7519 Depth=2
	s_wait_xcnt 0x0
	s_or_b32 exec_lo, exec_lo, s43
	s_delay_alu instid0(SALU_CYCLE_1) | instskip(NEXT) | instid1(SALU_CYCLE_1)
	s_and_b32 s42, exec_lo, s44
	s_or_b32 s13, s42, s13
	s_and_not1_b32 s14, s14, exec_lo
	s_and_b32 s42, s40, exec_lo
	s_delay_alu instid0(SALU_CYCLE_1)
	s_or_b32 s14, s14, s42
	s_and_not1_b32 exec_lo, exec_lo, s13
	s_cbranch_execz .LBB6_7523
.LBB6_7519:                             ;   Parent Loop BB6_7467 Depth=1
                                        ; =>  This Inner Loop Header: Depth=2
	s_add_co_i32 s41, s41, 1
	s_delay_alu instid0(SALU_CYCLE_1) | instskip(SKIP_1) | instid1(SALU_CYCLE_1)
	s_cmp_lg_u32 s41, 0x2710
	s_cselect_b32 s42, -1, 0
	s_and_b32 vcc_lo, exec_lo, s42
	s_cbranch_vccz .LBB6_7521
; %bb.7520:                             ;   in Loop: Header=BB6_7519 Depth=2
	s_mov_b32 s44, -1
	s_or_b32 s40, s40, exec_lo
	s_and_saveexec_b32 s43, s42
	s_cbranch_execz .LBB6_7518
	s_branch .LBB6_7522
.LBB6_7521:                             ;   in Loop: Header=BB6_7519 Depth=2
	s_trap 2
	ds_load_b64 v[2:3], v0
	s_and_not1_b32 s42, s42, exec_lo
	s_mov_b32 s41, 0
	s_wait_storecnt_dscnt 0x0
	flat_load_b32 v1, v[2:3] scope:SCOPE_SYS
	s_wait_loadcnt_dscnt 0x0
	global_inv scope:SCOPE_SYS
	v_cmp_eq_u32_e32 vcc_lo, 0, v1
	s_and_b32 s43, vcc_lo, exec_lo
	s_delay_alu instid0(SALU_CYCLE_1)
	s_or_b32 s42, s42, s43
	s_mov_b32 s44, -1
	s_or_b32 s40, s40, exec_lo
	s_wait_xcnt 0x0
	s_and_saveexec_b32 s43, s42
	s_cbranch_execz .LBB6_7518
.LBB6_7522:                             ;   in Loop: Header=BB6_7519 Depth=2
	s_sleep 1
	s_trap 2
	ds_load_b64 v[2:3], v0
	s_wait_dscnt 0x0
	scratch_load_b64 v[4:5], off, s33 offset:196 ; 8-byte Folded Reload
	s_and_not1_b32 s40, s40, exec_lo
	s_wait_loadcnt 0x0
	v_cmp_ge_u64_e32 vcc_lo, v[2:3], v[4:5]
	s_or_not1_b32 s44, vcc_lo, exec_lo
	s_branch .LBB6_7518
.LBB6_7523:                             ;   in Loop: Header=BB6_7467 Depth=1
	s_or_b32 exec_lo, exec_lo, s13
	s_and_saveexec_b32 s13, s14
	s_delay_alu instid0(SALU_CYCLE_1)
	s_xor_b32 s13, exec_lo, s13
	s_cbranch_execz .LBB6_7525
; %bb.7524:                             ;   in Loop: Header=BB6_7467 Depth=1
	v_mov_b32_e32 v1, 1
	ds_store_b32 v0, v1
	s_trap 2
.LBB6_7525:                             ;   in Loop: Header=BB6_7467 Depth=1
	s_or_b32 exec_lo, exec_lo, s12
	;;#ASMSTART
	s_wakeup
	;;#ASMEND
.LBB6_7526:                             ;   in Loop: Header=BB6_7467 Depth=1
	s_or_b32 exec_lo, exec_lo, s11
.LBB6_7527:                             ;   in Loop: Header=BB6_7467 Depth=1
	s_and_not1_saveexec_b32 s10, s10
	s_cbranch_execz .LBB6_7529
; %bb.7528:                             ;   in Loop: Header=BB6_7467 Depth=1
	global_wb scope:SCOPE_DEV
	s_wait_storecnt 0x0
	s_wait_loadcnt_dscnt 0x0
	global_inv scope:SCOPE_DEV
	s_barrier_signal -1
	s_barrier_wait -1
.LBB6_7529:                             ;   in Loop: Header=BB6_7467 Depth=1
	s_or_b32 exec_lo, exec_lo, s10
.LBB6_7530:                             ;   in Loop: Header=BB6_7467 Depth=1
	s_delay_alu instid0(SALU_CYCLE_1)
	s_or_b32 exec_lo, exec_lo, s7
	s_trap 2
	s_wait_dscnt 0x0
	ds_load_b64 v[118:119], v0
	v_min_u32_e32 v95, v95, v94
	s_wait_dscnt 0x0
	v_cmp_eq_u64_e32 vcc_lo, 0, v[118:119]
	s_cbranch_vccnz .LBB6_7538
; %bb.7531:                             ;   in Loop: Header=BB6_7467 Depth=1
	s_trap 2
	ds_load_b64 v[92:93], v0
	s_wait_dscnt 0x0
	v_cmp_eq_u64_e32 vcc_lo, 0, v[92:93]
	s_cbranch_vccnz .LBB6_7538
; %bb.7532:                             ;   in Loop: Header=BB6_7467 Depth=1
	s_trap 2
	ds_load_b64 v[2:3], v0
	s_mov_b32 s7, -1
	s_wait_dscnt 0x0
	v_readfirstlane_b32 s40, v2
	s_and_saveexec_b32 s10, s5
	s_cbranch_execz .LBB6_7534
; %bb.7533:                             ;   in Loop: Header=BB6_7467 Depth=1
	ds_load_b32 v1, v0 offset:720
	s_wait_dscnt 0x0
	v_and_b32_e32 v1, 15, v1
	s_delay_alu instid0(VALU_DEP_1)
	v_cmp_eq_u32_e32 vcc_lo, 0, v1
	s_or_not1_b32 s7, vcc_lo, exec_lo
.LBB6_7534:                             ;   in Loop: Header=BB6_7467 Depth=1
	s_or_b32 exec_lo, exec_lo, s10
	v_mov_b32_e32 v40, 0x7f800000
	s_and_saveexec_b32 s10, s6
	s_cbranch_execz .LBB6_7536
; %bb.7535:                             ;   in Loop: Header=BB6_7467 Depth=1
	ds_load_b32 v1, v0 offset:784
	s_wait_dscnt 0x0
	v_and_b32_e32 v1, 15, v1
	s_delay_alu instid0(VALU_DEP_1) | instskip(SKIP_3) | instid1(SALU_CYCLE_1)
	v_cmp_eq_u32_e32 vcc_lo, 0, v1
	s_and_b32 s11, s7, vcc_lo
	s_and_not1_b32 s7, s7, exec_lo
	s_and_b32 s11, s11, exec_lo
	s_or_b32 s7, s7, s11
.LBB6_7536:                             ;   in Loop: Header=BB6_7467 Depth=1
	s_or_b32 exec_lo, exec_lo, s10
	v_cmp_eq_u32_e32 vcc_lo, 0, v0
	s_xor_b32 s7, s7, -1
	v_mov_b32_e32 v9, 0
	v_cndmask_b32_e64 v1, 0, 1, s7
	s_mov_b32 s7, -1
	v_dual_cndmask_b32 v104, 0, v95, vcc_lo :: v_dual_mov_b32 v4, v112
	s_delay_alu instid0(VALU_DEP_2) | instskip(NEXT) | instid1(VALU_DEP_2)
	v_cmp_ne_u32_e32 vcc_lo, 0, v1
	v_mov_b32_e32 v3, v104
	s_cbranch_vccz .LBB6_7539
; %bb.7537:                             ;   in Loop: Header=BB6_7467 Depth=1
	s_and_saveexec_b32 s12, s7
	s_cbranch_execnz .LBB6_12542
; %bb.15084:                            ;   in Loop: Header=BB6_7467 Depth=1
	s_add_pc_i64 .LBB6_14794-.Lpost_addpc8
.Lpost_addpc8:
.LBB6_7538:                             ;   in Loop: Header=BB6_7467 Depth=1
	s_mov_b32 s7, 0
	s_and_saveexec_b32 s10, s2
	s_cbranch_execz .LBB6_15086
; %bb.15116:                            ;   in Loop: Header=BB6_7467 Depth=1
	s_add_pc_i64 .LBB6_14795-.Lpost_addpc24
.Lpost_addpc24:
.LBB6_15086:                            ;   in Loop: Header=BB6_7467 Depth=1
	s_add_pc_i64 .LBB6_14813-.Lpost_addpc9
.Lpost_addpc9:
.LBB6_7539:                             ;   in Loop: Header=BB6_7467 Depth=1
	v_lshrrev_b32_e32 v0, 11, v104
	s_mov_b32 s11, exec_lo
	s_delay_alu instid0(VALU_DEP_1) | instskip(NEXT) | instid1(VALU_DEP_1)
	v_sub_nc_u32_e32 v22, v0, v74
	v_cmpx_lt_i32_e32 0, v22
	s_cbranch_execz .LBB6_11639
; %bb.7540:                             ;   in Loop: Header=BB6_7467 Depth=1
	s_trap 2
	scratch_load_b64 v[2:3], off, s33 offset:456 ; 8-byte Folded Reload
	ds_load_b64 v[0:1], v0
	v_dual_mov_b32 v57, v103 :: v_dual_mov_b32 v56, v102
	v_mov_b32_e32 v75, 0x7f800000
	s_bitcmp1_b32 s40, 0
	s_mov_b32 s12, 0
	s_cselect_b32 s13, -1, 0
	s_wait_loadcnt 0x0
	v_add_nc_u64_e32 v[42:43], v[118:119], v[2:3]
	s_wait_dscnt 0x0
	v_add_nc_u64_e32 v[44:45], v[0:1], v[2:3]
	v_add_nc_u64_e32 v[46:47], v[92:93], v[2:3]
	s_branch .LBB6_7543
.LBB6_7541:                             ;   in Loop: Header=BB6_7543 Depth=2
	s_or_b32 exec_lo, exec_lo, s10
.LBB6_7542:                             ;   in Loop: Header=BB6_7543 Depth=2
	s_delay_alu instid0(SALU_CYCLE_1)
	s_or_b32 exec_lo, exec_lo, s7
	v_lshl_or_b32 v1, v8, 8, v85
	v_dual_lshlrev_b32 v2, 16, v9 :: v_dual_lshlrev_b32 v3, 24, v18
	v_lshl_or_b32 v8, v34, 8, v29
	v_dual_lshlrev_b32 v9, 16, v35 :: v_dual_lshlrev_b32 v12, 24, v96
	v_dual_lshlrev_b32 v13, 24, v20 :: v_dual_lshlrev_b32 v7, 16, v7
	s_delay_alu instid0(VALU_DEP_4)
	v_or3_b32 v17, v1, v2, v3
	v_lshlrev_b32_e32 v1, 24, v84
	v_lshl_or_b32 v2, v86, 8, v19
	v_lshlrev_b32_e32 v3, 16, v87
	v_lshl_or_b32 v6, v6, 8, v97
	v_lshl_or_b32 v20, v70, 8, v69
	v_dual_lshlrev_b32 v24, 16, v71 :: v_dual_lshlrev_b32 v26, 24, v26
	v_lshl_or_b32 v29, v50, 8, v39
	v_dual_lshlrev_b32 v34, 16, v51 :: v_dual_lshlrev_b32 v35, 24, v68
	v_or3_b32 v16, v8, v9, v1
	v_or3_b32 v18, v2, v3, v12
	v_lshl_or_b32 v1, v32, 8, v27
	v_dual_lshlrev_b32 v2, 16, v33 :: v_dual_lshlrev_b32 v3, 24, v80
	v_or3_b32 v19, v6, v7, v13
	v_or3_b32 v7, v20, v24, v26
	;; [unrolled: 1-line block ×3, first 2 shown]
	v_dual_lshlrev_b32 v9, 24, v28 :: v_dual_lshlrev_b32 v12, 16, v83
	v_lshl_or_b32 v20, v54, 8, v53
	v_dual_lshlrev_b32 v24, 16, v55 :: v_dual_lshlrev_b32 v26, 24, v36
	v_lshl_or_b32 v23, v30, 8, v23
	;; [unrolled: 2-line block ×3, first 2 shown]
	v_dual_lshlrev_b32 v31, 16, v49 :: v_dual_lshlrev_b32 v32, 24, v64
	v_or3_b32 v8, v1, v2, v3
	v_dual_lshlrev_b32 v1, 24, v38 :: v_dual_lshlrev_b32 v2, 16, v67
	v_lshl_or_b32 v3, v66, 8, v65
	v_lshl_or_b32 v13, v82, 8, v81
	v_or3_b32 v27, v20, v24, v26
	v_or3_b32 v26, v23, v28, v29
	;; [unrolled: 1-line block ×5, first 2 shown]
	v_dual_lshlrev_b32 v24, 24, v0 :: v_dual_lshlrev_b32 v5, 16, v5
	v_lshl_or_b32 v4, v4, 8, v113
	s_clause 0x1
	global_store_b128 v[46:47], v[26:29], off th:TH_STORE_NT
	global_store_b128 v[46:47], v[6:9], off offset:512 th:TH_STORE_NT
	v_lshl_or_b32 v12, v102, 8, v101
	v_dual_lshlrev_b32 v13, 16, v103 :: v_dual_lshlrev_b32 v10, 24, v10
	v_or3_b32 v3, v4, v5, v24
	scratch_load_b64 v[4:5], off, s33 offset:212 ; 8-byte Folded Reload
	v_lshl_or_b32 v20, v98, 8, v21
	v_dual_lshlrev_b32 v21, 16, v99 :: v_dual_lshlrev_b32 v23, 24, v100
	v_lshl_or_b32 v11, v14, 8, v11
	v_dual_lshlrev_b32 v14, 16, v15 :: v_dual_lshlrev_b32 v15, 24, v112
	v_or3_b32 v1, v12, v13, v10
	s_delay_alu instid0(VALU_DEP_4)
	v_or3_b32 v0, v20, v21, v23
	v_add_nc_u64_e32 v[42:43], v[42:43], v[76:77]
	v_add_nc_u64_e32 v[44:45], v[44:45], v[76:77]
	v_or3_b32 v2, v11, v14, v15
	s_clause 0x1
	global_store_b128 v[46:47], v[16:19], off offset:1024 th:TH_STORE_NT
	global_store_b128 v[46:47], v[0:3], off offset:1536 th:TH_STORE_NT
	s_wait_xcnt 0x0
	v_add_nc_u64_e32 v[46:47], v[46:47], v[76:77]
	s_wait_loadcnt 0x0
	v_sub_nc_u32_e32 v22, v22, v4
	s_delay_alu instid0(VALU_DEP_1) | instskip(SKIP_1) | instid1(SALU_CYCLE_1)
	v_cmp_gt_i32_e32 vcc_lo, 1, v22
	s_or_b32 s12, vcc_lo, s12
	s_and_not1_b32 exec_lo, exec_lo, s12
	s_cbranch_execz .LBB6_11638
.LBB6_7543:                             ;   Parent Loop BB6_7467 Depth=1
                                        ; =>  This Inner Loop Header: Depth=2
	global_load_b128 v[48:51], v[42:43], off th:TH_LOAD_NT
	global_load_b128 v[36:39], v[44:45], off th:TH_LOAD_NT
	s_clause 0x2
	global_load_b128 v[32:35], v[42:43], off offset:512 th:TH_LOAD_NT
	global_load_b128 v[2:5], v[42:43], off offset:1024 th:TH_LOAD_NT
	;; [unrolled: 1-line block ×3, first 2 shown]
	s_clause 0x2
	global_load_b128 v[26:29], v[44:45], off offset:512 th:TH_LOAD_NT
	global_load_b128 v[18:21], v[44:45], off offset:1024 th:TH_LOAD_NT
	global_load_b128 v[10:13], v[44:45], off offset:1536 th:TH_LOAD_NT
	s_and_b32 vcc_lo, exec_lo, s13
	s_mov_b32 s10, -1
	s_wait_loadcnt 0x7
	v_and_b32_e32 v6, 0xff, v48
	v_bfe_i32 v1, v48, 0, 8
	s_wait_loadcnt 0x6
	v_bfe_i32 v0, v36, 0, 8
	s_delay_alu instid0(VALU_DEP_3)
	v_cmp_ne_u16_e64 s7, 0, v6
                                        ; implicit-def: $vgpr6
	s_cbranch_vccz .LBB6_7565
; %bb.7544:                             ;   in Loop: Header=BB6_7543 Depth=2
	v_dual_mov_b32 v7, 0 :: v_dual_mov_b32 v6, 0
	s_wait_xcnt 0x0
	s_and_saveexec_b32 s10, s7
	s_cbranch_execz .LBB6_7554
; %bb.7545:                             ;   in Loop: Header=BB6_7543 Depth=2
	v_bfrev_b32_e32 v6, 1
	s_mov_b32 s14, exec_lo
	v_cmpx_ne_u16_e32 0xff80, v1
	s_cbranch_execz .LBB6_7553
; %bb.7546:                             ;   in Loop: Header=BB6_7543 Depth=2
	v_and_b32_e32 v6, 0x7c, v48
	v_and_b32_e32 v8, 3, v48
	s_delay_alu instid0(VALU_DEP_2) | instskip(SKIP_1) | instid1(SALU_CYCLE_1)
	v_cmp_ne_u32_e32 vcc_lo, 0x7c, v6
                                        ; implicit-def: $vgpr6
	s_and_saveexec_b32 s41, vcc_lo
	s_xor_b32 s41, exec_lo, s41
	s_cbranch_execz .LBB6_7550
; %bb.7547:                             ;   in Loop: Header=BB6_7543 Depth=2
	v_bfe_u32 v6, v48, 2, 5
	s_mov_b32 s42, exec_lo
	s_delay_alu instid0(VALU_DEP_1)
	v_cmpx_eq_u32_e32 0, v6
; %bb.7548:                             ;   in Loop: Header=BB6_7543 Depth=2
	v_clz_i32_u32_e32 v6, v8
	s_delay_alu instid0(VALU_DEP_1) | instskip(NEXT) | instid1(VALU_DEP_1)
	v_min_u32_e32 v6, 32, v6
	v_subrev_nc_u32_e32 v8, 29, v6
	s_delay_alu instid0(VALU_DEP_1) | instskip(NEXT) | instid1(VALU_DEP_1)
	v_lshlrev_b64_e32 v[8:9], v8, v[48:49]
	v_dual_sub_nc_u32 v6, 30, v6 :: v_dual_bitop2_b32 v8, 3, v8 bitop3:0x40
; %bb.7549:                             ;   in Loop: Header=BB6_7543 Depth=2
	s_or_b32 exec_lo, exec_lo, s42
	v_lshlrev_b32_e32 v9, 24, v48
	s_delay_alu instid0(VALU_DEP_1) | instskip(NEXT) | instid1(VALU_DEP_1)
	v_and_b32_e32 v9, 0x80000000, v9
	v_lshl_add_u32 v6, v6, 23, v9
	s_delay_alu instid0(VALU_DEP_1) | instskip(NEXT) | instid1(VALU_DEP_1)
	v_lshl_or_b32 v6, v8, 21, v6
                                        ; implicit-def: $vgpr8
	v_add_nc_u32_e32 v6, 0x38000000, v6
.LBB6_7550:                             ;   in Loop: Header=BB6_7543 Depth=2
	s_and_not1_saveexec_b32 s41, s41
; %bb.7551:                             ;   in Loop: Header=BB6_7543 Depth=2
	v_cmp_lt_i16_e32 vcc_lo, -1, v1
	v_cndmask_b32_e32 v6, 0xff800000, v75, vcc_lo
	v_cmp_eq_u32_e32 vcc_lo, 0, v8
	s_delay_alu instid0(VALU_DEP_2)
	v_cndmask_b32_e32 v6, 0x7f800001, v6, vcc_lo
; %bb.7552:                             ;   in Loop: Header=BB6_7543 Depth=2
	s_or_b32 exec_lo, exec_lo, s41
.LBB6_7553:                             ;   in Loop: Header=BB6_7543 Depth=2
	s_delay_alu instid0(SALU_CYCLE_1)
	s_or_b32 exec_lo, exec_lo, s14
.LBB6_7554:                             ;   in Loop: Header=BB6_7543 Depth=2
	s_delay_alu instid0(SALU_CYCLE_1) | instskip(NEXT) | instid1(SALU_CYCLE_1)
	s_or_b32 exec_lo, exec_lo, s10
	s_mov_b32 s10, exec_lo
	v_cmpx_ne_u16_e32 0, v0
	s_cbranch_execz .LBB6_7564
; %bb.7555:                             ;   in Loop: Header=BB6_7543 Depth=2
	v_bfrev_b32_e32 v7, 1
	s_mov_b32 s14, exec_lo
	v_cmpx_ne_u16_e32 0xff80, v0
	s_cbranch_execz .LBB6_7563
; %bb.7556:                             ;   in Loop: Header=BB6_7543 Depth=2
	v_and_b32_e32 v7, 0x7c, v36
	v_and_b32_e32 v8, 3, v36
	s_delay_alu instid0(VALU_DEP_2) | instskip(SKIP_1) | instid1(SALU_CYCLE_1)
	v_cmp_ne_u32_e32 vcc_lo, 0x7c, v7
                                        ; implicit-def: $vgpr7
	s_and_saveexec_b32 s41, vcc_lo
	s_xor_b32 s41, exec_lo, s41
	s_cbranch_execz .LBB6_7560
; %bb.7557:                             ;   in Loop: Header=BB6_7543 Depth=2
	v_bfe_u32 v7, v36, 2, 5
	s_mov_b32 s42, exec_lo
	s_delay_alu instid0(VALU_DEP_1)
	v_cmpx_eq_u32_e32 0, v7
; %bb.7558:                             ;   in Loop: Header=BB6_7543 Depth=2
	v_clz_i32_u32_e32 v7, v8
	s_delay_alu instid0(VALU_DEP_1) | instskip(NEXT) | instid1(VALU_DEP_1)
	v_min_u32_e32 v7, 32, v7
	v_subrev_nc_u32_e32 v8, 29, v7
	s_delay_alu instid0(VALU_DEP_1) | instskip(NEXT) | instid1(VALU_DEP_1)
	v_lshlrev_b64_e32 v[8:9], v8, v[36:37]
	v_dual_sub_nc_u32 v7, 30, v7 :: v_dual_bitop2_b32 v8, 3, v8 bitop3:0x40
; %bb.7559:                             ;   in Loop: Header=BB6_7543 Depth=2
	s_or_b32 exec_lo, exec_lo, s42
	v_lshlrev_b32_e32 v9, 24, v36
	s_delay_alu instid0(VALU_DEP_1) | instskip(NEXT) | instid1(VALU_DEP_1)
	v_and_b32_e32 v9, 0x80000000, v9
	v_lshl_add_u32 v7, v7, 23, v9
	s_delay_alu instid0(VALU_DEP_1) | instskip(NEXT) | instid1(VALU_DEP_1)
	v_lshl_or_b32 v7, v8, 21, v7
                                        ; implicit-def: $vgpr8
	v_add_nc_u32_e32 v7, 0x38000000, v7
.LBB6_7560:                             ;   in Loop: Header=BB6_7543 Depth=2
	s_and_not1_saveexec_b32 s41, s41
; %bb.7561:                             ;   in Loop: Header=BB6_7543 Depth=2
	v_cmp_lt_i16_e32 vcc_lo, -1, v0
	v_cndmask_b32_e32 v7, 0xff800000, v75, vcc_lo
	v_cmp_eq_u32_e32 vcc_lo, 0, v8
	s_delay_alu instid0(VALU_DEP_2)
	v_cndmask_b32_e32 v7, 0x7f800001, v7, vcc_lo
; %bb.7562:                             ;   in Loop: Header=BB6_7543 Depth=2
	s_or_b32 exec_lo, exec_lo, s41
.LBB6_7563:                             ;   in Loop: Header=BB6_7543 Depth=2
	s_delay_alu instid0(SALU_CYCLE_1)
	s_or_b32 exec_lo, exec_lo, s14
.LBB6_7564:                             ;   in Loop: Header=BB6_7543 Depth=2
	s_delay_alu instid0(SALU_CYCLE_1) | instskip(NEXT) | instid1(VALU_DEP_1)
	s_or_b32 exec_lo, exec_lo, s10
	v_dual_max_num_f32 v7, v7, v7 :: v_dual_max_num_f32 v6, v6, v6
	s_mov_b32 s10, 0
	s_delay_alu instid0(VALU_DEP_1)
	v_max_num_f32_e32 v6, v6, v7
.LBB6_7565:                             ;   in Loop: Header=BB6_7543 Depth=2
	s_and_b32 vcc_lo, exec_lo, s10
	s_cbranch_vccz .LBB6_7587
; %bb.7566:                             ;   in Loop: Header=BB6_7543 Depth=2
	v_dual_mov_b32 v7, 0 :: v_dual_mov_b32 v6, 0
	s_wait_xcnt 0x0
	s_and_saveexec_b32 s10, s7
	s_cbranch_execz .LBB6_7576
; %bb.7567:                             ;   in Loop: Header=BB6_7543 Depth=2
	v_bfrev_b32_e32 v6, 1
	s_mov_b32 s7, exec_lo
	v_cmpx_ne_u16_e32 0xff80, v1
	s_cbranch_execz .LBB6_7575
; %bb.7568:                             ;   in Loop: Header=BB6_7543 Depth=2
	v_and_b32_e32 v6, 0x7c, v48
	v_and_b32_e32 v8, 3, v48
	s_delay_alu instid0(VALU_DEP_2) | instskip(SKIP_1) | instid1(SALU_CYCLE_1)
	v_cmp_ne_u32_e32 vcc_lo, 0x7c, v6
                                        ; implicit-def: $vgpr6
	s_and_saveexec_b32 s14, vcc_lo
	s_xor_b32 s14, exec_lo, s14
	s_cbranch_execz .LBB6_7572
; %bb.7569:                             ;   in Loop: Header=BB6_7543 Depth=2
	v_bfe_u32 v1, v48, 2, 5
	s_mov_b32 s41, exec_lo
	s_delay_alu instid0(VALU_DEP_1)
	v_cmpx_eq_u32_e32 0, v1
; %bb.7570:                             ;   in Loop: Header=BB6_7543 Depth=2
	v_clz_i32_u32_e32 v1, v8
	s_delay_alu instid0(VALU_DEP_1) | instskip(NEXT) | instid1(VALU_DEP_1)
	v_min_u32_e32 v1, 32, v1
	v_subrev_nc_u32_e32 v6, 29, v1
	s_delay_alu instid0(VALU_DEP_1) | instskip(NEXT) | instid1(VALU_DEP_1)
	v_lshlrev_b64_e32 v[8:9], v6, v[48:49]
	v_dual_sub_nc_u32 v1, 30, v1 :: v_dual_bitop2_b32 v8, 3, v8 bitop3:0x40
; %bb.7571:                             ;   in Loop: Header=BB6_7543 Depth=2
	s_or_b32 exec_lo, exec_lo, s41
	v_lshlrev_b32_e32 v6, 24, v48
	s_delay_alu instid0(VALU_DEP_1) | instskip(NEXT) | instid1(VALU_DEP_1)
	v_and_b32_e32 v6, 0x80000000, v6
	v_lshl_add_u32 v1, v1, 23, v6
	s_delay_alu instid0(VALU_DEP_1) | instskip(NEXT) | instid1(VALU_DEP_1)
	v_lshl_or_b32 v1, v8, 21, v1
                                        ; implicit-def: $vgpr8
	v_add_nc_u32_e32 v6, 0x38000000, v1
                                        ; implicit-def: $vgpr1
.LBB6_7572:                             ;   in Loop: Header=BB6_7543 Depth=2
	s_and_not1_saveexec_b32 s14, s14
; %bb.7573:                             ;   in Loop: Header=BB6_7543 Depth=2
	v_cmp_lt_i16_e32 vcc_lo, -1, v1
	v_cndmask_b32_e32 v1, 0xff800000, v75, vcc_lo
	v_cmp_eq_u32_e32 vcc_lo, 0, v8
	s_delay_alu instid0(VALU_DEP_2)
	v_cndmask_b32_e32 v6, 0x7f800001, v1, vcc_lo
; %bb.7574:                             ;   in Loop: Header=BB6_7543 Depth=2
	s_or_b32 exec_lo, exec_lo, s14
.LBB6_7575:                             ;   in Loop: Header=BB6_7543 Depth=2
	s_delay_alu instid0(SALU_CYCLE_1)
	s_or_b32 exec_lo, exec_lo, s7
.LBB6_7576:                             ;   in Loop: Header=BB6_7543 Depth=2
	s_delay_alu instid0(SALU_CYCLE_1) | instskip(NEXT) | instid1(SALU_CYCLE_1)
	s_or_b32 exec_lo, exec_lo, s10
	s_mov_b32 s7, exec_lo
	v_cmpx_ne_u16_e32 0, v0
	s_cbranch_execz .LBB6_7586
; %bb.7577:                             ;   in Loop: Header=BB6_7543 Depth=2
	v_bfrev_b32_e32 v7, 1
	s_mov_b32 s10, exec_lo
	v_cmpx_ne_u16_e32 0xff80, v0
	s_cbranch_execz .LBB6_7585
; %bb.7578:                             ;   in Loop: Header=BB6_7543 Depth=2
	v_and_b32_e32 v7, 0x7c, v36
	v_and_b32_e32 v1, 3, v36
	s_delay_alu instid0(VALU_DEP_2) | instskip(SKIP_1) | instid1(SALU_CYCLE_1)
	v_cmp_ne_u32_e32 vcc_lo, 0x7c, v7
                                        ; implicit-def: $vgpr7
	s_and_saveexec_b32 s14, vcc_lo
	s_xor_b32 s14, exec_lo, s14
	s_cbranch_execz .LBB6_7582
; %bb.7579:                             ;   in Loop: Header=BB6_7543 Depth=2
	v_bfe_u32 v0, v36, 2, 5
	s_mov_b32 s41, exec_lo
	s_delay_alu instid0(VALU_DEP_1)
	v_cmpx_eq_u32_e32 0, v0
; %bb.7580:                             ;   in Loop: Header=BB6_7543 Depth=2
	v_clz_i32_u32_e32 v0, v1
	s_delay_alu instid0(VALU_DEP_1) | instskip(NEXT) | instid1(VALU_DEP_1)
	v_min_u32_e32 v0, 32, v0
	v_subrev_nc_u32_e32 v1, 29, v0
	v_sub_nc_u32_e32 v0, 30, v0
	s_delay_alu instid0(VALU_DEP_2) | instskip(NEXT) | instid1(VALU_DEP_1)
	v_lshlrev_b64_e32 v[8:9], v1, v[36:37]
	v_and_b32_e32 v1, 3, v8
; %bb.7581:                             ;   in Loop: Header=BB6_7543 Depth=2
	s_or_b32 exec_lo, exec_lo, s41
	v_lshlrev_b32_e32 v7, 24, v36
	s_delay_alu instid0(VALU_DEP_1) | instskip(NEXT) | instid1(VALU_DEP_1)
	v_and_b32_e32 v7, 0x80000000, v7
	v_lshl_add_u32 v0, v0, 23, v7
	s_delay_alu instid0(VALU_DEP_1) | instskip(NEXT) | instid1(VALU_DEP_1)
	v_lshl_or_b32 v0, v1, 21, v0
                                        ; implicit-def: $vgpr1
	v_add_nc_u32_e32 v7, 0x38000000, v0
                                        ; implicit-def: $vgpr0
.LBB6_7582:                             ;   in Loop: Header=BB6_7543 Depth=2
	s_and_not1_saveexec_b32 s14, s14
; %bb.7583:                             ;   in Loop: Header=BB6_7543 Depth=2
	v_cmp_lt_i16_e32 vcc_lo, -1, v0
	v_cndmask_b32_e32 v0, 0xff800000, v75, vcc_lo
	v_cmp_eq_u32_e32 vcc_lo, 0, v1
	s_delay_alu instid0(VALU_DEP_2)
	v_cndmask_b32_e32 v7, 0x7f800001, v0, vcc_lo
; %bb.7584:                             ;   in Loop: Header=BB6_7543 Depth=2
	s_or_b32 exec_lo, exec_lo, s14
.LBB6_7585:                             ;   in Loop: Header=BB6_7543 Depth=2
	s_delay_alu instid0(SALU_CYCLE_1)
	s_or_b32 exec_lo, exec_lo, s10
.LBB6_7586:                             ;   in Loop: Header=BB6_7543 Depth=2
	s_delay_alu instid0(SALU_CYCLE_1) | instskip(NEXT) | instid1(VALU_DEP_1)
	s_or_b32 exec_lo, exec_lo, s7
	v_dual_max_num_f32 v0, v7, v7 :: v_dual_max_num_f32 v1, v6, v6
	s_delay_alu instid0(VALU_DEP_1)
	v_min_num_f32_e32 v6, v1, v0
.LBB6_7587:                             ;   in Loop: Header=BB6_7543 Depth=2
	s_delay_alu instid0(VALU_DEP_1) | instskip(SKIP_2) | instid1(VALU_DEP_2)
	v_and_b32_e32 v0, 0x7f800000, v6
	v_mov_b32_e32 v1, v25
	v_and_b32_e32 v24, 0x7fffff, v6
                                        ; implicit-def: $vgpr23
	v_cmp_ne_u64_e32 vcc_lo, 0x7f800000, v[0:1]
	v_lshrrev_b32_e32 v0, 24, v6
	s_wait_xcnt 0x0
	s_and_saveexec_b32 s7, vcc_lo
	s_delay_alu instid0(SALU_CYCLE_1)
	s_xor_b32 s10, exec_lo, s7
	s_cbranch_execz .LBB6_7601
; %bb.7588:                             ;   in Loop: Header=BB6_7543 Depth=2
	v_and_b32_e32 v8, 0x7fffffff, v6
	v_mov_b32_e32 v9, v25
                                        ; implicit-def: $vgpr23
	s_delay_alu instid0(VALU_DEP_1) | instskip(SKIP_2) | instid1(SALU_CYCLE_1)
	v_cmp_gt_u64_e32 vcc_lo, 0x47600001, v[8:9]
	v_and_b32_e32 v8, 0x80, v0
	s_and_saveexec_b32 s7, vcc_lo
	s_xor_b32 s14, exec_lo, s7
	s_cbranch_execz .LBB6_7598
; %bb.7589:                             ;   in Loop: Header=BB6_7543 Depth=2
	v_mov_b32_e32 v23, 0
	s_mov_b32 s41, exec_lo
	v_cmpx_ne_u32_e32 0, v6
	s_cbranch_execz .LBB6_7597
; %bb.7590:                             ;   in Loop: Header=BB6_7543 Depth=2
	v_bfe_u32 v9, v6, 23, 8
	v_or_b32_e32 v6, 0x800000, v24
	s_delay_alu instid0(VALU_DEP_2) | instskip(SKIP_1) | instid1(VALU_DEP_2)
	v_sub_nc_u32_e32 v0, 0x71, v9
	v_cmp_gt_u32_e32 vcc_lo, 0x72, v9
	v_cndmask_b32_e32 v0, 0, v0, vcc_lo
	v_cmp_eq_u32_e32 vcc_lo, 0, v9
	s_delay_alu instid0(VALU_DEP_2) | instskip(NEXT) | instid1(VALU_DEP_1)
	v_cndmask_b32_e64 v23, v0, 0x70, vcc_lo
	v_dual_cndmask_b32 v24, v6, v24, vcc_lo :: v_dual_add_nc_u32 v0, 21, v23
	v_add_nc_u32_e32 v7, 20, v23
	s_delay_alu instid0(VALU_DEP_2) | instskip(NEXT) | instid1(VALU_DEP_2)
	v_lshlrev_b64_e64 v[0:1], v0, -1
	v_lshlrev_b64_e64 v[6:7], v7, 1
	s_delay_alu instid0(VALU_DEP_2) | instskip(NEXT) | instid1(VALU_DEP_3)
	v_bfi_b32 v31, v1, 0, 0
	v_bfi_b32 v30, v0, 0, v24
	v_lshrrev_b64 v[0:1], v23, v[24:25]
	s_delay_alu instid0(VALU_DEP_2) | instskip(NEXT) | instid1(VALU_DEP_2)
	v_cmp_eq_u64_e64 s7, v[30:31], v[6:7]
	v_mov_b64_e32 v[6:7], v[0:1]
	s_and_saveexec_b32 s42, s7
; %bb.7591:                             ;   in Loop: Header=BB6_7543 Depth=2
	v_bfe_u32 v24, v0, 21, 1
	s_delay_alu instid0(VALU_DEP_1) | instskip(NEXT) | instid1(VALU_DEP_1)
	v_add_nc_u64_e32 v[6:7], v[0:1], v[24:25]
	v_add_nc_u64_e32 v[6:7], -1, v[6:7]
; %bb.7592:                             ;   in Loop: Header=BB6_7543 Depth=2
	s_or_b32 exec_lo, exec_lo, s42
	v_add_nc_u32_e32 v1, 0xffffff81, v9
	v_lshrrev_b32_e32 v7, 23, v0
	s_mov_b32 s7, exec_lo
	s_delay_alu instid0(VALU_DEP_2) | instskip(NEXT) | instid1(VALU_DEP_1)
	v_cndmask_b32_e64 v1, v1, 0xffffff82, vcc_lo
	v_add3_u32 v7, v23, v1, v7
	v_and_b32_e32 v1, 0x1fffff, v6
                                        ; implicit-def: $vgpr6
	s_delay_alu instid0(VALU_DEP_1) | instskip(NEXT) | instid1(VALU_DEP_1)
	v_dual_add_nc_u32 v9, 14, v7 :: v_dual_add_nc_u32 v24, v1, v0
                                        ; implicit-def: $vgpr0_vgpr1
	v_cmpx_ne_u32_e32 0, v9
	s_xor_b32 s7, exec_lo, s7
; %bb.7593:                             ;   in Loop: Header=BB6_7543 Depth=2
	s_delay_alu instid0(VALU_DEP_2) | instskip(SKIP_1) | instid1(VALU_DEP_1)
	v_cmp_lt_u64_e32 vcc_lo, 0xffffff, v[24:25]
	v_add_nc_u32_e32 v0, 15, v7
	v_cndmask_b32_e32 v6, v9, v0, vcc_lo
	v_cndmask_b32_e64 v0, 0, 1, vcc_lo
	s_delay_alu instid0(VALU_DEP_1)
	v_lshrrev_b64 v[0:1], v0, v[24:25]
; %bb.7594:                             ;   in Loop: Header=BB6_7543 Depth=2
	s_and_not1_saveexec_b32 s7, s7
; %bb.7595:                             ;   in Loop: Header=BB6_7543 Depth=2
	v_mov_b64_e32 v[0:1], v[24:25]
	v_bfe_u32 v6, v24, 23, 1
; %bb.7596:                             ;   in Loop: Header=BB6_7543 Depth=2
	s_or_b32 exec_lo, exec_lo, s7
	s_delay_alu instid0(VALU_DEP_2) | instskip(NEXT) | instid1(VALU_DEP_2)
	v_lshrrev_b64 v[0:1], 21, v[0:1]
	v_cmp_gt_i32_e32 vcc_lo, 32, v6
	v_min_i32_e32 v7, 31, v6
	v_cmp_eq_u32_e64 s7, 0, v6
	s_delay_alu instid0(VALU_DEP_2) | instskip(SKIP_1) | instid1(VALU_DEP_2)
	v_dual_cndmask_b32 v1, 0, v1, vcc_lo :: v_dual_lshlrev_b32 v7, 2, v7
	v_cndmask_b32_e32 v0, 3, v0, vcc_lo
	v_and_b32_e32 v7, 0xfc, v7
	s_delay_alu instid0(VALU_DEP_2) | instskip(NEXT) | instid1(VALU_DEP_2)
	v_cmp_eq_u64_e32 vcc_lo, 0, v[0:1]
	v_and_or_b32 v0, v0, 3, v7
	s_and_b32 s7, s7, vcc_lo
	s_delay_alu instid0(VALU_DEP_1) | instid1(SALU_CYCLE_1)
	v_cndmask_b32_e64 v0, v0, 0, s7
	s_delay_alu instid0(VALU_DEP_1)
	v_or_b32_e32 v23, v0, v8
.LBB6_7597:                             ;   in Loop: Header=BB6_7543 Depth=2
	s_or_b32 exec_lo, exec_lo, s41
                                        ; implicit-def: $vgpr8
.LBB6_7598:                             ;   in Loop: Header=BB6_7543 Depth=2
	s_and_not1_saveexec_b32 s7, s14
; %bb.7599:                             ;   in Loop: Header=BB6_7543 Depth=2
	v_or_b32_e32 v23, 0x7b, v8
; %bb.7600:                             ;   in Loop: Header=BB6_7543 Depth=2
	s_or_b32 exec_lo, exec_lo, s7
                                        ; implicit-def: $vgpr6
                                        ; implicit-def: $vgpr0
.LBB6_7601:                             ;   in Loop: Header=BB6_7543 Depth=2
	s_and_not1_saveexec_b32 s7, s10
	s_cbranch_execz .LBB6_7607
; %bb.7602:                             ;   in Loop: Header=BB6_7543 Depth=2
	s_mov_b32 s10, exec_lo
                                        ; implicit-def: $vgpr23
	v_cmpx_ne_u64_e32 0, v[24:25]
	s_xor_b32 s10, exec_lo, s10
; %bb.7603:                             ;   in Loop: Header=BB6_7543 Depth=2
	v_or_b32_e32 v23, 0x7f, v0
                                        ; implicit-def: $vgpr6
; %bb.7604:                             ;   in Loop: Header=BB6_7543 Depth=2
	s_and_not1_saveexec_b32 s10, s10
; %bb.7605:                             ;   in Loop: Header=BB6_7543 Depth=2
	v_cmp_lt_i32_e32 vcc_lo, -1, v6
	v_cndmask_b32_e32 v23, 0xfc, v41, vcc_lo
; %bb.7606:                             ;   in Loop: Header=BB6_7543 Depth=2
	s_or_b32 exec_lo, exec_lo, s10
.LBB6_7607:                             ;   in Loop: Header=BB6_7543 Depth=2
	s_delay_alu instid0(SALU_CYCLE_1) | instskip(SKIP_4) | instid1(VALU_DEP_2)
	s_or_b32 exec_lo, exec_lo, s7
	v_lshrrev_b16 v24, 8, v48
	v_lshrrev_b16 v0, 8, v36
	s_and_b32 vcc_lo, exec_lo, s13
	s_mov_b32 s10, -1
                                        ; implicit-def: $vgpr1
	v_and_b32_e32 v6, 0xffff, v24
	v_cmp_ne_u16_e64 s7, 0, v24
	s_cbranch_vccz .LBB6_7629
; %bb.7608:                             ;   in Loop: Header=BB6_7543 Depth=2
	v_dual_mov_b32 v1, 0 :: v_dual_mov_b32 v7, 0
	s_and_saveexec_b32 s10, s7
	s_cbranch_execz .LBB6_7618
; %bb.7609:                             ;   in Loop: Header=BB6_7543 Depth=2
	v_bfrev_b32_e32 v7, 1
	s_mov_b32 s14, exec_lo
	v_cmpx_ne_u16_e32 0x80, v24
	s_cbranch_execz .LBB6_7617
; %bb.7610:                             ;   in Loop: Header=BB6_7543 Depth=2
	v_and_b32_e32 v7, 0x7c, v6
	v_and_b32_e32 v8, 3, v6
	s_delay_alu instid0(VALU_DEP_2) | instskip(SKIP_1) | instid1(SALU_CYCLE_1)
	v_cmp_ne_u32_e32 vcc_lo, 0x7c, v7
                                        ; implicit-def: $vgpr7
	s_and_saveexec_b32 s41, vcc_lo
	s_xor_b32 s41, exec_lo, s41
	s_cbranch_execz .LBB6_7614
; %bb.7611:                             ;   in Loop: Header=BB6_7543 Depth=2
	v_bfe_u32 v7, v6, 2, 5
	s_mov_b32 s42, exec_lo
	s_delay_alu instid0(VALU_DEP_1)
	v_cmpx_eq_u32_e32 0, v7
; %bb.7612:                             ;   in Loop: Header=BB6_7543 Depth=2
	v_clz_i32_u32_e32 v7, v8
	s_delay_alu instid0(VALU_DEP_1) | instskip(NEXT) | instid1(VALU_DEP_1)
	v_min_u32_e32 v7, 32, v7
	v_subrev_nc_u32_e32 v8, 29, v7
	s_delay_alu instid0(VALU_DEP_1) | instskip(NEXT) | instid1(VALU_DEP_1)
	v_lshlrev_b64_e32 v[8:9], v8, v[24:25]
	v_dual_sub_nc_u32 v7, 30, v7 :: v_dual_bitop2_b32 v8, 3, v8 bitop3:0x40
; %bb.7613:                             ;   in Loop: Header=BB6_7543 Depth=2
	s_or_b32 exec_lo, exec_lo, s42
	v_lshlrev_b32_e32 v9, 16, v48
	s_delay_alu instid0(VALU_DEP_1) | instskip(NEXT) | instid1(VALU_DEP_1)
	v_and_b32_e32 v9, 0x80000000, v9
	v_lshl_add_u32 v7, v7, 23, v9
	s_delay_alu instid0(VALU_DEP_1) | instskip(NEXT) | instid1(VALU_DEP_1)
	v_lshl_or_b32 v7, v8, 21, v7
                                        ; implicit-def: $vgpr8
	v_add_nc_u32_e32 v7, 0x38000000, v7
.LBB6_7614:                             ;   in Loop: Header=BB6_7543 Depth=2
	s_and_not1_saveexec_b32 s41, s41
; %bb.7615:                             ;   in Loop: Header=BB6_7543 Depth=2
	v_cmp_lt_i16_e32 vcc_lo, -1, v48
	v_cndmask_b32_e32 v7, 0xff800000, v75, vcc_lo
	v_cmp_eq_u32_e32 vcc_lo, 0, v8
	s_delay_alu instid0(VALU_DEP_2)
	v_cndmask_b32_e32 v7, 0x7f800001, v7, vcc_lo
; %bb.7616:                             ;   in Loop: Header=BB6_7543 Depth=2
	s_or_b32 exec_lo, exec_lo, s41
.LBB6_7617:                             ;   in Loop: Header=BB6_7543 Depth=2
	s_delay_alu instid0(SALU_CYCLE_1)
	s_or_b32 exec_lo, exec_lo, s14
.LBB6_7618:                             ;   in Loop: Header=BB6_7543 Depth=2
	s_delay_alu instid0(SALU_CYCLE_1) | instskip(NEXT) | instid1(SALU_CYCLE_1)
	s_or_b32 exec_lo, exec_lo, s10
	s_mov_b32 s10, exec_lo
	v_cmpx_ne_u16_e32 0, v0
	s_cbranch_execz .LBB6_7628
; %bb.7619:                             ;   in Loop: Header=BB6_7543 Depth=2
	v_bfrev_b32_e32 v1, 1
	s_mov_b32 s14, exec_lo
	v_cmpx_ne_u16_e32 0x80, v0
	s_cbranch_execz .LBB6_7627
; %bb.7620:                             ;   in Loop: Header=BB6_7543 Depth=2
	v_and_b32_e32 v9, 0xffff, v0
	s_delay_alu instid0(VALU_DEP_1) | instskip(SKIP_1) | instid1(VALU_DEP_2)
	v_and_b32_e32 v1, 0x7c, v9
	v_and_b32_e32 v8, 3, v9
	v_cmp_ne_u32_e32 vcc_lo, 0x7c, v1
                                        ; implicit-def: $vgpr1
	s_and_saveexec_b32 s41, vcc_lo
	s_delay_alu instid0(SALU_CYCLE_1)
	s_xor_b32 s41, exec_lo, s41
	s_cbranch_execz .LBB6_7624
; %bb.7621:                             ;   in Loop: Header=BB6_7543 Depth=2
	v_bfe_u32 v1, v9, 2, 5
	s_mov_b32 s42, exec_lo
	s_delay_alu instid0(VALU_DEP_1)
	v_cmpx_eq_u32_e32 0, v1
; %bb.7622:                             ;   in Loop: Header=BB6_7543 Depth=2
	v_clz_i32_u32_e32 v1, v8
	s_delay_alu instid0(VALU_DEP_1) | instskip(SKIP_1) | instid1(VALU_DEP_2)
	v_min_u32_e32 v30, 32, v1
	v_mov_b32_e32 v1, v25
	v_subrev_nc_u32_e32 v8, 29, v30
	s_delay_alu instid0(VALU_DEP_1) | instskip(NEXT) | instid1(VALU_DEP_1)
	v_lshlrev_b64_e32 v[8:9], v8, v[0:1]
	v_dual_sub_nc_u32 v1, 30, v30 :: v_dual_bitop2_b32 v8, 3, v8 bitop3:0x40
; %bb.7623:                             ;   in Loop: Header=BB6_7543 Depth=2
	s_or_b32 exec_lo, exec_lo, s42
	v_lshlrev_b32_e32 v9, 16, v36
	s_delay_alu instid0(VALU_DEP_1) | instskip(NEXT) | instid1(VALU_DEP_1)
	v_and_b32_e32 v9, 0x80000000, v9
	v_lshl_add_u32 v1, v1, 23, v9
	s_delay_alu instid0(VALU_DEP_1) | instskip(NEXT) | instid1(VALU_DEP_1)
	v_lshl_or_b32 v1, v8, 21, v1
                                        ; implicit-def: $vgpr8
	v_add_nc_u32_e32 v1, 0x38000000, v1
.LBB6_7624:                             ;   in Loop: Header=BB6_7543 Depth=2
	s_and_not1_saveexec_b32 s41, s41
; %bb.7625:                             ;   in Loop: Header=BB6_7543 Depth=2
	v_cmp_lt_i16_e32 vcc_lo, -1, v36
	v_cndmask_b32_e32 v1, 0xff800000, v75, vcc_lo
	v_cmp_eq_u32_e32 vcc_lo, 0, v8
	s_delay_alu instid0(VALU_DEP_2)
	v_cndmask_b32_e32 v1, 0x7f800001, v1, vcc_lo
; %bb.7626:                             ;   in Loop: Header=BB6_7543 Depth=2
	s_or_b32 exec_lo, exec_lo, s41
.LBB6_7627:                             ;   in Loop: Header=BB6_7543 Depth=2
	s_delay_alu instid0(SALU_CYCLE_1)
	s_or_b32 exec_lo, exec_lo, s14
.LBB6_7628:                             ;   in Loop: Header=BB6_7543 Depth=2
	s_delay_alu instid0(SALU_CYCLE_1) | instskip(NEXT) | instid1(VALU_DEP_1)
	s_or_b32 exec_lo, exec_lo, s10
	v_dual_max_num_f32 v1, v1, v1 :: v_dual_max_num_f32 v7, v7, v7
	s_mov_b32 s10, 0
	s_delay_alu instid0(VALU_DEP_1)
	v_max_num_f32_e32 v1, v7, v1
.LBB6_7629:                             ;   in Loop: Header=BB6_7543 Depth=2
	s_and_b32 vcc_lo, exec_lo, s10
	s_cbranch_vccz .LBB6_7651
; %bb.7630:                             ;   in Loop: Header=BB6_7543 Depth=2
	v_dual_mov_b32 v1, 0 :: v_dual_mov_b32 v7, 0
	s_and_saveexec_b32 s10, s7
	s_cbranch_execz .LBB6_7640
; %bb.7631:                             ;   in Loop: Header=BB6_7543 Depth=2
	v_bfrev_b32_e32 v7, 1
	s_mov_b32 s7, exec_lo
	v_cmpx_ne_u16_e32 0x80, v24
	s_cbranch_execz .LBB6_7639
; %bb.7632:                             ;   in Loop: Header=BB6_7543 Depth=2
	v_and_b32_e32 v7, 0x7c, v6
	v_and_b32_e32 v8, 3, v6
	s_delay_alu instid0(VALU_DEP_2) | instskip(SKIP_1) | instid1(SALU_CYCLE_1)
	v_cmp_ne_u32_e32 vcc_lo, 0x7c, v7
                                        ; implicit-def: $vgpr7
	s_and_saveexec_b32 s14, vcc_lo
	s_xor_b32 s14, exec_lo, s14
	s_cbranch_execz .LBB6_7636
; %bb.7633:                             ;   in Loop: Header=BB6_7543 Depth=2
	v_bfe_u32 v6, v6, 2, 5
	s_mov_b32 s41, exec_lo
	s_delay_alu instid0(VALU_DEP_1)
	v_cmpx_eq_u32_e32 0, v6
; %bb.7634:                             ;   in Loop: Header=BB6_7543 Depth=2
	v_clz_i32_u32_e32 v6, v8
	s_delay_alu instid0(VALU_DEP_1) | instskip(NEXT) | instid1(VALU_DEP_1)
	v_min_u32_e32 v6, 32, v6
	v_subrev_nc_u32_e32 v7, 29, v6
	s_delay_alu instid0(VALU_DEP_1) | instskip(NEXT) | instid1(VALU_DEP_1)
	v_lshlrev_b64_e32 v[8:9], v7, v[24:25]
	v_dual_sub_nc_u32 v6, 30, v6 :: v_dual_bitop2_b32 v8, 3, v8 bitop3:0x40
; %bb.7635:                             ;   in Loop: Header=BB6_7543 Depth=2
	s_or_b32 exec_lo, exec_lo, s41
	v_lshlrev_b32_e32 v7, 16, v48
	s_delay_alu instid0(VALU_DEP_1) | instskip(NEXT) | instid1(VALU_DEP_1)
	v_and_b32_e32 v7, 0x80000000, v7
	v_lshl_add_u32 v6, v6, 23, v7
	s_delay_alu instid0(VALU_DEP_1) | instskip(NEXT) | instid1(VALU_DEP_1)
	v_lshl_or_b32 v6, v8, 21, v6
                                        ; implicit-def: $vgpr8
	v_add_nc_u32_e32 v7, 0x38000000, v6
.LBB6_7636:                             ;   in Loop: Header=BB6_7543 Depth=2
	s_and_not1_saveexec_b32 s14, s14
; %bb.7637:                             ;   in Loop: Header=BB6_7543 Depth=2
	v_cmp_lt_i16_e32 vcc_lo, -1, v48
	v_cndmask_b32_e32 v6, 0xff800000, v75, vcc_lo
	v_cmp_eq_u32_e32 vcc_lo, 0, v8
	s_delay_alu instid0(VALU_DEP_2)
	v_cndmask_b32_e32 v7, 0x7f800001, v6, vcc_lo
; %bb.7638:                             ;   in Loop: Header=BB6_7543 Depth=2
	s_or_b32 exec_lo, exec_lo, s14
.LBB6_7639:                             ;   in Loop: Header=BB6_7543 Depth=2
	s_delay_alu instid0(SALU_CYCLE_1)
	s_or_b32 exec_lo, exec_lo, s7
.LBB6_7640:                             ;   in Loop: Header=BB6_7543 Depth=2
	s_delay_alu instid0(SALU_CYCLE_1) | instskip(NEXT) | instid1(SALU_CYCLE_1)
	s_or_b32 exec_lo, exec_lo, s10
	s_mov_b32 s7, exec_lo
	v_cmpx_ne_u16_e32 0, v0
	s_cbranch_execz .LBB6_7650
; %bb.7641:                             ;   in Loop: Header=BB6_7543 Depth=2
	v_bfrev_b32_e32 v1, 1
	s_mov_b32 s10, exec_lo
	v_cmpx_ne_u16_e32 0x80, v0
	s_cbranch_execz .LBB6_7649
; %bb.7642:                             ;   in Loop: Header=BB6_7543 Depth=2
	v_and_b32_e32 v8, 0xffff, v0
	s_delay_alu instid0(VALU_DEP_1) | instskip(SKIP_1) | instid1(VALU_DEP_2)
	v_and_b32_e32 v1, 0x7c, v8
	v_and_b32_e32 v6, 3, v8
	v_cmp_ne_u32_e32 vcc_lo, 0x7c, v1
                                        ; implicit-def: $vgpr1
	s_and_saveexec_b32 s14, vcc_lo
	s_delay_alu instid0(SALU_CYCLE_1)
	s_xor_b32 s14, exec_lo, s14
	s_cbranch_execz .LBB6_7646
; %bb.7643:                             ;   in Loop: Header=BB6_7543 Depth=2
	v_bfe_u32 v1, v8, 2, 5
	s_mov_b32 s41, exec_lo
	s_delay_alu instid0(VALU_DEP_1)
	v_cmpx_eq_u32_e32 0, v1
; %bb.7644:                             ;   in Loop: Header=BB6_7543 Depth=2
	v_clz_i32_u32_e32 v1, v6
	s_delay_alu instid0(VALU_DEP_1) | instskip(SKIP_1) | instid1(VALU_DEP_2)
	v_min_u32_e32 v6, 32, v1
	v_mov_b32_e32 v1, v25
	v_subrev_nc_u32_e32 v8, 29, v6
	s_delay_alu instid0(VALU_DEP_1) | instskip(NEXT) | instid1(VALU_DEP_1)
	v_lshlrev_b64_e32 v[0:1], v8, v[0:1]
	v_dual_sub_nc_u32 v1, 30, v6 :: v_dual_bitop2_b32 v6, 3, v0 bitop3:0x40
; %bb.7645:                             ;   in Loop: Header=BB6_7543 Depth=2
	s_or_b32 exec_lo, exec_lo, s41
	v_lshlrev_b32_e32 v0, 16, v36
	s_delay_alu instid0(VALU_DEP_1) | instskip(NEXT) | instid1(VALU_DEP_1)
	v_and_b32_e32 v0, 0x80000000, v0
	v_lshl_add_u32 v0, v1, 23, v0
	s_delay_alu instid0(VALU_DEP_1) | instskip(NEXT) | instid1(VALU_DEP_1)
	v_lshl_or_b32 v0, v6, 21, v0
                                        ; implicit-def: $vgpr6
	v_add_nc_u32_e32 v1, 0x38000000, v0
.LBB6_7646:                             ;   in Loop: Header=BB6_7543 Depth=2
	s_and_not1_saveexec_b32 s14, s14
; %bb.7647:                             ;   in Loop: Header=BB6_7543 Depth=2
	v_cmp_lt_i16_e32 vcc_lo, -1, v36
	v_cndmask_b32_e32 v0, 0xff800000, v75, vcc_lo
	v_cmp_eq_u32_e32 vcc_lo, 0, v6
	s_delay_alu instid0(VALU_DEP_2)
	v_cndmask_b32_e32 v1, 0x7f800001, v0, vcc_lo
; %bb.7648:                             ;   in Loop: Header=BB6_7543 Depth=2
	s_or_b32 exec_lo, exec_lo, s14
.LBB6_7649:                             ;   in Loop: Header=BB6_7543 Depth=2
	s_delay_alu instid0(SALU_CYCLE_1)
	s_or_b32 exec_lo, exec_lo, s10
.LBB6_7650:                             ;   in Loop: Header=BB6_7543 Depth=2
	s_delay_alu instid0(SALU_CYCLE_1) | instskip(NEXT) | instid1(VALU_DEP_1)
	s_or_b32 exec_lo, exec_lo, s7
	v_dual_max_num_f32 v0, v1, v1 :: v_dual_max_num_f32 v1, v7, v7
	s_delay_alu instid0(VALU_DEP_1)
	v_min_num_f32_e32 v1, v1, v0
.LBB6_7651:                             ;   in Loop: Header=BB6_7543 Depth=2
	s_delay_alu instid0(VALU_DEP_1) | instskip(SKIP_3) | instid1(VALU_DEP_2)
	v_and_b32_e32 v6, 0x7f800000, v1
	v_dual_mov_b32 v7, v25 :: v_dual_lshrrev_b32 v0, 24, v1
	v_and_b32_e32 v24, 0x7fffff, v1
                                        ; implicit-def: $vgpr30
	s_mov_b32 s7, exec_lo
	v_cmpx_ne_u64_e32 0x7f800000, v[6:7]
	s_xor_b32 s10, exec_lo, s7
	s_cbranch_execz .LBB6_7665
; %bb.7652:                             ;   in Loop: Header=BB6_7543 Depth=2
	v_and_b32_e32 v6, 0x7fffffff, v1
	v_mov_b32_e32 v7, v25
	v_and_b32_e32 v8, 0x80, v0
                                        ; implicit-def: $vgpr30
	s_mov_b32 s7, exec_lo
	s_delay_alu instid0(VALU_DEP_2)
	v_cmpx_gt_u64_e32 0x47600001, v[6:7]
	s_xor_b32 s14, exec_lo, s7
	s_cbranch_execz .LBB6_7662
; %bb.7653:                             ;   in Loop: Header=BB6_7543 Depth=2
	v_mov_b32_e32 v30, 0
	s_mov_b32 s41, exec_lo
	v_cmpx_ne_u32_e32 0, v1
	s_cbranch_execz .LBB6_7661
; %bb.7654:                             ;   in Loop: Header=BB6_7543 Depth=2
	v_bfe_u32 v9, v1, 23, 8
	v_or_b32_e32 v6, 0x800000, v24
	s_delay_alu instid0(VALU_DEP_2) | instskip(SKIP_1) | instid1(VALU_DEP_2)
	v_sub_nc_u32_e32 v0, 0x71, v9
	v_cmp_gt_u32_e32 vcc_lo, 0x72, v9
	v_cndmask_b32_e32 v0, 0, v0, vcc_lo
	v_cmp_eq_u32_e32 vcc_lo, 0, v9
	s_delay_alu instid0(VALU_DEP_2) | instskip(NEXT) | instid1(VALU_DEP_1)
	v_cndmask_b32_e64 v30, v0, 0x70, vcc_lo
	v_dual_cndmask_b32 v24, v6, v24, vcc_lo :: v_dual_add_nc_u32 v0, 21, v30
	v_add_nc_u32_e32 v7, 20, v30
	s_delay_alu instid0(VALU_DEP_2) | instskip(NEXT) | instid1(VALU_DEP_2)
	v_lshlrev_b64_e64 v[0:1], v0, -1
	v_lshlrev_b64_e64 v[6:7], v7, 1
	s_delay_alu instid0(VALU_DEP_2) | instskip(NEXT) | instid1(VALU_DEP_3)
	v_bfi_b32 v53, v1, 0, 0
	v_bfi_b32 v52, v0, 0, v24
	v_lshrrev_b64 v[0:1], v30, v[24:25]
	s_delay_alu instid0(VALU_DEP_2) | instskip(NEXT) | instid1(VALU_DEP_2)
	v_cmp_eq_u64_e64 s7, v[52:53], v[6:7]
	v_mov_b64_e32 v[6:7], v[0:1]
	s_and_saveexec_b32 s42, s7
; %bb.7655:                             ;   in Loop: Header=BB6_7543 Depth=2
	v_bfe_u32 v24, v0, 21, 1
	s_delay_alu instid0(VALU_DEP_1) | instskip(NEXT) | instid1(VALU_DEP_1)
	v_add_nc_u64_e32 v[6:7], v[0:1], v[24:25]
	v_add_nc_u64_e32 v[6:7], -1, v[6:7]
; %bb.7656:                             ;   in Loop: Header=BB6_7543 Depth=2
	s_or_b32 exec_lo, exec_lo, s42
	v_add_nc_u32_e32 v1, 0xffffff81, v9
	v_lshrrev_b32_e32 v7, 23, v0
	s_mov_b32 s7, exec_lo
	s_delay_alu instid0(VALU_DEP_2) | instskip(NEXT) | instid1(VALU_DEP_1)
	v_cndmask_b32_e64 v1, v1, 0xffffff82, vcc_lo
	v_add3_u32 v7, v30, v1, v7
	v_and_b32_e32 v1, 0x1fffff, v6
                                        ; implicit-def: $vgpr6
	s_delay_alu instid0(VALU_DEP_1) | instskip(NEXT) | instid1(VALU_DEP_1)
	v_dual_add_nc_u32 v9, 14, v7 :: v_dual_add_nc_u32 v24, v1, v0
                                        ; implicit-def: $vgpr0_vgpr1
	v_cmpx_ne_u32_e32 0, v9
	s_xor_b32 s7, exec_lo, s7
; %bb.7657:                             ;   in Loop: Header=BB6_7543 Depth=2
	s_delay_alu instid0(VALU_DEP_2) | instskip(SKIP_1) | instid1(VALU_DEP_1)
	v_cmp_lt_u64_e32 vcc_lo, 0xffffff, v[24:25]
	v_add_nc_u32_e32 v0, 15, v7
	v_cndmask_b32_e32 v6, v9, v0, vcc_lo
	v_cndmask_b32_e64 v0, 0, 1, vcc_lo
	s_delay_alu instid0(VALU_DEP_1)
	v_lshrrev_b64 v[0:1], v0, v[24:25]
; %bb.7658:                             ;   in Loop: Header=BB6_7543 Depth=2
	s_and_not1_saveexec_b32 s7, s7
; %bb.7659:                             ;   in Loop: Header=BB6_7543 Depth=2
	v_mov_b64_e32 v[0:1], v[24:25]
	v_bfe_u32 v6, v24, 23, 1
; %bb.7660:                             ;   in Loop: Header=BB6_7543 Depth=2
	s_or_b32 exec_lo, exec_lo, s7
	s_delay_alu instid0(VALU_DEP_2) | instskip(NEXT) | instid1(VALU_DEP_2)
	v_lshrrev_b64 v[0:1], 21, v[0:1]
	v_cmp_gt_i32_e32 vcc_lo, 32, v6
	v_min_i32_e32 v7, 31, v6
	v_cmp_eq_u32_e64 s7, 0, v6
	s_delay_alu instid0(VALU_DEP_2) | instskip(SKIP_1) | instid1(VALU_DEP_2)
	v_dual_cndmask_b32 v1, 0, v1, vcc_lo :: v_dual_lshlrev_b32 v7, 2, v7
	v_cndmask_b32_e32 v0, 3, v0, vcc_lo
	v_and_b32_e32 v7, 0xfc, v7
	s_delay_alu instid0(VALU_DEP_2) | instskip(NEXT) | instid1(VALU_DEP_2)
	v_cmp_eq_u64_e32 vcc_lo, 0, v[0:1]
	v_and_or_b32 v0, v0, 3, v7
	s_and_b32 s7, s7, vcc_lo
	s_delay_alu instid0(VALU_DEP_1) | instid1(SALU_CYCLE_1)
	v_cndmask_b32_e64 v0, v0, 0, s7
	s_delay_alu instid0(VALU_DEP_1)
	v_or_b32_e32 v30, v0, v8
.LBB6_7661:                             ;   in Loop: Header=BB6_7543 Depth=2
	s_or_b32 exec_lo, exec_lo, s41
                                        ; implicit-def: $vgpr8
.LBB6_7662:                             ;   in Loop: Header=BB6_7543 Depth=2
	s_and_not1_saveexec_b32 s7, s14
; %bb.7663:                             ;   in Loop: Header=BB6_7543 Depth=2
	v_or_b32_e32 v30, 0x7b, v8
; %bb.7664:                             ;   in Loop: Header=BB6_7543 Depth=2
	s_or_b32 exec_lo, exec_lo, s7
                                        ; implicit-def: $vgpr1
                                        ; implicit-def: $vgpr0
.LBB6_7665:                             ;   in Loop: Header=BB6_7543 Depth=2
	s_and_not1_saveexec_b32 s7, s10
	s_cbranch_execz .LBB6_7671
; %bb.7666:                             ;   in Loop: Header=BB6_7543 Depth=2
	s_mov_b32 s10, exec_lo
                                        ; implicit-def: $vgpr30
	v_cmpx_ne_u64_e32 0, v[24:25]
	s_xor_b32 s10, exec_lo, s10
; %bb.7667:                             ;   in Loop: Header=BB6_7543 Depth=2
	v_or_b32_e32 v30, 0x7f, v0
                                        ; implicit-def: $vgpr1
; %bb.7668:                             ;   in Loop: Header=BB6_7543 Depth=2
	s_and_not1_saveexec_b32 s10, s10
; %bb.7669:                             ;   in Loop: Header=BB6_7543 Depth=2
	v_cmp_lt_i32_e32 vcc_lo, -1, v1
	v_cndmask_b32_e32 v30, 0xfc, v41, vcc_lo
; %bb.7670:                             ;   in Loop: Header=BB6_7543 Depth=2
	s_or_b32 exec_lo, exec_lo, s10
.LBB6_7671:                             ;   in Loop: Header=BB6_7543 Depth=2
	s_delay_alu instid0(SALU_CYCLE_1) | instskip(SKIP_4) | instid1(VALU_DEP_2)
	s_or_b32 exec_lo, exec_lo, s7
	v_lshrrev_b32_e32 v6, 16, v48
	v_lshrrev_b32_e32 v0, 16, v36
	s_and_b32 vcc_lo, exec_lo, s13
	s_mov_b32 s10, -1
                                        ; implicit-def: $vgpr7
	v_and_b32_e32 v1, 0xff, v6
	s_delay_alu instid0(VALU_DEP_1)
	v_cmp_ne_u16_e64 s7, 0, v1
	s_cbranch_vccz .LBB6_7693
; %bb.7672:                             ;   in Loop: Header=BB6_7543 Depth=2
	v_dual_mov_b32 v8, 0 :: v_dual_mov_b32 v7, 0
	s_and_saveexec_b32 s10, s7
	s_cbranch_execz .LBB6_7682
; %bb.7673:                             ;   in Loop: Header=BB6_7543 Depth=2
	v_bfrev_b32_e32 v7, 1
	s_mov_b32 s14, exec_lo
	v_cmpx_ne_u16_e32 0x80, v1
	s_cbranch_execz .LBB6_7681
; %bb.7674:                             ;   in Loop: Header=BB6_7543 Depth=2
	v_and_b32_e32 v7, 0x7c0000, v48
	v_bfe_u32 v9, v48, 16, 2
	s_delay_alu instid0(VALU_DEP_2) | instskip(SKIP_1) | instid1(SALU_CYCLE_1)
	v_cmp_ne_u32_e32 vcc_lo, 0x7c0000, v7
                                        ; implicit-def: $vgpr7
	s_and_saveexec_b32 s41, vcc_lo
	s_xor_b32 s41, exec_lo, s41
	s_cbranch_execz .LBB6_7678
; %bb.7675:                             ;   in Loop: Header=BB6_7543 Depth=2
	v_bfe_u32 v7, v48, 18, 5
	s_mov_b32 s42, exec_lo
	s_delay_alu instid0(VALU_DEP_1)
	v_cmpx_eq_u32_e32 0, v7
; %bb.7676:                             ;   in Loop: Header=BB6_7543 Depth=2
	v_clz_i32_u32_e32 v7, v9
	s_delay_alu instid0(VALU_DEP_1) | instskip(NEXT) | instid1(VALU_DEP_1)
	v_min_u32_e32 v7, 32, v7
	v_subrev_nc_u32_e32 v9, 29, v7
	s_delay_alu instid0(VALU_DEP_1) | instskip(NEXT) | instid1(VALU_DEP_1)
	v_lshlrev_b64_e32 v[52:53], v9, v[6:7]
	v_dual_sub_nc_u32 v7, 30, v7 :: v_dual_bitop2_b32 v9, 3, v52 bitop3:0x40
; %bb.7677:                             ;   in Loop: Header=BB6_7543 Depth=2
	s_or_b32 exec_lo, exec_lo, s42
	v_lshlrev_b32_e32 v24, 24, v6
	s_delay_alu instid0(VALU_DEP_1) | instskip(NEXT) | instid1(VALU_DEP_1)
	v_and_b32_e32 v24, 0x80000000, v24
	v_lshl_add_u32 v7, v7, 23, v24
	s_delay_alu instid0(VALU_DEP_1) | instskip(NEXT) | instid1(VALU_DEP_1)
	v_lshl_or_b32 v7, v9, 21, v7
                                        ; implicit-def: $vgpr9
	v_add_nc_u32_e32 v7, 0x38000000, v7
.LBB6_7678:                             ;   in Loop: Header=BB6_7543 Depth=2
	s_and_not1_saveexec_b32 s41, s41
; %bb.7679:                             ;   in Loop: Header=BB6_7543 Depth=2
	v_bfe_i32 v7, v6, 0, 8
	s_delay_alu instid0(VALU_DEP_1) | instskip(SKIP_2) | instid1(VALU_DEP_2)
	v_cmp_lt_i16_e32 vcc_lo, -1, v7
	v_cndmask_b32_e32 v7, 0xff800000, v75, vcc_lo
	v_cmp_eq_u32_e32 vcc_lo, 0, v9
	v_cndmask_b32_e32 v7, 0x7f800001, v7, vcc_lo
; %bb.7680:                             ;   in Loop: Header=BB6_7543 Depth=2
	s_or_b32 exec_lo, exec_lo, s41
.LBB6_7681:                             ;   in Loop: Header=BB6_7543 Depth=2
	s_delay_alu instid0(SALU_CYCLE_1)
	s_or_b32 exec_lo, exec_lo, s14
.LBB6_7682:                             ;   in Loop: Header=BB6_7543 Depth=2
	s_delay_alu instid0(SALU_CYCLE_1) | instskip(SKIP_2) | instid1(VALU_DEP_1)
	s_or_b32 exec_lo, exec_lo, s10
	v_and_b32_e32 v9, 0xff, v0
	s_mov_b32 s10, exec_lo
	v_cmpx_ne_u16_e32 0, v9
	s_cbranch_execz .LBB6_7692
; %bb.7683:                             ;   in Loop: Header=BB6_7543 Depth=2
	v_bfrev_b32_e32 v8, 1
	s_mov_b32 s14, exec_lo
	v_cmpx_ne_u16_e32 0x80, v9
	s_cbranch_execz .LBB6_7691
; %bb.7684:                             ;   in Loop: Header=BB6_7543 Depth=2
	v_and_b32_e32 v8, 0x7c0000, v36
	v_bfe_u32 v9, v36, 16, 2
	s_delay_alu instid0(VALU_DEP_2) | instskip(SKIP_1) | instid1(SALU_CYCLE_1)
	v_cmp_ne_u32_e32 vcc_lo, 0x7c0000, v8
                                        ; implicit-def: $vgpr8
	s_and_saveexec_b32 s41, vcc_lo
	s_xor_b32 s41, exec_lo, s41
	s_cbranch_execz .LBB6_7688
; %bb.7685:                             ;   in Loop: Header=BB6_7543 Depth=2
	v_bfe_u32 v8, v36, 18, 5
	s_mov_b32 s42, exec_lo
	s_delay_alu instid0(VALU_DEP_1)
	v_cmpx_eq_u32_e32 0, v8
; %bb.7686:                             ;   in Loop: Header=BB6_7543 Depth=2
	v_clz_i32_u32_e32 v8, v9
	s_delay_alu instid0(VALU_DEP_1) | instskip(NEXT) | instid1(VALU_DEP_1)
	v_min_u32_e32 v8, 32, v8
	v_subrev_nc_u32_e32 v9, 29, v8
	v_sub_nc_u32_e32 v8, 30, v8
	s_delay_alu instid0(VALU_DEP_2) | instskip(NEXT) | instid1(VALU_DEP_1)
	v_lshlrev_b64_e32 v[52:53], v9, v[0:1]
	v_and_b32_e32 v9, 3, v52
; %bb.7687:                             ;   in Loop: Header=BB6_7543 Depth=2
	s_or_b32 exec_lo, exec_lo, s42
	v_lshlrev_b32_e32 v24, 24, v0
	s_delay_alu instid0(VALU_DEP_1) | instskip(NEXT) | instid1(VALU_DEP_1)
	v_and_b32_e32 v24, 0x80000000, v24
	v_lshl_add_u32 v8, v8, 23, v24
	s_delay_alu instid0(VALU_DEP_1) | instskip(NEXT) | instid1(VALU_DEP_1)
	v_lshl_or_b32 v8, v9, 21, v8
                                        ; implicit-def: $vgpr9
	v_add_nc_u32_e32 v8, 0x38000000, v8
.LBB6_7688:                             ;   in Loop: Header=BB6_7543 Depth=2
	s_and_not1_saveexec_b32 s41, s41
; %bb.7689:                             ;   in Loop: Header=BB6_7543 Depth=2
	v_bfe_i32 v8, v0, 0, 8
	s_delay_alu instid0(VALU_DEP_1) | instskip(SKIP_2) | instid1(VALU_DEP_2)
	v_cmp_lt_i16_e32 vcc_lo, -1, v8
	v_cndmask_b32_e32 v8, 0xff800000, v75, vcc_lo
	v_cmp_eq_u32_e32 vcc_lo, 0, v9
	v_cndmask_b32_e32 v8, 0x7f800001, v8, vcc_lo
; %bb.7690:                             ;   in Loop: Header=BB6_7543 Depth=2
	s_or_b32 exec_lo, exec_lo, s41
.LBB6_7691:                             ;   in Loop: Header=BB6_7543 Depth=2
	s_delay_alu instid0(SALU_CYCLE_1)
	s_or_b32 exec_lo, exec_lo, s14
.LBB6_7692:                             ;   in Loop: Header=BB6_7543 Depth=2
	s_delay_alu instid0(SALU_CYCLE_1) | instskip(NEXT) | instid1(VALU_DEP_1)
	s_or_b32 exec_lo, exec_lo, s10
	v_dual_max_num_f32 v8, v8, v8 :: v_dual_max_num_f32 v7, v7, v7
	s_mov_b32 s10, 0
	s_delay_alu instid0(VALU_DEP_1)
	v_max_num_f32_e32 v7, v7, v8
.LBB6_7693:                             ;   in Loop: Header=BB6_7543 Depth=2
	s_and_b32 vcc_lo, exec_lo, s10
	s_cbranch_vccz .LBB6_7715
; %bb.7694:                             ;   in Loop: Header=BB6_7543 Depth=2
	v_dual_mov_b32 v8, 0 :: v_dual_mov_b32 v7, 0
	s_and_saveexec_b32 s10, s7
	s_cbranch_execz .LBB6_7704
; %bb.7695:                             ;   in Loop: Header=BB6_7543 Depth=2
	v_bfrev_b32_e32 v7, 1
	s_mov_b32 s7, exec_lo
	v_cmpx_ne_u16_e32 0x80, v1
	s_cbranch_execz .LBB6_7703
; %bb.7696:                             ;   in Loop: Header=BB6_7543 Depth=2
	v_and_b32_e32 v7, 0x7c0000, v48
	v_bfe_u32 v1, v48, 16, 2
	s_delay_alu instid0(VALU_DEP_2) | instskip(SKIP_1) | instid1(SALU_CYCLE_1)
	v_cmp_ne_u32_e32 vcc_lo, 0x7c0000, v7
                                        ; implicit-def: $vgpr7
	s_and_saveexec_b32 s14, vcc_lo
	s_xor_b32 s14, exec_lo, s14
	s_cbranch_execz .LBB6_7700
; %bb.7697:                             ;   in Loop: Header=BB6_7543 Depth=2
	v_bfe_u32 v7, v48, 18, 5
	s_mov_b32 s41, exec_lo
	s_delay_alu instid0(VALU_DEP_1)
	v_cmpx_eq_u32_e32 0, v7
; %bb.7698:                             ;   in Loop: Header=BB6_7543 Depth=2
	v_clz_i32_u32_e32 v1, v1
	s_delay_alu instid0(VALU_DEP_1) | instskip(NEXT) | instid1(VALU_DEP_1)
	v_min_u32_e32 v1, 32, v1
	v_subrev_nc_u32_e32 v7, 29, v1
	s_delay_alu instid0(VALU_DEP_1) | instskip(NEXT) | instid1(VALU_DEP_1)
	v_lshlrev_b64_e32 v[52:53], v7, v[6:7]
	v_dual_sub_nc_u32 v7, 30, v1 :: v_dual_bitop2_b32 v1, 3, v52 bitop3:0x40
; %bb.7699:                             ;   in Loop: Header=BB6_7543 Depth=2
	s_or_b32 exec_lo, exec_lo, s41
	v_lshlrev_b32_e32 v6, 24, v6
	s_delay_alu instid0(VALU_DEP_1) | instskip(NEXT) | instid1(VALU_DEP_1)
	v_and_b32_e32 v6, 0x80000000, v6
	v_lshl_add_u32 v6, v7, 23, v6
	s_delay_alu instid0(VALU_DEP_1) | instskip(NEXT) | instid1(VALU_DEP_1)
	v_lshl_or_b32 v1, v1, 21, v6
                                        ; implicit-def: $vgpr6
	v_add_nc_u32_e32 v7, 0x38000000, v1
                                        ; implicit-def: $vgpr1
.LBB6_7700:                             ;   in Loop: Header=BB6_7543 Depth=2
	s_and_not1_saveexec_b32 s14, s14
; %bb.7701:                             ;   in Loop: Header=BB6_7543 Depth=2
	v_bfe_i32 v6, v6, 0, 8
	s_delay_alu instid0(VALU_DEP_1) | instskip(SKIP_2) | instid1(VALU_DEP_2)
	v_cmp_lt_i16_e32 vcc_lo, -1, v6
	v_cndmask_b32_e32 v6, 0xff800000, v75, vcc_lo
	v_cmp_eq_u32_e32 vcc_lo, 0, v1
	v_cndmask_b32_e32 v7, 0x7f800001, v6, vcc_lo
; %bb.7702:                             ;   in Loop: Header=BB6_7543 Depth=2
	s_or_b32 exec_lo, exec_lo, s14
.LBB6_7703:                             ;   in Loop: Header=BB6_7543 Depth=2
	s_delay_alu instid0(SALU_CYCLE_1)
	s_or_b32 exec_lo, exec_lo, s7
.LBB6_7704:                             ;   in Loop: Header=BB6_7543 Depth=2
	s_delay_alu instid0(SALU_CYCLE_1) | instskip(SKIP_2) | instid1(VALU_DEP_1)
	s_or_b32 exec_lo, exec_lo, s10
	v_and_b32_e32 v1, 0xff, v0
	s_mov_b32 s7, exec_lo
	v_cmpx_ne_u16_e32 0, v1
	s_cbranch_execz .LBB6_7714
; %bb.7705:                             ;   in Loop: Header=BB6_7543 Depth=2
	v_bfrev_b32_e32 v8, 1
	s_mov_b32 s10, exec_lo
	v_cmpx_ne_u16_e32 0x80, v1
	s_cbranch_execz .LBB6_7713
; %bb.7706:                             ;   in Loop: Header=BB6_7543 Depth=2
	v_and_b32_e32 v6, 0x7c0000, v36
	v_bfe_u32 v1, v36, 16, 2
	s_mov_b32 s14, exec_lo
                                        ; implicit-def: $vgpr8
	s_delay_alu instid0(VALU_DEP_2)
	v_cmpx_ne_u32_e32 0x7c0000, v6
	s_xor_b32 s14, exec_lo, s14
	s_cbranch_execz .LBB6_7710
; %bb.7707:                             ;   in Loop: Header=BB6_7543 Depth=2
	v_bfe_u32 v6, v36, 18, 5
	s_mov_b32 s41, exec_lo
	s_delay_alu instid0(VALU_DEP_1)
	v_cmpx_eq_u32_e32 0, v6
; %bb.7708:                             ;   in Loop: Header=BB6_7543 Depth=2
	v_clz_i32_u32_e32 v1, v1
	s_delay_alu instid0(VALU_DEP_1) | instskip(NEXT) | instid1(VALU_DEP_1)
	v_min_u32_e32 v1, 32, v1
	v_subrev_nc_u32_e32 v6, 29, v1
	s_delay_alu instid0(VALU_DEP_1) | instskip(NEXT) | instid1(VALU_DEP_1)
	v_lshlrev_b64_e32 v[8:9], v6, v[0:1]
	v_dual_sub_nc_u32 v6, 30, v1 :: v_dual_bitop2_b32 v1, 3, v8 bitop3:0x40
; %bb.7709:                             ;   in Loop: Header=BB6_7543 Depth=2
	s_or_b32 exec_lo, exec_lo, s41
	v_lshlrev_b32_e32 v0, 24, v0
	s_delay_alu instid0(VALU_DEP_1) | instskip(NEXT) | instid1(VALU_DEP_1)
	v_and_b32_e32 v0, 0x80000000, v0
	v_lshl_add_u32 v0, v6, 23, v0
	s_delay_alu instid0(VALU_DEP_1) | instskip(NEXT) | instid1(VALU_DEP_1)
	v_lshl_or_b32 v0, v1, 21, v0
                                        ; implicit-def: $vgpr1
	v_add_nc_u32_e32 v8, 0x38000000, v0
                                        ; implicit-def: $vgpr0
.LBB6_7710:                             ;   in Loop: Header=BB6_7543 Depth=2
	s_and_not1_saveexec_b32 s14, s14
; %bb.7711:                             ;   in Loop: Header=BB6_7543 Depth=2
	v_bfe_i32 v0, v0, 0, 8
	s_delay_alu instid0(VALU_DEP_1) | instskip(SKIP_2) | instid1(VALU_DEP_2)
	v_cmp_lt_i16_e32 vcc_lo, -1, v0
	v_cndmask_b32_e32 v0, 0xff800000, v75, vcc_lo
	v_cmp_eq_u32_e32 vcc_lo, 0, v1
	v_cndmask_b32_e32 v8, 0x7f800001, v0, vcc_lo
; %bb.7712:                             ;   in Loop: Header=BB6_7543 Depth=2
	s_or_b32 exec_lo, exec_lo, s14
.LBB6_7713:                             ;   in Loop: Header=BB6_7543 Depth=2
	s_delay_alu instid0(SALU_CYCLE_1)
	s_or_b32 exec_lo, exec_lo, s10
.LBB6_7714:                             ;   in Loop: Header=BB6_7543 Depth=2
	s_delay_alu instid0(SALU_CYCLE_1) | instskip(NEXT) | instid1(VALU_DEP_1)
	s_or_b32 exec_lo, exec_lo, s7
	v_dual_max_num_f32 v0, v8, v8 :: v_dual_max_num_f32 v1, v7, v7
	s_delay_alu instid0(VALU_DEP_1)
	v_min_num_f32_e32 v7, v1, v0
.LBB6_7715:                             ;   in Loop: Header=BB6_7543 Depth=2
	s_delay_alu instid0(VALU_DEP_1) | instskip(SKIP_2) | instid1(VALU_DEP_2)
	v_and_b32_e32 v0, 0x7f800000, v7
	v_mov_b32_e32 v1, v25
	v_and_b32_e32 v24, 0x7fffff, v7
                                        ; implicit-def: $vgpr31
	v_cmp_ne_u64_e32 vcc_lo, 0x7f800000, v[0:1]
	v_lshrrev_b32_e32 v0, 24, v7
	s_and_saveexec_b32 s7, vcc_lo
	s_delay_alu instid0(SALU_CYCLE_1)
	s_xor_b32 s10, exec_lo, s7
	s_cbranch_execz .LBB6_7729
; %bb.7716:                             ;   in Loop: Header=BB6_7543 Depth=2
	v_and_b32_e32 v8, 0x7fffffff, v7
	v_mov_b32_e32 v9, v25
                                        ; implicit-def: $vgpr31
	s_delay_alu instid0(VALU_DEP_1) | instskip(SKIP_2) | instid1(SALU_CYCLE_1)
	v_cmp_gt_u64_e32 vcc_lo, 0x47600001, v[8:9]
	v_and_b32_e32 v8, 0x80, v0
	s_and_saveexec_b32 s7, vcc_lo
	s_xor_b32 s14, exec_lo, s7
	s_cbranch_execz .LBB6_7726
; %bb.7717:                             ;   in Loop: Header=BB6_7543 Depth=2
	v_mov_b32_e32 v31, 0
	s_mov_b32 s41, exec_lo
	v_cmpx_ne_u32_e32 0, v7
	s_cbranch_execz .LBB6_7725
; %bb.7718:                             ;   in Loop: Header=BB6_7543 Depth=2
	v_bfe_u32 v9, v7, 23, 8
	v_or_b32_e32 v6, 0x800000, v24
	s_delay_alu instid0(VALU_DEP_2) | instskip(SKIP_1) | instid1(VALU_DEP_2)
	v_sub_nc_u32_e32 v0, 0x71, v9
	v_cmp_gt_u32_e32 vcc_lo, 0x72, v9
	v_cndmask_b32_e32 v0, 0, v0, vcc_lo
	v_cmp_eq_u32_e32 vcc_lo, 0, v9
	s_delay_alu instid0(VALU_DEP_2) | instskip(NEXT) | instid1(VALU_DEP_1)
	v_cndmask_b32_e64 v31, v0, 0x70, vcc_lo
	v_dual_cndmask_b32 v24, v6, v24, vcc_lo :: v_dual_add_nc_u32 v0, 21, v31
	v_add_nc_u32_e32 v7, 20, v31
	s_delay_alu instid0(VALU_DEP_2) | instskip(NEXT) | instid1(VALU_DEP_2)
	v_lshlrev_b64_e64 v[0:1], v0, -1
	v_lshlrev_b64_e64 v[6:7], v7, 1
	s_delay_alu instid0(VALU_DEP_2) | instskip(NEXT) | instid1(VALU_DEP_3)
	v_bfi_b32 v53, v1, 0, 0
	v_bfi_b32 v52, v0, 0, v24
	v_lshrrev_b64 v[0:1], v31, v[24:25]
	s_delay_alu instid0(VALU_DEP_2) | instskip(NEXT) | instid1(VALU_DEP_2)
	v_cmp_eq_u64_e64 s7, v[52:53], v[6:7]
	v_mov_b64_e32 v[6:7], v[0:1]
	s_and_saveexec_b32 s42, s7
; %bb.7719:                             ;   in Loop: Header=BB6_7543 Depth=2
	v_bfe_u32 v24, v0, 21, 1
	s_delay_alu instid0(VALU_DEP_1) | instskip(NEXT) | instid1(VALU_DEP_1)
	v_add_nc_u64_e32 v[6:7], v[0:1], v[24:25]
	v_add_nc_u64_e32 v[6:7], -1, v[6:7]
; %bb.7720:                             ;   in Loop: Header=BB6_7543 Depth=2
	s_or_b32 exec_lo, exec_lo, s42
	v_add_nc_u32_e32 v1, 0xffffff81, v9
	v_lshrrev_b32_e32 v7, 23, v0
	s_mov_b32 s7, exec_lo
	s_delay_alu instid0(VALU_DEP_2) | instskip(NEXT) | instid1(VALU_DEP_1)
	v_cndmask_b32_e64 v1, v1, 0xffffff82, vcc_lo
	v_add3_u32 v7, v31, v1, v7
	v_and_b32_e32 v1, 0x1fffff, v6
                                        ; implicit-def: $vgpr6
	s_delay_alu instid0(VALU_DEP_1) | instskip(NEXT) | instid1(VALU_DEP_1)
	v_dual_add_nc_u32 v9, 14, v7 :: v_dual_add_nc_u32 v24, v1, v0
                                        ; implicit-def: $vgpr0_vgpr1
	v_cmpx_ne_u32_e32 0, v9
	s_xor_b32 s7, exec_lo, s7
; %bb.7721:                             ;   in Loop: Header=BB6_7543 Depth=2
	s_delay_alu instid0(VALU_DEP_2) | instskip(SKIP_1) | instid1(VALU_DEP_1)
	v_cmp_lt_u64_e32 vcc_lo, 0xffffff, v[24:25]
	v_add_nc_u32_e32 v0, 15, v7
	v_cndmask_b32_e32 v6, v9, v0, vcc_lo
	v_cndmask_b32_e64 v0, 0, 1, vcc_lo
	s_delay_alu instid0(VALU_DEP_1)
	v_lshrrev_b64 v[0:1], v0, v[24:25]
; %bb.7722:                             ;   in Loop: Header=BB6_7543 Depth=2
	s_and_not1_saveexec_b32 s7, s7
; %bb.7723:                             ;   in Loop: Header=BB6_7543 Depth=2
	v_mov_b64_e32 v[0:1], v[24:25]
	v_bfe_u32 v6, v24, 23, 1
; %bb.7724:                             ;   in Loop: Header=BB6_7543 Depth=2
	s_or_b32 exec_lo, exec_lo, s7
	s_delay_alu instid0(VALU_DEP_2) | instskip(NEXT) | instid1(VALU_DEP_2)
	v_lshrrev_b64 v[0:1], 21, v[0:1]
	v_cmp_gt_i32_e32 vcc_lo, 32, v6
	v_min_i32_e32 v7, 31, v6
	v_cmp_eq_u32_e64 s7, 0, v6
	s_delay_alu instid0(VALU_DEP_2) | instskip(SKIP_1) | instid1(VALU_DEP_2)
	v_dual_cndmask_b32 v1, 0, v1, vcc_lo :: v_dual_lshlrev_b32 v7, 2, v7
	v_cndmask_b32_e32 v0, 3, v0, vcc_lo
	v_and_b32_e32 v7, 0xfc, v7
	s_delay_alu instid0(VALU_DEP_2) | instskip(NEXT) | instid1(VALU_DEP_2)
	v_cmp_eq_u64_e32 vcc_lo, 0, v[0:1]
	v_and_or_b32 v0, v0, 3, v7
	s_and_b32 s7, s7, vcc_lo
	s_delay_alu instid0(VALU_DEP_1) | instid1(SALU_CYCLE_1)
	v_cndmask_b32_e64 v0, v0, 0, s7
	s_delay_alu instid0(VALU_DEP_1)
	v_or_b32_e32 v31, v0, v8
.LBB6_7725:                             ;   in Loop: Header=BB6_7543 Depth=2
	s_or_b32 exec_lo, exec_lo, s41
                                        ; implicit-def: $vgpr8
.LBB6_7726:                             ;   in Loop: Header=BB6_7543 Depth=2
	s_and_not1_saveexec_b32 s7, s14
; %bb.7727:                             ;   in Loop: Header=BB6_7543 Depth=2
	v_or_b32_e32 v31, 0x7b, v8
; %bb.7728:                             ;   in Loop: Header=BB6_7543 Depth=2
	s_or_b32 exec_lo, exec_lo, s7
                                        ; implicit-def: $vgpr7
                                        ; implicit-def: $vgpr0
.LBB6_7729:                             ;   in Loop: Header=BB6_7543 Depth=2
	s_and_not1_saveexec_b32 s7, s10
	s_cbranch_execz .LBB6_7735
; %bb.7730:                             ;   in Loop: Header=BB6_7543 Depth=2
	s_mov_b32 s10, exec_lo
                                        ; implicit-def: $vgpr31
	v_cmpx_ne_u64_e32 0, v[24:25]
	s_xor_b32 s10, exec_lo, s10
; %bb.7731:                             ;   in Loop: Header=BB6_7543 Depth=2
	v_or_b32_e32 v31, 0x7f, v0
                                        ; implicit-def: $vgpr7
; %bb.7732:                             ;   in Loop: Header=BB6_7543 Depth=2
	s_and_not1_saveexec_b32 s10, s10
; %bb.7733:                             ;   in Loop: Header=BB6_7543 Depth=2
	v_cmp_lt_i32_e32 vcc_lo, -1, v7
	v_cndmask_b32_e32 v31, 0xfc, v41, vcc_lo
; %bb.7734:                             ;   in Loop: Header=BB6_7543 Depth=2
	s_or_b32 exec_lo, exec_lo, s10
.LBB6_7735:                             ;   in Loop: Header=BB6_7543 Depth=2
	s_delay_alu instid0(SALU_CYCLE_1)
	s_or_b32 exec_lo, exec_lo, s7
	v_lshrrev_b32_e32 v6, 24, v48
	v_lshrrev_b32_e32 v0, 24, v36
	v_cmp_lt_u32_e64 s7, 0xffffff, v48
	s_and_b32 vcc_lo, exec_lo, s13
	s_mov_b32 s10, -1
                                        ; implicit-def: $vgpr1
	s_cbranch_vccz .LBB6_7757
; %bb.7736:                             ;   in Loop: Header=BB6_7543 Depth=2
	v_dual_mov_b32 v7, 0 :: v_dual_mov_b32 v1, 0
	s_and_saveexec_b32 s10, s7
	s_cbranch_execz .LBB6_7746
; %bb.7737:                             ;   in Loop: Header=BB6_7543 Depth=2
	v_bfrev_b32_e32 v1, 1
	s_mov_b32 s14, exec_lo
	v_cmpx_ne_u32_e32 0x80, v6
	s_cbranch_execz .LBB6_7745
; %bb.7738:                             ;   in Loop: Header=BB6_7543 Depth=2
	v_and_b32_e32 v1, 0x7c000000, v48
	v_bfe_u32 v8, v48, 24, 2
	s_delay_alu instid0(VALU_DEP_2) | instskip(SKIP_1) | instid1(SALU_CYCLE_1)
	v_cmp_ne_u32_e32 vcc_lo, 0x7c000000, v1
                                        ; implicit-def: $vgpr1
	s_and_saveexec_b32 s41, vcc_lo
	s_xor_b32 s41, exec_lo, s41
	s_cbranch_execz .LBB6_7742
; %bb.7739:                             ;   in Loop: Header=BB6_7543 Depth=2
	v_bfe_u32 v1, v48, 26, 5
	s_mov_b32 s42, exec_lo
	s_delay_alu instid0(VALU_DEP_1)
	v_cmpx_eq_u32_e32 0, v1
; %bb.7740:                             ;   in Loop: Header=BB6_7543 Depth=2
	v_clz_i32_u32_e32 v1, v8
	s_delay_alu instid0(VALU_DEP_1) | instskip(NEXT) | instid1(VALU_DEP_1)
	v_min_u32_e32 v1, 32, v1
	v_subrev_nc_u32_e32 v8, 29, v1
	s_delay_alu instid0(VALU_DEP_1) | instskip(NEXT) | instid1(VALU_DEP_1)
	v_lshlrev_b64_e32 v[8:9], v8, v[6:7]
	v_dual_sub_nc_u32 v1, 30, v1 :: v_dual_bitop2_b32 v8, 3, v8 bitop3:0x40
; %bb.7741:                             ;   in Loop: Header=BB6_7543 Depth=2
	s_or_b32 exec_lo, exec_lo, s42
	v_and_b32_e32 v9, 0x80000000, v48
	s_delay_alu instid0(VALU_DEP_1) | instskip(NEXT) | instid1(VALU_DEP_1)
	v_lshl_add_u32 v1, v1, 23, v9
	v_lshl_or_b32 v1, v8, 21, v1
                                        ; implicit-def: $vgpr8
	s_delay_alu instid0(VALU_DEP_1)
	v_add_nc_u32_e32 v1, 0x38000000, v1
.LBB6_7742:                             ;   in Loop: Header=BB6_7543 Depth=2
	s_and_not1_saveexec_b32 s41, s41
; %bb.7743:                             ;   in Loop: Header=BB6_7543 Depth=2
	v_cmp_lt_i32_e32 vcc_lo, -1, v48
	v_cndmask_b32_e32 v1, 0xff800000, v75, vcc_lo
	v_cmp_eq_u32_e32 vcc_lo, 0, v8
	s_delay_alu instid0(VALU_DEP_2)
	v_cndmask_b32_e32 v1, 0x7f800001, v1, vcc_lo
; %bb.7744:                             ;   in Loop: Header=BB6_7543 Depth=2
	s_or_b32 exec_lo, exec_lo, s41
.LBB6_7745:                             ;   in Loop: Header=BB6_7543 Depth=2
	s_delay_alu instid0(SALU_CYCLE_1)
	s_or_b32 exec_lo, exec_lo, s14
.LBB6_7746:                             ;   in Loop: Header=BB6_7543 Depth=2
	s_delay_alu instid0(SALU_CYCLE_1) | instskip(NEXT) | instid1(SALU_CYCLE_1)
	s_or_b32 exec_lo, exec_lo, s10
	s_mov_b32 s10, exec_lo
	v_cmpx_lt_u32_e32 0xffffff, v36
	s_cbranch_execz .LBB6_7756
; %bb.7747:                             ;   in Loop: Header=BB6_7543 Depth=2
	v_bfrev_b32_e32 v7, 1
	s_mov_b32 s14, exec_lo
	v_cmpx_ne_u32_e32 0x80, v0
	s_cbranch_execz .LBB6_7755
; %bb.7748:                             ;   in Loop: Header=BB6_7543 Depth=2
	v_and_b32_e32 v7, 0x7c000000, v36
	v_bfe_u32 v8, v36, 24, 2
	s_delay_alu instid0(VALU_DEP_2) | instskip(SKIP_1) | instid1(SALU_CYCLE_1)
	v_cmp_ne_u32_e32 vcc_lo, 0x7c000000, v7
                                        ; implicit-def: $vgpr7
	s_and_saveexec_b32 s41, vcc_lo
	s_xor_b32 s41, exec_lo, s41
	s_cbranch_execz .LBB6_7752
; %bb.7749:                             ;   in Loop: Header=BB6_7543 Depth=2
	v_bfe_u32 v7, v36, 26, 5
	s_mov_b32 s42, exec_lo
	s_delay_alu instid0(VALU_DEP_1)
	v_cmpx_eq_u32_e32 0, v7
; %bb.7750:                             ;   in Loop: Header=BB6_7543 Depth=2
	v_clz_i32_u32_e32 v7, v8
	s_delay_alu instid0(VALU_DEP_1) | instskip(NEXT) | instid1(VALU_DEP_1)
	v_min_u32_e32 v7, 32, v7
	v_subrev_nc_u32_e32 v8, 29, v7
	s_delay_alu instid0(VALU_DEP_1) | instskip(NEXT) | instid1(VALU_DEP_1)
	v_lshlrev_b64_e32 v[8:9], v8, v[0:1]
	v_dual_sub_nc_u32 v7, 30, v7 :: v_dual_bitop2_b32 v8, 3, v8 bitop3:0x40
; %bb.7751:                             ;   in Loop: Header=BB6_7543 Depth=2
	s_or_b32 exec_lo, exec_lo, s42
	v_and_b32_e32 v9, 0x80000000, v36
	s_delay_alu instid0(VALU_DEP_1) | instskip(NEXT) | instid1(VALU_DEP_1)
	v_lshl_add_u32 v7, v7, 23, v9
	v_lshl_or_b32 v7, v8, 21, v7
                                        ; implicit-def: $vgpr8
	s_delay_alu instid0(VALU_DEP_1)
	v_add_nc_u32_e32 v7, 0x38000000, v7
.LBB6_7752:                             ;   in Loop: Header=BB6_7543 Depth=2
	s_and_not1_saveexec_b32 s41, s41
; %bb.7753:                             ;   in Loop: Header=BB6_7543 Depth=2
	v_cmp_lt_i32_e32 vcc_lo, -1, v36
	v_cndmask_b32_e32 v7, 0xff800000, v75, vcc_lo
	v_cmp_eq_u32_e32 vcc_lo, 0, v8
	s_delay_alu instid0(VALU_DEP_2)
	v_cndmask_b32_e32 v7, 0x7f800001, v7, vcc_lo
; %bb.7754:                             ;   in Loop: Header=BB6_7543 Depth=2
	s_or_b32 exec_lo, exec_lo, s41
.LBB6_7755:                             ;   in Loop: Header=BB6_7543 Depth=2
	s_delay_alu instid0(SALU_CYCLE_1)
	s_or_b32 exec_lo, exec_lo, s14
.LBB6_7756:                             ;   in Loop: Header=BB6_7543 Depth=2
	s_delay_alu instid0(SALU_CYCLE_1) | instskip(NEXT) | instid1(VALU_DEP_1)
	s_or_b32 exec_lo, exec_lo, s10
	v_dual_max_num_f32 v7, v7, v7 :: v_dual_max_num_f32 v1, v1, v1
	s_mov_b32 s10, 0
	s_delay_alu instid0(VALU_DEP_1)
	v_max_num_f32_e32 v1, v1, v7
.LBB6_7757:                             ;   in Loop: Header=BB6_7543 Depth=2
	s_and_b32 vcc_lo, exec_lo, s10
	s_cbranch_vccz .LBB6_7779
; %bb.7758:                             ;   in Loop: Header=BB6_7543 Depth=2
	v_dual_mov_b32 v7, 0 :: v_dual_mov_b32 v1, 0
	s_and_saveexec_b32 s10, s7
	s_cbranch_execz .LBB6_7768
; %bb.7759:                             ;   in Loop: Header=BB6_7543 Depth=2
	v_bfrev_b32_e32 v1, 1
	s_mov_b32 s7, exec_lo
	v_cmpx_ne_u32_e32 0x80, v6
	s_cbranch_execz .LBB6_7767
; %bb.7760:                             ;   in Loop: Header=BB6_7543 Depth=2
	v_and_b32_e32 v1, 0x7c000000, v48
	v_bfe_u32 v8, v48, 24, 2
	s_delay_alu instid0(VALU_DEP_2) | instskip(SKIP_1) | instid1(SALU_CYCLE_1)
	v_cmp_ne_u32_e32 vcc_lo, 0x7c000000, v1
                                        ; implicit-def: $vgpr1
	s_and_saveexec_b32 s14, vcc_lo
	s_xor_b32 s14, exec_lo, s14
	s_cbranch_execz .LBB6_7764
; %bb.7761:                             ;   in Loop: Header=BB6_7543 Depth=2
	v_bfe_u32 v1, v48, 26, 5
	s_mov_b32 s41, exec_lo
	s_delay_alu instid0(VALU_DEP_1)
	v_cmpx_eq_u32_e32 0, v1
; %bb.7762:                             ;   in Loop: Header=BB6_7543 Depth=2
	v_clz_i32_u32_e32 v1, v8
	s_delay_alu instid0(VALU_DEP_1) | instskip(NEXT) | instid1(VALU_DEP_1)
	v_min_u32_e32 v1, 32, v1
	v_subrev_nc_u32_e32 v8, 29, v1
	s_delay_alu instid0(VALU_DEP_1) | instskip(NEXT) | instid1(VALU_DEP_1)
	v_lshlrev_b64_e32 v[8:9], v8, v[6:7]
	v_dual_sub_nc_u32 v1, 30, v1 :: v_dual_bitop2_b32 v8, 3, v8 bitop3:0x40
; %bb.7763:                             ;   in Loop: Header=BB6_7543 Depth=2
	s_or_b32 exec_lo, exec_lo, s41
	v_and_b32_e32 v6, 0x80000000, v48
	s_delay_alu instid0(VALU_DEP_1) | instskip(NEXT) | instid1(VALU_DEP_1)
	v_lshl_add_u32 v1, v1, 23, v6
	v_lshl_or_b32 v1, v8, 21, v1
                                        ; implicit-def: $vgpr8
	s_delay_alu instid0(VALU_DEP_1)
	v_add_nc_u32_e32 v1, 0x38000000, v1
.LBB6_7764:                             ;   in Loop: Header=BB6_7543 Depth=2
	s_and_not1_saveexec_b32 s14, s14
; %bb.7765:                             ;   in Loop: Header=BB6_7543 Depth=2
	v_cmp_lt_i32_e32 vcc_lo, -1, v48
	v_cndmask_b32_e32 v1, 0xff800000, v75, vcc_lo
	v_cmp_eq_u32_e32 vcc_lo, 0, v8
	s_delay_alu instid0(VALU_DEP_2)
	v_cndmask_b32_e32 v1, 0x7f800001, v1, vcc_lo
; %bb.7766:                             ;   in Loop: Header=BB6_7543 Depth=2
	s_or_b32 exec_lo, exec_lo, s14
.LBB6_7767:                             ;   in Loop: Header=BB6_7543 Depth=2
	s_delay_alu instid0(SALU_CYCLE_1)
	s_or_b32 exec_lo, exec_lo, s7
.LBB6_7768:                             ;   in Loop: Header=BB6_7543 Depth=2
	s_delay_alu instid0(SALU_CYCLE_1) | instskip(NEXT) | instid1(SALU_CYCLE_1)
	s_or_b32 exec_lo, exec_lo, s10
	s_mov_b32 s7, exec_lo
	v_cmpx_lt_u32_e32 0xffffff, v36
	s_cbranch_execz .LBB6_7778
; %bb.7769:                             ;   in Loop: Header=BB6_7543 Depth=2
	v_bfrev_b32_e32 v7, 1
	s_mov_b32 s10, exec_lo
	v_cmpx_ne_u32_e32 0x80, v0
	s_cbranch_execz .LBB6_7777
; %bb.7770:                             ;   in Loop: Header=BB6_7543 Depth=2
	v_and_b32_e32 v7, 0x7c000000, v36
	v_bfe_u32 v6, v36, 24, 2
	s_delay_alu instid0(VALU_DEP_2) | instskip(SKIP_1) | instid1(SALU_CYCLE_1)
	v_cmp_ne_u32_e32 vcc_lo, 0x7c000000, v7
                                        ; implicit-def: $vgpr7
	s_and_saveexec_b32 s14, vcc_lo
	s_xor_b32 s14, exec_lo, s14
	s_cbranch_execz .LBB6_7774
; %bb.7771:                             ;   in Loop: Header=BB6_7543 Depth=2
	v_bfe_u32 v7, v36, 26, 5
	s_mov_b32 s41, exec_lo
	s_delay_alu instid0(VALU_DEP_1)
	v_cmpx_eq_u32_e32 0, v7
; %bb.7772:                             ;   in Loop: Header=BB6_7543 Depth=2
	v_clz_i32_u32_e32 v6, v6
	s_delay_alu instid0(VALU_DEP_1) | instskip(NEXT) | instid1(VALU_DEP_1)
	v_min_u32_e32 v8, 32, v6
	v_subrev_nc_u32_e32 v6, 29, v8
	s_delay_alu instid0(VALU_DEP_1) | instskip(NEXT) | instid1(VALU_DEP_1)
	v_lshlrev_b64_e32 v[6:7], v6, v[0:1]
	v_dual_sub_nc_u32 v7, 30, v8 :: v_dual_bitop2_b32 v6, 3, v6 bitop3:0x40
; %bb.7773:                             ;   in Loop: Header=BB6_7543 Depth=2
	s_or_b32 exec_lo, exec_lo, s41
	v_and_b32_e32 v0, 0x80000000, v36
	s_delay_alu instid0(VALU_DEP_1) | instskip(NEXT) | instid1(VALU_DEP_1)
	v_lshl_add_u32 v0, v7, 23, v0
	v_lshl_or_b32 v0, v6, 21, v0
                                        ; implicit-def: $vgpr6
	s_delay_alu instid0(VALU_DEP_1)
	v_add_nc_u32_e32 v7, 0x38000000, v0
.LBB6_7774:                             ;   in Loop: Header=BB6_7543 Depth=2
	s_and_not1_saveexec_b32 s14, s14
; %bb.7775:                             ;   in Loop: Header=BB6_7543 Depth=2
	v_cmp_lt_i32_e32 vcc_lo, -1, v36
	v_cndmask_b32_e32 v0, 0xff800000, v75, vcc_lo
	v_cmp_eq_u32_e32 vcc_lo, 0, v6
	s_delay_alu instid0(VALU_DEP_2)
	v_cndmask_b32_e32 v7, 0x7f800001, v0, vcc_lo
; %bb.7776:                             ;   in Loop: Header=BB6_7543 Depth=2
	s_or_b32 exec_lo, exec_lo, s14
.LBB6_7777:                             ;   in Loop: Header=BB6_7543 Depth=2
	s_delay_alu instid0(SALU_CYCLE_1)
	s_or_b32 exec_lo, exec_lo, s10
.LBB6_7778:                             ;   in Loop: Header=BB6_7543 Depth=2
	s_delay_alu instid0(SALU_CYCLE_1) | instskip(NEXT) | instid1(VALU_DEP_1)
	s_or_b32 exec_lo, exec_lo, s7
	v_dual_max_num_f32 v0, v7, v7 :: v_dual_max_num_f32 v1, v1, v1
	s_delay_alu instid0(VALU_DEP_1)
	v_min_num_f32_e32 v1, v1, v0
.LBB6_7779:                             ;   in Loop: Header=BB6_7543 Depth=2
	s_delay_alu instid0(VALU_DEP_1) | instskip(SKIP_3) | instid1(VALU_DEP_2)
	v_and_b32_e32 v6, 0x7f800000, v1
	v_dual_mov_b32 v7, v25 :: v_dual_lshrrev_b32 v0, 24, v1
	v_and_b32_e32 v24, 0x7fffff, v1
                                        ; implicit-def: $vgpr52
	s_mov_b32 s7, exec_lo
	v_cmpx_ne_u64_e32 0x7f800000, v[6:7]
	s_xor_b32 s10, exec_lo, s7
	s_cbranch_execz .LBB6_7793
; %bb.7780:                             ;   in Loop: Header=BB6_7543 Depth=2
	v_and_b32_e32 v6, 0x7fffffff, v1
	v_mov_b32_e32 v7, v25
	v_and_b32_e32 v8, 0x80, v0
                                        ; implicit-def: $vgpr52
	s_mov_b32 s7, exec_lo
	s_delay_alu instid0(VALU_DEP_2)
	v_cmpx_gt_u64_e32 0x47600001, v[6:7]
	s_xor_b32 s14, exec_lo, s7
	s_cbranch_execz .LBB6_7790
; %bb.7781:                             ;   in Loop: Header=BB6_7543 Depth=2
	v_mov_b32_e32 v52, 0
	s_mov_b32 s41, exec_lo
	v_cmpx_ne_u32_e32 0, v1
	s_cbranch_execz .LBB6_7789
; %bb.7782:                             ;   in Loop: Header=BB6_7543 Depth=2
	v_bfe_u32 v9, v1, 23, 8
	v_or_b32_e32 v6, 0x800000, v24
	s_delay_alu instid0(VALU_DEP_2) | instskip(SKIP_1) | instid1(VALU_DEP_2)
	v_sub_nc_u32_e32 v0, 0x71, v9
	v_cmp_gt_u32_e32 vcc_lo, 0x72, v9
	v_cndmask_b32_e32 v0, 0, v0, vcc_lo
	v_cmp_eq_u32_e32 vcc_lo, 0, v9
	s_delay_alu instid0(VALU_DEP_2) | instskip(SKIP_1) | instid1(VALU_DEP_2)
	v_cndmask_b32_e64 v52, v0, 0x70, vcc_lo
	v_cndmask_b32_e32 v24, v6, v24, vcc_lo
	v_dual_add_nc_u32 v0, 21, v52 :: v_dual_add_nc_u32 v7, 20, v52
	s_delay_alu instid0(VALU_DEP_1) | instskip(NEXT) | instid1(VALU_DEP_2)
	v_lshlrev_b64_e64 v[0:1], v0, -1
	v_lshlrev_b64_e64 v[6:7], v7, 1
	s_delay_alu instid0(VALU_DEP_2) | instskip(NEXT) | instid1(VALU_DEP_3)
	v_bfi_b32 v55, v1, 0, 0
	v_bfi_b32 v54, v0, 0, v24
	v_lshrrev_b64 v[0:1], v52, v[24:25]
	s_delay_alu instid0(VALU_DEP_2) | instskip(NEXT) | instid1(VALU_DEP_2)
	v_cmp_eq_u64_e64 s7, v[54:55], v[6:7]
	v_mov_b64_e32 v[6:7], v[0:1]
	s_and_saveexec_b32 s42, s7
; %bb.7783:                             ;   in Loop: Header=BB6_7543 Depth=2
	v_bfe_u32 v24, v0, 21, 1
	s_delay_alu instid0(VALU_DEP_1) | instskip(NEXT) | instid1(VALU_DEP_1)
	v_add_nc_u64_e32 v[6:7], v[0:1], v[24:25]
	v_add_nc_u64_e32 v[6:7], -1, v[6:7]
; %bb.7784:                             ;   in Loop: Header=BB6_7543 Depth=2
	s_or_b32 exec_lo, exec_lo, s42
	v_add_nc_u32_e32 v1, 0xffffff81, v9
	v_lshrrev_b32_e32 v7, 23, v0
	s_mov_b32 s7, exec_lo
	s_delay_alu instid0(VALU_DEP_2) | instskip(NEXT) | instid1(VALU_DEP_1)
	v_cndmask_b32_e64 v1, v1, 0xffffff82, vcc_lo
	v_add3_u32 v7, v52, v1, v7
	v_and_b32_e32 v1, 0x1fffff, v6
                                        ; implicit-def: $vgpr6
	s_delay_alu instid0(VALU_DEP_1) | instskip(NEXT) | instid1(VALU_DEP_1)
	v_dual_add_nc_u32 v9, 14, v7 :: v_dual_add_nc_u32 v24, v1, v0
                                        ; implicit-def: $vgpr0_vgpr1
	v_cmpx_ne_u32_e32 0, v9
	s_xor_b32 s7, exec_lo, s7
; %bb.7785:                             ;   in Loop: Header=BB6_7543 Depth=2
	s_delay_alu instid0(VALU_DEP_2) | instskip(SKIP_1) | instid1(VALU_DEP_1)
	v_cmp_lt_u64_e32 vcc_lo, 0xffffff, v[24:25]
	v_add_nc_u32_e32 v0, 15, v7
	v_cndmask_b32_e32 v6, v9, v0, vcc_lo
	v_cndmask_b32_e64 v0, 0, 1, vcc_lo
	s_delay_alu instid0(VALU_DEP_1)
	v_lshrrev_b64 v[0:1], v0, v[24:25]
; %bb.7786:                             ;   in Loop: Header=BB6_7543 Depth=2
	s_and_not1_saveexec_b32 s7, s7
; %bb.7787:                             ;   in Loop: Header=BB6_7543 Depth=2
	v_mov_b64_e32 v[0:1], v[24:25]
	v_bfe_u32 v6, v24, 23, 1
; %bb.7788:                             ;   in Loop: Header=BB6_7543 Depth=2
	s_or_b32 exec_lo, exec_lo, s7
	s_delay_alu instid0(VALU_DEP_2) | instskip(NEXT) | instid1(VALU_DEP_2)
	v_lshrrev_b64 v[0:1], 21, v[0:1]
	v_cmp_gt_i32_e32 vcc_lo, 32, v6
	v_min_i32_e32 v7, 31, v6
	v_cmp_eq_u32_e64 s7, 0, v6
	s_delay_alu instid0(VALU_DEP_2) | instskip(SKIP_1) | instid1(VALU_DEP_2)
	v_dual_cndmask_b32 v1, 0, v1, vcc_lo :: v_dual_lshlrev_b32 v7, 2, v7
	v_cndmask_b32_e32 v0, 3, v0, vcc_lo
	v_and_b32_e32 v7, 0xfc, v7
	s_delay_alu instid0(VALU_DEP_2) | instskip(NEXT) | instid1(VALU_DEP_2)
	v_cmp_eq_u64_e32 vcc_lo, 0, v[0:1]
	v_and_or_b32 v0, v0, 3, v7
	s_and_b32 s7, s7, vcc_lo
	s_delay_alu instid0(VALU_DEP_1) | instid1(SALU_CYCLE_1)
	v_cndmask_b32_e64 v0, v0, 0, s7
	s_delay_alu instid0(VALU_DEP_1)
	v_or_b32_e32 v52, v0, v8
.LBB6_7789:                             ;   in Loop: Header=BB6_7543 Depth=2
	s_or_b32 exec_lo, exec_lo, s41
                                        ; implicit-def: $vgpr8
.LBB6_7790:                             ;   in Loop: Header=BB6_7543 Depth=2
	s_and_not1_saveexec_b32 s7, s14
; %bb.7791:                             ;   in Loop: Header=BB6_7543 Depth=2
	v_or_b32_e32 v52, 0x7b, v8
; %bb.7792:                             ;   in Loop: Header=BB6_7543 Depth=2
	s_or_b32 exec_lo, exec_lo, s7
                                        ; implicit-def: $vgpr1
                                        ; implicit-def: $vgpr0
.LBB6_7793:                             ;   in Loop: Header=BB6_7543 Depth=2
	s_and_not1_saveexec_b32 s7, s10
	s_cbranch_execz .LBB6_7799
; %bb.7794:                             ;   in Loop: Header=BB6_7543 Depth=2
	s_mov_b32 s10, exec_lo
                                        ; implicit-def: $vgpr52
	v_cmpx_ne_u64_e32 0, v[24:25]
	s_xor_b32 s10, exec_lo, s10
; %bb.7795:                             ;   in Loop: Header=BB6_7543 Depth=2
	v_or_b32_e32 v52, 0x7f, v0
                                        ; implicit-def: $vgpr1
; %bb.7796:                             ;   in Loop: Header=BB6_7543 Depth=2
	s_and_not1_saveexec_b32 s10, s10
; %bb.7797:                             ;   in Loop: Header=BB6_7543 Depth=2
	v_cmp_lt_i32_e32 vcc_lo, -1, v1
	v_cndmask_b32_e32 v52, 0xfc, v41, vcc_lo
; %bb.7798:                             ;   in Loop: Header=BB6_7543 Depth=2
	s_or_b32 exec_lo, exec_lo, s10
.LBB6_7799:                             ;   in Loop: Header=BB6_7543 Depth=2
	s_delay_alu instid0(SALU_CYCLE_1) | instskip(SKIP_4) | instid1(VALU_DEP_3)
	s_or_b32 exec_lo, exec_lo, s7
	v_and_b32_e32 v6, 0xff, v49
	v_dual_mov_b32 v24, v49 :: v_dual_mov_b32 v0, v37
	v_mov_b32_e32 v1, v25
	s_and_b32 vcc_lo, exec_lo, s13
	v_cmp_ne_u16_e64 s7, 0, v6
	s_mov_b32 s10, -1
                                        ; implicit-def: $vgpr8
	s_cbranch_vccz .LBB6_7821
; %bb.7800:                             ;   in Loop: Header=BB6_7543 Depth=2
	v_dual_mov_b32 v8, 0 :: v_dual_mov_b32 v7, 0
	s_and_saveexec_b32 s10, s7
	s_cbranch_execz .LBB6_7810
; %bb.7801:                             ;   in Loop: Header=BB6_7543 Depth=2
	v_bfrev_b32_e32 v7, 1
	s_mov_b32 s14, exec_lo
	v_cmpx_ne_u16_e32 0x80, v6
	s_cbranch_execz .LBB6_7809
; %bb.7802:                             ;   in Loop: Header=BB6_7543 Depth=2
	v_and_b32_e32 v7, 0x7c, v49
	v_and_b32_e32 v9, 3, v49
	s_delay_alu instid0(VALU_DEP_2) | instskip(SKIP_1) | instid1(SALU_CYCLE_1)
	v_cmp_ne_u32_e32 vcc_lo, 0x7c, v7
                                        ; implicit-def: $vgpr7
	s_and_saveexec_b32 s41, vcc_lo
	s_xor_b32 s41, exec_lo, s41
	s_cbranch_execz .LBB6_7806
; %bb.7803:                             ;   in Loop: Header=BB6_7543 Depth=2
	v_bfe_u32 v7, v49, 2, 5
	s_mov_b32 s42, exec_lo
	s_delay_alu instid0(VALU_DEP_1)
	v_cmpx_eq_u32_e32 0, v7
; %bb.7804:                             ;   in Loop: Header=BB6_7543 Depth=2
	v_clz_i32_u32_e32 v7, v9
	s_delay_alu instid0(VALU_DEP_1) | instskip(NEXT) | instid1(VALU_DEP_1)
	v_min_u32_e32 v7, 32, v7
	v_subrev_nc_u32_e32 v9, 29, v7
	s_delay_alu instid0(VALU_DEP_1) | instskip(NEXT) | instid1(VALU_DEP_1)
	v_lshlrev_b64_e32 v[54:55], v9, v[24:25]
	v_dual_sub_nc_u32 v7, 30, v7 :: v_dual_bitop2_b32 v9, 3, v54 bitop3:0x40
; %bb.7805:                             ;   in Loop: Header=BB6_7543 Depth=2
	s_or_b32 exec_lo, exec_lo, s42
	v_lshlrev_b32_e32 v53, 24, v49
	s_delay_alu instid0(VALU_DEP_1) | instskip(NEXT) | instid1(VALU_DEP_1)
	v_and_b32_e32 v53, 0x80000000, v53
	v_lshl_add_u32 v7, v7, 23, v53
	s_delay_alu instid0(VALU_DEP_1) | instskip(NEXT) | instid1(VALU_DEP_1)
	v_lshl_or_b32 v7, v9, 21, v7
                                        ; implicit-def: $vgpr9
	v_add_nc_u32_e32 v7, 0x38000000, v7
.LBB6_7806:                             ;   in Loop: Header=BB6_7543 Depth=2
	s_and_not1_saveexec_b32 s41, s41
; %bb.7807:                             ;   in Loop: Header=BB6_7543 Depth=2
	v_bfe_i32 v7, v49, 0, 8
	s_delay_alu instid0(VALU_DEP_1) | instskip(SKIP_2) | instid1(VALU_DEP_2)
	v_cmp_lt_i16_e32 vcc_lo, -1, v7
	v_cndmask_b32_e32 v7, 0xff800000, v75, vcc_lo
	v_cmp_eq_u32_e32 vcc_lo, 0, v9
	v_cndmask_b32_e32 v7, 0x7f800001, v7, vcc_lo
; %bb.7808:                             ;   in Loop: Header=BB6_7543 Depth=2
	s_or_b32 exec_lo, exec_lo, s41
.LBB6_7809:                             ;   in Loop: Header=BB6_7543 Depth=2
	s_delay_alu instid0(SALU_CYCLE_1)
	s_or_b32 exec_lo, exec_lo, s14
.LBB6_7810:                             ;   in Loop: Header=BB6_7543 Depth=2
	s_delay_alu instid0(SALU_CYCLE_1) | instskip(SKIP_2) | instid1(VALU_DEP_1)
	s_or_b32 exec_lo, exec_lo, s10
	v_and_b32_e32 v9, 0xff, v37
	s_mov_b32 s10, exec_lo
	v_cmpx_ne_u16_e32 0, v9
	s_cbranch_execz .LBB6_7820
; %bb.7811:                             ;   in Loop: Header=BB6_7543 Depth=2
	v_bfrev_b32_e32 v8, 1
	s_mov_b32 s14, exec_lo
	v_cmpx_ne_u16_e32 0x80, v9
	s_cbranch_execz .LBB6_7819
; %bb.7812:                             ;   in Loop: Header=BB6_7543 Depth=2
	v_and_b32_e32 v8, 0x7c, v37
	v_and_b32_e32 v9, 3, v37
	s_delay_alu instid0(VALU_DEP_2) | instskip(SKIP_1) | instid1(SALU_CYCLE_1)
	v_cmp_ne_u32_e32 vcc_lo, 0x7c, v8
                                        ; implicit-def: $vgpr8
	s_and_saveexec_b32 s41, vcc_lo
	s_xor_b32 s41, exec_lo, s41
	s_cbranch_execz .LBB6_7816
; %bb.7813:                             ;   in Loop: Header=BB6_7543 Depth=2
	v_bfe_u32 v8, v37, 2, 5
	s_mov_b32 s42, exec_lo
	s_delay_alu instid0(VALU_DEP_1)
	v_cmpx_eq_u32_e32 0, v8
; %bb.7814:                             ;   in Loop: Header=BB6_7543 Depth=2
	v_clz_i32_u32_e32 v8, v9
	s_delay_alu instid0(VALU_DEP_1) | instskip(NEXT) | instid1(VALU_DEP_1)
	v_min_u32_e32 v8, 32, v8
	v_subrev_nc_u32_e32 v9, 29, v8
	s_delay_alu instid0(VALU_DEP_1) | instskip(NEXT) | instid1(VALU_DEP_1)
	v_lshlrev_b64_e32 v[54:55], v9, v[0:1]
	v_dual_sub_nc_u32 v8, 30, v8 :: v_dual_bitop2_b32 v9, 3, v54 bitop3:0x40
; %bb.7815:                             ;   in Loop: Header=BB6_7543 Depth=2
	s_or_b32 exec_lo, exec_lo, s42
	v_lshlrev_b32_e32 v53, 24, v37
	s_delay_alu instid0(VALU_DEP_1) | instskip(NEXT) | instid1(VALU_DEP_1)
	v_and_b32_e32 v53, 0x80000000, v53
	v_lshl_add_u32 v8, v8, 23, v53
	s_delay_alu instid0(VALU_DEP_1) | instskip(NEXT) | instid1(VALU_DEP_1)
	v_lshl_or_b32 v8, v9, 21, v8
                                        ; implicit-def: $vgpr9
	v_add_nc_u32_e32 v8, 0x38000000, v8
.LBB6_7816:                             ;   in Loop: Header=BB6_7543 Depth=2
	s_and_not1_saveexec_b32 s41, s41
; %bb.7817:                             ;   in Loop: Header=BB6_7543 Depth=2
	v_bfe_i32 v8, v37, 0, 8
	s_delay_alu instid0(VALU_DEP_1) | instskip(SKIP_2) | instid1(VALU_DEP_2)
	v_cmp_lt_i16_e32 vcc_lo, -1, v8
	v_cndmask_b32_e32 v8, 0xff800000, v75, vcc_lo
	v_cmp_eq_u32_e32 vcc_lo, 0, v9
	v_cndmask_b32_e32 v8, 0x7f800001, v8, vcc_lo
; %bb.7818:                             ;   in Loop: Header=BB6_7543 Depth=2
	s_or_b32 exec_lo, exec_lo, s41
.LBB6_7819:                             ;   in Loop: Header=BB6_7543 Depth=2
	s_delay_alu instid0(SALU_CYCLE_1)
	s_or_b32 exec_lo, exec_lo, s14
.LBB6_7820:                             ;   in Loop: Header=BB6_7543 Depth=2
	s_delay_alu instid0(SALU_CYCLE_1) | instskip(NEXT) | instid1(VALU_DEP_1)
	s_or_b32 exec_lo, exec_lo, s10
	v_dual_max_num_f32 v8, v8, v8 :: v_dual_max_num_f32 v7, v7, v7
	s_mov_b32 s10, 0
	s_delay_alu instid0(VALU_DEP_1)
	v_max_num_f32_e32 v8, v7, v8
.LBB6_7821:                             ;   in Loop: Header=BB6_7543 Depth=2
	s_and_b32 vcc_lo, exec_lo, s10
	s_cbranch_vccz .LBB6_7843
; %bb.7822:                             ;   in Loop: Header=BB6_7543 Depth=2
	v_dual_mov_b32 v8, 0 :: v_dual_mov_b32 v7, 0
	s_and_saveexec_b32 s10, s7
	s_cbranch_execz .LBB6_7832
; %bb.7823:                             ;   in Loop: Header=BB6_7543 Depth=2
	v_bfrev_b32_e32 v7, 1
	s_mov_b32 s7, exec_lo
	v_cmpx_ne_u16_e32 0x80, v6
	s_cbranch_execz .LBB6_7831
; %bb.7824:                             ;   in Loop: Header=BB6_7543 Depth=2
	v_and_b32_e32 v7, 0x7c, v49
	v_and_b32_e32 v6, 3, v49
	s_delay_alu instid0(VALU_DEP_2) | instskip(SKIP_1) | instid1(SALU_CYCLE_1)
	v_cmp_ne_u32_e32 vcc_lo, 0x7c, v7
                                        ; implicit-def: $vgpr7
	s_and_saveexec_b32 s14, vcc_lo
	s_xor_b32 s14, exec_lo, s14
	s_cbranch_execz .LBB6_7828
; %bb.7825:                             ;   in Loop: Header=BB6_7543 Depth=2
	v_bfe_u32 v7, v49, 2, 5
	s_mov_b32 s41, exec_lo
	s_delay_alu instid0(VALU_DEP_1)
	v_cmpx_eq_u32_e32 0, v7
; %bb.7826:                             ;   in Loop: Header=BB6_7543 Depth=2
	v_clz_i32_u32_e32 v6, v6
	s_delay_alu instid0(VALU_DEP_1) | instskip(NEXT) | instid1(VALU_DEP_1)
	v_min_u32_e32 v9, 32, v6
	v_subrev_nc_u32_e32 v6, 29, v9
	s_delay_alu instid0(VALU_DEP_1) | instskip(NEXT) | instid1(VALU_DEP_1)
	v_lshlrev_b64_e32 v[6:7], v6, v[24:25]
	v_dual_sub_nc_u32 v7, 30, v9 :: v_dual_bitop2_b32 v6, 3, v6 bitop3:0x40
; %bb.7827:                             ;   in Loop: Header=BB6_7543 Depth=2
	s_or_b32 exec_lo, exec_lo, s41
	v_lshlrev_b32_e32 v9, 24, v49
	s_delay_alu instid0(VALU_DEP_1) | instskip(NEXT) | instid1(VALU_DEP_1)
	v_and_b32_e32 v9, 0x80000000, v9
	v_lshl_add_u32 v7, v7, 23, v9
	s_delay_alu instid0(VALU_DEP_1) | instskip(NEXT) | instid1(VALU_DEP_1)
	v_lshl_or_b32 v6, v6, 21, v7
	v_add_nc_u32_e32 v7, 0x38000000, v6
                                        ; implicit-def: $vgpr6
.LBB6_7828:                             ;   in Loop: Header=BB6_7543 Depth=2
	s_and_not1_saveexec_b32 s14, s14
; %bb.7829:                             ;   in Loop: Header=BB6_7543 Depth=2
	v_bfe_i32 v7, v49, 0, 8
	s_delay_alu instid0(VALU_DEP_1) | instskip(SKIP_2) | instid1(VALU_DEP_2)
	v_cmp_lt_i16_e32 vcc_lo, -1, v7
	v_cndmask_b32_e32 v7, 0xff800000, v75, vcc_lo
	v_cmp_eq_u32_e32 vcc_lo, 0, v6
	v_cndmask_b32_e32 v7, 0x7f800001, v7, vcc_lo
; %bb.7830:                             ;   in Loop: Header=BB6_7543 Depth=2
	s_or_b32 exec_lo, exec_lo, s14
.LBB6_7831:                             ;   in Loop: Header=BB6_7543 Depth=2
	s_delay_alu instid0(SALU_CYCLE_1)
	s_or_b32 exec_lo, exec_lo, s7
.LBB6_7832:                             ;   in Loop: Header=BB6_7543 Depth=2
	s_delay_alu instid0(SALU_CYCLE_1) | instskip(SKIP_2) | instid1(VALU_DEP_1)
	s_or_b32 exec_lo, exec_lo, s10
	v_and_b32_e32 v6, 0xff, v37
	s_mov_b32 s7, exec_lo
	v_cmpx_ne_u16_e32 0, v6
	s_cbranch_execz .LBB6_7842
; %bb.7833:                             ;   in Loop: Header=BB6_7543 Depth=2
	v_bfrev_b32_e32 v8, 1
	s_mov_b32 s10, exec_lo
	v_cmpx_ne_u16_e32 0x80, v6
	s_cbranch_execz .LBB6_7841
; %bb.7834:                             ;   in Loop: Header=BB6_7543 Depth=2
	v_and_b32_e32 v8, 0x7c, v37
	v_and_b32_e32 v6, 3, v37
	s_delay_alu instid0(VALU_DEP_2) | instskip(SKIP_1) | instid1(SALU_CYCLE_1)
	v_cmp_ne_u32_e32 vcc_lo, 0x7c, v8
                                        ; implicit-def: $vgpr8
	s_and_saveexec_b32 s14, vcc_lo
	s_xor_b32 s14, exec_lo, s14
	s_cbranch_execz .LBB6_7838
; %bb.7835:                             ;   in Loop: Header=BB6_7543 Depth=2
	v_bfe_u32 v8, v37, 2, 5
	s_mov_b32 s41, exec_lo
	s_delay_alu instid0(VALU_DEP_1)
	v_cmpx_eq_u32_e32 0, v8
; %bb.7836:                             ;   in Loop: Header=BB6_7543 Depth=2
	v_clz_i32_u32_e32 v6, v6
	s_delay_alu instid0(VALU_DEP_1) | instskip(NEXT) | instid1(VALU_DEP_1)
	v_min_u32_e32 v6, 32, v6
	v_subrev_nc_u32_e32 v8, 29, v6
	s_delay_alu instid0(VALU_DEP_1) | instskip(SKIP_1) | instid1(VALU_DEP_2)
	v_lshlrev_b64_e32 v[54:55], v8, v[0:1]
	v_sub_nc_u32_e32 v8, 30, v6
	v_and_b32_e32 v6, 3, v54
; %bb.7837:                             ;   in Loop: Header=BB6_7543 Depth=2
	s_or_b32 exec_lo, exec_lo, s41
	v_lshlrev_b32_e32 v1, 24, v37
	s_delay_alu instid0(VALU_DEP_1) | instskip(NEXT) | instid1(VALU_DEP_1)
	v_and_b32_e32 v1, 0x80000000, v1
	v_lshl_add_u32 v1, v8, 23, v1
	s_delay_alu instid0(VALU_DEP_1) | instskip(NEXT) | instid1(VALU_DEP_1)
	v_lshl_or_b32 v1, v6, 21, v1
                                        ; implicit-def: $vgpr6
	v_add_nc_u32_e32 v8, 0x38000000, v1
.LBB6_7838:                             ;   in Loop: Header=BB6_7543 Depth=2
	s_and_not1_saveexec_b32 s14, s14
; %bb.7839:                             ;   in Loop: Header=BB6_7543 Depth=2
	v_bfe_i32 v1, v37, 0, 8
	s_delay_alu instid0(VALU_DEP_1) | instskip(SKIP_2) | instid1(VALU_DEP_2)
	v_cmp_lt_i16_e32 vcc_lo, -1, v1
	v_cndmask_b32_e32 v1, 0xff800000, v75, vcc_lo
	v_cmp_eq_u32_e32 vcc_lo, 0, v6
	v_cndmask_b32_e32 v8, 0x7f800001, v1, vcc_lo
; %bb.7840:                             ;   in Loop: Header=BB6_7543 Depth=2
	s_or_b32 exec_lo, exec_lo, s14
.LBB6_7841:                             ;   in Loop: Header=BB6_7543 Depth=2
	s_delay_alu instid0(SALU_CYCLE_1)
	s_or_b32 exec_lo, exec_lo, s10
.LBB6_7842:                             ;   in Loop: Header=BB6_7543 Depth=2
	s_delay_alu instid0(SALU_CYCLE_1) | instskip(NEXT) | instid1(VALU_DEP_1)
	s_or_b32 exec_lo, exec_lo, s7
	v_dual_max_num_f32 v1, v8, v8 :: v_dual_max_num_f32 v6, v7, v7
	s_delay_alu instid0(VALU_DEP_1)
	v_min_num_f32_e32 v8, v6, v1
.LBB6_7843:                             ;   in Loop: Header=BB6_7543 Depth=2
	s_delay_alu instid0(VALU_DEP_1) | instskip(SKIP_4) | instid1(VALU_DEP_3)
	v_and_b32_e32 v54, 0x7f800000, v8
	v_dual_mov_b32 v55, v25 :: v_dual_mov_b32 v7, v25
	v_and_b32_e32 v6, 0x7fffff, v8
	v_lshrrev_b32_e32 v1, 24, v8
                                        ; implicit-def: $vgpr53
	s_mov_b32 s7, exec_lo
	v_cmpx_ne_u64_e32 0x7f800000, v[54:55]
	s_xor_b32 s10, exec_lo, s7
	s_cbranch_execz .LBB6_7857
; %bb.7844:                             ;   in Loop: Header=BB6_7543 Depth=2
	v_and_b32_e32 v54, 0x7fffffff, v8
	v_mov_b32_e32 v55, v25
	v_and_b32_e32 v1, 0x80, v1
                                        ; implicit-def: $vgpr53
	s_mov_b32 s7, exec_lo
	s_delay_alu instid0(VALU_DEP_2)
	v_cmpx_gt_u64_e32 0x47600001, v[54:55]
	s_xor_b32 s14, exec_lo, s7
	s_cbranch_execz .LBB6_7854
; %bb.7845:                             ;   in Loop: Header=BB6_7543 Depth=2
	v_mov_b32_e32 v53, 0
	s_mov_b32 s41, exec_lo
	v_cmpx_ne_u32_e32 0, v8
	s_cbranch_execz .LBB6_7853
; %bb.7846:                             ;   in Loop: Header=BB6_7543 Depth=2
	v_bfe_u32 v53, v8, 23, 8
	v_or_b32_e32 v55, 0x800000, v6
	s_delay_alu instid0(VALU_DEP_2) | instskip(SKIP_1) | instid1(VALU_DEP_2)
	v_sub_nc_u32_e32 v8, 0x71, v53
	v_cmp_gt_u32_e32 vcc_lo, 0x72, v53
	v_cndmask_b32_e32 v8, 0, v8, vcc_lo
	v_cmp_eq_u32_e32 vcc_lo, 0, v53
	s_delay_alu instid0(VALU_DEP_2) | instskip(SKIP_1) | instid1(VALU_DEP_2)
	v_cndmask_b32_e64 v54, v8, 0x70, vcc_lo
	v_cndmask_b32_e32 v6, v55, v6, vcc_lo
	v_dual_add_nc_u32 v8, 21, v54 :: v_dual_add_nc_u32 v64, 20, v54
	s_delay_alu instid0(VALU_DEP_1) | instskip(NEXT) | instid1(VALU_DEP_2)
	v_lshlrev_b64_e64 v[8:9], v8, -1
	v_lshlrev_b64_e64 v[64:65], v64, 1
	s_delay_alu instid0(VALU_DEP_2) | instskip(SKIP_1) | instid1(VALU_DEP_4)
	v_bfi_b32 v8, v8, 0, v6
	v_lshrrev_b64 v[6:7], v54, v[6:7]
	v_bfi_b32 v9, v9, 0, 0
	s_delay_alu instid0(VALU_DEP_1) | instskip(NEXT) | instid1(VALU_DEP_3)
	v_cmp_eq_u64_e64 s7, v[8:9], v[64:65]
	v_mov_b64_e32 v[8:9], v[6:7]
	s_and_saveexec_b32 s42, s7
; %bb.7847:                             ;   in Loop: Header=BB6_7543 Depth=2
	v_bfe_u32 v8, v6, 21, 1
	v_mov_b32_e32 v9, v25
	s_delay_alu instid0(VALU_DEP_1) | instskip(NEXT) | instid1(VALU_DEP_1)
	v_add_nc_u64_e32 v[8:9], v[6:7], v[8:9]
	v_add_nc_u64_e32 v[8:9], -1, v[8:9]
; %bb.7848:                             ;   in Loop: Header=BB6_7543 Depth=2
	s_or_b32 exec_lo, exec_lo, s42
	v_add_nc_u32_e32 v7, 0xffffff81, v53
	v_lshrrev_b32_e32 v9, 23, v6
	s_mov_b32 s7, exec_lo
	s_delay_alu instid0(VALU_DEP_2) | instskip(NEXT) | instid1(VALU_DEP_1)
	v_cndmask_b32_e64 v7, v7, 0xffffff82, vcc_lo
	v_add3_u32 v9, v54, v7, v9
	v_and_b32_e32 v7, 0x1fffff, v8
                                        ; implicit-def: $vgpr8
	s_delay_alu instid0(VALU_DEP_1) | instskip(SKIP_1) | instid1(VALU_DEP_2)
	v_dual_add_nc_u32 v53, 14, v9 :: v_dual_add_nc_u32 v6, v7, v6
	v_mov_b32_e32 v7, v25
	v_cmpx_ne_u32_e32 0, v53
	s_xor_b32 s7, exec_lo, s7
; %bb.7849:                             ;   in Loop: Header=BB6_7543 Depth=2
	s_delay_alu instid0(VALU_DEP_2) | instskip(SKIP_2) | instid1(VALU_DEP_2)
	v_cmp_lt_u64_e32 vcc_lo, 0xffffff, v[6:7]
	v_add_nc_u32_e32 v8, 15, v9
	v_cndmask_b32_e64 v9, 0, 1, vcc_lo
	v_cndmask_b32_e32 v8, v53, v8, vcc_lo
	s_delay_alu instid0(VALU_DEP_2)
	v_lshrrev_b64 v[6:7], v9, v[6:7]
; %bb.7850:                             ;   in Loop: Header=BB6_7543 Depth=2
	s_and_not1_saveexec_b32 s7, s7
; %bb.7851:                             ;   in Loop: Header=BB6_7543 Depth=2
	s_delay_alu instid0(VALU_DEP_1)
	v_bfe_u32 v8, v6, 23, 1
; %bb.7852:                             ;   in Loop: Header=BB6_7543 Depth=2
	s_or_b32 exec_lo, exec_lo, s7
	s_delay_alu instid0(VALU_DEP_2) | instskip(NEXT) | instid1(VALU_DEP_2)
	v_lshrrev_b64 v[6:7], 21, v[6:7]
	v_cmp_gt_i32_e32 vcc_lo, 32, v8
	v_min_i32_e32 v9, 31, v8
	v_cmp_eq_u32_e64 s7, 0, v8
	s_delay_alu instid0(VALU_DEP_2) | instskip(SKIP_1) | instid1(VALU_DEP_2)
	v_dual_cndmask_b32 v7, 0, v7, vcc_lo :: v_dual_lshlrev_b32 v9, 2, v9
	v_cndmask_b32_e32 v6, 3, v6, vcc_lo
	v_and_b32_e32 v9, 0xfc, v9
	s_delay_alu instid0(VALU_DEP_2) | instskip(NEXT) | instid1(VALU_DEP_2)
	v_cmp_eq_u64_e32 vcc_lo, 0, v[6:7]
	v_and_or_b32 v6, v6, 3, v9
	s_and_b32 s7, s7, vcc_lo
	s_delay_alu instid0(VALU_DEP_1) | instid1(SALU_CYCLE_1)
	v_cndmask_b32_e64 v6, v6, 0, s7
	s_delay_alu instid0(VALU_DEP_1)
	v_or_b32_e32 v53, v6, v1
.LBB6_7853:                             ;   in Loop: Header=BB6_7543 Depth=2
	s_or_b32 exec_lo, exec_lo, s41
                                        ; implicit-def: $vgpr1
.LBB6_7854:                             ;   in Loop: Header=BB6_7543 Depth=2
	s_and_not1_saveexec_b32 s7, s14
; %bb.7855:                             ;   in Loop: Header=BB6_7543 Depth=2
	v_or_b32_e32 v53, 0x7b, v1
; %bb.7856:                             ;   in Loop: Header=BB6_7543 Depth=2
	s_or_b32 exec_lo, exec_lo, s7
                                        ; implicit-def: $vgpr8
                                        ; implicit-def: $vgpr6_vgpr7
                                        ; implicit-def: $vgpr1
.LBB6_7857:                             ;   in Loop: Header=BB6_7543 Depth=2
	s_and_not1_saveexec_b32 s7, s10
	s_cbranch_execz .LBB6_7863
; %bb.7858:                             ;   in Loop: Header=BB6_7543 Depth=2
	s_mov_b32 s10, exec_lo
                                        ; implicit-def: $vgpr53
	v_cmpx_ne_u64_e32 0, v[6:7]
	s_xor_b32 s10, exec_lo, s10
; %bb.7859:                             ;   in Loop: Header=BB6_7543 Depth=2
	v_or_b32_e32 v53, 0x7f, v1
                                        ; implicit-def: $vgpr8
; %bb.7860:                             ;   in Loop: Header=BB6_7543 Depth=2
	s_and_not1_saveexec_b32 s10, s10
; %bb.7861:                             ;   in Loop: Header=BB6_7543 Depth=2
	v_cmp_lt_i32_e32 vcc_lo, -1, v8
	v_cndmask_b32_e32 v53, 0xfc, v41, vcc_lo
; %bb.7862:                             ;   in Loop: Header=BB6_7543 Depth=2
	s_or_b32 exec_lo, exec_lo, s10
.LBB6_7863:                             ;   in Loop: Header=BB6_7543 Depth=2
	s_delay_alu instid0(SALU_CYCLE_1) | instskip(SKIP_4) | instid1(VALU_DEP_2)
	s_or_b32 exec_lo, exec_lo, s7
	v_lshrrev_b16 v8, 8, v24
	v_lshrrev_b16 v6, 8, v0
	s_and_b32 vcc_lo, exec_lo, s13
	s_mov_b32 s10, -1
                                        ; implicit-def: $vgpr7
	v_and_b32_e32 v1, 0xffff, v8
	v_cmp_ne_u16_e64 s7, 0, v8
	s_cbranch_vccz .LBB6_7885
; %bb.7864:                             ;   in Loop: Header=BB6_7543 Depth=2
	v_dual_mov_b32 v7, 0 :: v_dual_mov_b32 v9, 0
	s_and_saveexec_b32 s10, s7
	s_cbranch_execz .LBB6_7874
; %bb.7865:                             ;   in Loop: Header=BB6_7543 Depth=2
	v_bfrev_b32_e32 v9, 1
	s_mov_b32 s14, exec_lo
	v_cmpx_ne_u16_e32 0x80, v8
	s_cbranch_execz .LBB6_7873
; %bb.7866:                             ;   in Loop: Header=BB6_7543 Depth=2
	v_and_b32_e32 v9, 0x7c, v1
	v_and_b32_e32 v54, 3, v1
	s_delay_alu instid0(VALU_DEP_2) | instskip(SKIP_1) | instid1(SALU_CYCLE_1)
	v_cmp_ne_u32_e32 vcc_lo, 0x7c, v9
                                        ; implicit-def: $vgpr9
	s_and_saveexec_b32 s41, vcc_lo
	s_xor_b32 s41, exec_lo, s41
	s_cbranch_execz .LBB6_7870
; %bb.7867:                             ;   in Loop: Header=BB6_7543 Depth=2
	v_bfe_u32 v9, v1, 2, 5
	s_mov_b32 s42, exec_lo
	s_delay_alu instid0(VALU_DEP_1)
	v_cmpx_eq_u32_e32 0, v9
; %bb.7868:                             ;   in Loop: Header=BB6_7543 Depth=2
	v_clz_i32_u32_e32 v9, v54
	s_delay_alu instid0(VALU_DEP_1) | instskip(SKIP_1) | instid1(VALU_DEP_2)
	v_min_u32_e32 v64, 32, v9
	v_mov_b32_e32 v9, v25
	v_subrev_nc_u32_e32 v54, 29, v64
	s_delay_alu instid0(VALU_DEP_1) | instskip(NEXT) | instid1(VALU_DEP_1)
	v_lshlrev_b64_e32 v[54:55], v54, v[8:9]
	v_dual_sub_nc_u32 v9, 30, v64 :: v_dual_bitop2_b32 v54, 3, v54 bitop3:0x40
; %bb.7869:                             ;   in Loop: Header=BB6_7543 Depth=2
	s_or_b32 exec_lo, exec_lo, s42
	v_lshlrev_b32_e32 v55, 16, v24
	s_delay_alu instid0(VALU_DEP_1) | instskip(NEXT) | instid1(VALU_DEP_1)
	v_and_b32_e32 v55, 0x80000000, v55
	v_lshl_add_u32 v9, v9, 23, v55
	s_delay_alu instid0(VALU_DEP_1) | instskip(NEXT) | instid1(VALU_DEP_1)
	v_lshl_or_b32 v9, v54, 21, v9
                                        ; implicit-def: $vgpr54
	v_add_nc_u32_e32 v9, 0x38000000, v9
.LBB6_7870:                             ;   in Loop: Header=BB6_7543 Depth=2
	s_and_not1_saveexec_b32 s41, s41
; %bb.7871:                             ;   in Loop: Header=BB6_7543 Depth=2
	v_cmp_lt_i16_e32 vcc_lo, -1, v24
	v_cndmask_b32_e32 v9, 0xff800000, v75, vcc_lo
	v_cmp_eq_u32_e32 vcc_lo, 0, v54
	s_delay_alu instid0(VALU_DEP_2)
	v_cndmask_b32_e32 v9, 0x7f800001, v9, vcc_lo
; %bb.7872:                             ;   in Loop: Header=BB6_7543 Depth=2
	s_or_b32 exec_lo, exec_lo, s41
.LBB6_7873:                             ;   in Loop: Header=BB6_7543 Depth=2
	s_delay_alu instid0(SALU_CYCLE_1)
	s_or_b32 exec_lo, exec_lo, s14
.LBB6_7874:                             ;   in Loop: Header=BB6_7543 Depth=2
	s_delay_alu instid0(SALU_CYCLE_1) | instskip(NEXT) | instid1(SALU_CYCLE_1)
	s_or_b32 exec_lo, exec_lo, s10
	s_mov_b32 s10, exec_lo
	v_cmpx_ne_u16_e32 0, v6
	s_cbranch_execz .LBB6_7884
; %bb.7875:                             ;   in Loop: Header=BB6_7543 Depth=2
	v_bfrev_b32_e32 v7, 1
	s_mov_b32 s14, exec_lo
	v_cmpx_ne_u16_e32 0x80, v6
	s_cbranch_execz .LBB6_7883
; %bb.7876:                             ;   in Loop: Header=BB6_7543 Depth=2
	v_and_b32_e32 v55, 0xffff, v6
	s_delay_alu instid0(VALU_DEP_1) | instskip(SKIP_1) | instid1(VALU_DEP_2)
	v_and_b32_e32 v7, 0x7c, v55
	v_and_b32_e32 v54, 3, v55
	v_cmp_ne_u32_e32 vcc_lo, 0x7c, v7
                                        ; implicit-def: $vgpr7
	s_and_saveexec_b32 s41, vcc_lo
	s_delay_alu instid0(SALU_CYCLE_1)
	s_xor_b32 s41, exec_lo, s41
	s_cbranch_execz .LBB6_7880
; %bb.7877:                             ;   in Loop: Header=BB6_7543 Depth=2
	v_bfe_u32 v7, v55, 2, 5
	s_mov_b32 s42, exec_lo
	s_delay_alu instid0(VALU_DEP_1)
	v_cmpx_eq_u32_e32 0, v7
; %bb.7878:                             ;   in Loop: Header=BB6_7543 Depth=2
	v_clz_i32_u32_e32 v7, v54
	s_delay_alu instid0(VALU_DEP_1) | instskip(SKIP_1) | instid1(VALU_DEP_2)
	v_min_u32_e32 v64, 32, v7
	v_mov_b32_e32 v7, v25
	v_subrev_nc_u32_e32 v54, 29, v64
	s_delay_alu instid0(VALU_DEP_1) | instskip(NEXT) | instid1(VALU_DEP_1)
	v_lshlrev_b64_e32 v[54:55], v54, v[6:7]
	v_dual_sub_nc_u32 v7, 30, v64 :: v_dual_bitop2_b32 v54, 3, v54 bitop3:0x40
; %bb.7879:                             ;   in Loop: Header=BB6_7543 Depth=2
	s_or_b32 exec_lo, exec_lo, s42
	v_lshlrev_b32_e32 v55, 16, v0
	s_delay_alu instid0(VALU_DEP_1) | instskip(NEXT) | instid1(VALU_DEP_1)
	v_and_b32_e32 v55, 0x80000000, v55
	v_lshl_add_u32 v7, v7, 23, v55
	s_delay_alu instid0(VALU_DEP_1) | instskip(NEXT) | instid1(VALU_DEP_1)
	v_lshl_or_b32 v7, v54, 21, v7
                                        ; implicit-def: $vgpr54
	v_add_nc_u32_e32 v7, 0x38000000, v7
.LBB6_7880:                             ;   in Loop: Header=BB6_7543 Depth=2
	s_and_not1_saveexec_b32 s41, s41
; %bb.7881:                             ;   in Loop: Header=BB6_7543 Depth=2
	v_cmp_lt_i16_e32 vcc_lo, -1, v0
	v_cndmask_b32_e32 v7, 0xff800000, v75, vcc_lo
	v_cmp_eq_u32_e32 vcc_lo, 0, v54
	s_delay_alu instid0(VALU_DEP_2)
	v_cndmask_b32_e32 v7, 0x7f800001, v7, vcc_lo
; %bb.7882:                             ;   in Loop: Header=BB6_7543 Depth=2
	s_or_b32 exec_lo, exec_lo, s41
.LBB6_7883:                             ;   in Loop: Header=BB6_7543 Depth=2
	s_delay_alu instid0(SALU_CYCLE_1)
	s_or_b32 exec_lo, exec_lo, s14
.LBB6_7884:                             ;   in Loop: Header=BB6_7543 Depth=2
	s_delay_alu instid0(SALU_CYCLE_1) | instskip(NEXT) | instid1(VALU_DEP_1)
	s_or_b32 exec_lo, exec_lo, s10
	v_dual_max_num_f32 v7, v7, v7 :: v_dual_max_num_f32 v9, v9, v9
	s_mov_b32 s10, 0
	s_delay_alu instid0(VALU_DEP_1)
	v_max_num_f32_e32 v7, v9, v7
.LBB6_7885:                             ;   in Loop: Header=BB6_7543 Depth=2
	s_and_b32 vcc_lo, exec_lo, s10
	s_cbranch_vccz .LBB6_7907
; %bb.7886:                             ;   in Loop: Header=BB6_7543 Depth=2
	v_dual_mov_b32 v7, 0 :: v_dual_mov_b32 v9, 0
	s_and_saveexec_b32 s10, s7
	s_cbranch_execz .LBB6_7896
; %bb.7887:                             ;   in Loop: Header=BB6_7543 Depth=2
	v_bfrev_b32_e32 v9, 1
	s_mov_b32 s7, exec_lo
	v_cmpx_ne_u16_e32 0x80, v8
	s_cbranch_execz .LBB6_7895
; %bb.7888:                             ;   in Loop: Header=BB6_7543 Depth=2
	v_and_b32_e32 v9, 0x7c, v1
	v_and_b32_e32 v54, 3, v1
	s_delay_alu instid0(VALU_DEP_2) | instskip(SKIP_1) | instid1(SALU_CYCLE_1)
	v_cmp_ne_u32_e32 vcc_lo, 0x7c, v9
                                        ; implicit-def: $vgpr9
	s_and_saveexec_b32 s14, vcc_lo
	s_xor_b32 s14, exec_lo, s14
	s_cbranch_execz .LBB6_7892
; %bb.7889:                             ;   in Loop: Header=BB6_7543 Depth=2
	v_bfe_u32 v1, v1, 2, 5
	s_mov_b32 s41, exec_lo
	s_delay_alu instid0(VALU_DEP_1)
	v_cmpx_eq_u32_e32 0, v1
	s_cbranch_execz .LBB6_7891
; %bb.7890:                             ;   in Loop: Header=BB6_7543 Depth=2
	v_clz_i32_u32_e32 v1, v54
	s_delay_alu instid0(VALU_DEP_1) | instskip(SKIP_1) | instid1(VALU_DEP_2)
	v_min_u32_e32 v1, 32, v1
	v_mov_b32_e32 v9, v25
	v_subrev_nc_u32_e32 v54, 29, v1
	v_sub_nc_u32_e32 v1, 30, v1
	s_delay_alu instid0(VALU_DEP_2) | instskip(NEXT) | instid1(VALU_DEP_1)
	v_lshlrev_b64_e32 v[8:9], v54, v[8:9]
	v_and_b32_e32 v54, 3, v8
.LBB6_7891:                             ;   in Loop: Header=BB6_7543 Depth=2
	s_or_b32 exec_lo, exec_lo, s41
	v_lshlrev_b32_e32 v8, 16, v24
	s_delay_alu instid0(VALU_DEP_1) | instskip(NEXT) | instid1(VALU_DEP_1)
	v_and_b32_e32 v8, 0x80000000, v8
	v_lshl_add_u32 v1, v1, 23, v8
	s_delay_alu instid0(VALU_DEP_1) | instskip(NEXT) | instid1(VALU_DEP_1)
	v_lshl_or_b32 v1, v54, 21, v1
                                        ; implicit-def: $vgpr54
	v_add_nc_u32_e32 v9, 0x38000000, v1
.LBB6_7892:                             ;   in Loop: Header=BB6_7543 Depth=2
	s_and_not1_saveexec_b32 s14, s14
; %bb.7893:                             ;   in Loop: Header=BB6_7543 Depth=2
	v_cmp_lt_i16_e32 vcc_lo, -1, v24
	v_cndmask_b32_e32 v1, 0xff800000, v75, vcc_lo
	v_cmp_eq_u32_e32 vcc_lo, 0, v54
	s_delay_alu instid0(VALU_DEP_2)
	v_cndmask_b32_e32 v9, 0x7f800001, v1, vcc_lo
; %bb.7894:                             ;   in Loop: Header=BB6_7543 Depth=2
	s_or_b32 exec_lo, exec_lo, s14
.LBB6_7895:                             ;   in Loop: Header=BB6_7543 Depth=2
	s_delay_alu instid0(SALU_CYCLE_1)
	s_or_b32 exec_lo, exec_lo, s7
.LBB6_7896:                             ;   in Loop: Header=BB6_7543 Depth=2
	s_delay_alu instid0(SALU_CYCLE_1) | instskip(NEXT) | instid1(SALU_CYCLE_1)
	s_or_b32 exec_lo, exec_lo, s10
	s_mov_b32 s7, exec_lo
	v_cmpx_ne_u16_e32 0, v6
	s_cbranch_execz .LBB6_7906
; %bb.7897:                             ;   in Loop: Header=BB6_7543 Depth=2
	v_bfrev_b32_e32 v7, 1
	s_mov_b32 s10, exec_lo
	v_cmpx_ne_u16_e32 0x80, v6
	s_cbranch_execz .LBB6_7905
; %bb.7898:                             ;   in Loop: Header=BB6_7543 Depth=2
	v_and_b32_e32 v1, 0xffff, v6
	s_delay_alu instid0(VALU_DEP_1) | instskip(SKIP_1) | instid1(VALU_DEP_2)
	v_and_b32_e32 v7, 0x7c, v1
	v_and_b32_e32 v8, 3, v1
	v_cmp_ne_u32_e32 vcc_lo, 0x7c, v7
                                        ; implicit-def: $vgpr7
	s_and_saveexec_b32 s14, vcc_lo
	s_delay_alu instid0(SALU_CYCLE_1)
	s_xor_b32 s14, exec_lo, s14
	s_cbranch_execz .LBB6_7902
; %bb.7899:                             ;   in Loop: Header=BB6_7543 Depth=2
	v_bfe_u32 v1, v1, 2, 5
	s_mov_b32 s41, exec_lo
	s_delay_alu instid0(VALU_DEP_1)
	v_cmpx_eq_u32_e32 0, v1
	s_cbranch_execz .LBB6_7901
; %bb.7900:                             ;   in Loop: Header=BB6_7543 Depth=2
	v_clz_i32_u32_e32 v1, v8
	s_delay_alu instid0(VALU_DEP_1) | instskip(SKIP_1) | instid1(VALU_DEP_2)
	v_min_u32_e32 v1, 32, v1
	v_mov_b32_e32 v7, v25
	v_subrev_nc_u32_e32 v8, 29, v1
	v_sub_nc_u32_e32 v1, 30, v1
	s_delay_alu instid0(VALU_DEP_2) | instskip(NEXT) | instid1(VALU_DEP_1)
	v_lshlrev_b64_e32 v[6:7], v8, v[6:7]
	v_and_b32_e32 v8, 3, v6
.LBB6_7901:                             ;   in Loop: Header=BB6_7543 Depth=2
	s_or_b32 exec_lo, exec_lo, s41
	v_lshlrev_b32_e32 v0, 16, v0
	s_delay_alu instid0(VALU_DEP_1) | instskip(NEXT) | instid1(VALU_DEP_1)
	v_and_b32_e32 v0, 0x80000000, v0
	v_lshl_add_u32 v0, v1, 23, v0
	s_delay_alu instid0(VALU_DEP_1) | instskip(NEXT) | instid1(VALU_DEP_1)
	v_lshl_or_b32 v0, v8, 21, v0
                                        ; implicit-def: $vgpr8
	v_add_nc_u32_e32 v7, 0x38000000, v0
                                        ; implicit-def: $vgpr0_vgpr1
.LBB6_7902:                             ;   in Loop: Header=BB6_7543 Depth=2
	s_and_not1_saveexec_b32 s14, s14
; %bb.7903:                             ;   in Loop: Header=BB6_7543 Depth=2
	v_cmp_lt_i16_e32 vcc_lo, -1, v0
	v_cndmask_b32_e32 v0, 0xff800000, v75, vcc_lo
	v_cmp_eq_u32_e32 vcc_lo, 0, v8
	s_delay_alu instid0(VALU_DEP_2)
	v_cndmask_b32_e32 v7, 0x7f800001, v0, vcc_lo
; %bb.7904:                             ;   in Loop: Header=BB6_7543 Depth=2
	s_or_b32 exec_lo, exec_lo, s14
.LBB6_7905:                             ;   in Loop: Header=BB6_7543 Depth=2
	s_delay_alu instid0(SALU_CYCLE_1)
	s_or_b32 exec_lo, exec_lo, s10
.LBB6_7906:                             ;   in Loop: Header=BB6_7543 Depth=2
	s_delay_alu instid0(SALU_CYCLE_1) | instskip(NEXT) | instid1(VALU_DEP_1)
	s_or_b32 exec_lo, exec_lo, s7
	v_dual_max_num_f32 v0, v7, v7 :: v_dual_max_num_f32 v1, v9, v9
	s_delay_alu instid0(VALU_DEP_1)
	v_min_num_f32_e32 v7, v1, v0
.LBB6_7907:                             ;   in Loop: Header=BB6_7543 Depth=2
	s_delay_alu instid0(VALU_DEP_1) | instskip(SKIP_2) | instid1(VALU_DEP_2)
	v_and_b32_e32 v0, 0x7f800000, v7
	v_mov_b32_e32 v1, v25
	v_and_b32_e32 v24, 0x7fffff, v7
                                        ; implicit-def: $vgpr54
	v_cmp_ne_u64_e32 vcc_lo, 0x7f800000, v[0:1]
	v_lshrrev_b32_e32 v0, 24, v7
	s_and_saveexec_b32 s7, vcc_lo
	s_delay_alu instid0(SALU_CYCLE_1)
	s_xor_b32 s10, exec_lo, s7
	s_cbranch_execz .LBB6_7921
; %bb.7908:                             ;   in Loop: Header=BB6_7543 Depth=2
	v_and_b32_e32 v8, 0x7fffffff, v7
	v_mov_b32_e32 v9, v25
                                        ; implicit-def: $vgpr54
	s_delay_alu instid0(VALU_DEP_1) | instskip(SKIP_2) | instid1(SALU_CYCLE_1)
	v_cmp_gt_u64_e32 vcc_lo, 0x47600001, v[8:9]
	v_and_b32_e32 v8, 0x80, v0
	s_and_saveexec_b32 s7, vcc_lo
	s_xor_b32 s14, exec_lo, s7
	s_cbranch_execz .LBB6_7918
; %bb.7909:                             ;   in Loop: Header=BB6_7543 Depth=2
	v_mov_b32_e32 v54, 0
	s_mov_b32 s41, exec_lo
	v_cmpx_ne_u32_e32 0, v7
	s_cbranch_execz .LBB6_7917
; %bb.7910:                             ;   in Loop: Header=BB6_7543 Depth=2
	v_bfe_u32 v9, v7, 23, 8
	v_or_b32_e32 v6, 0x800000, v24
	s_delay_alu instid0(VALU_DEP_2) | instskip(SKIP_1) | instid1(VALU_DEP_2)
	v_sub_nc_u32_e32 v0, 0x71, v9
	v_cmp_gt_u32_e32 vcc_lo, 0x72, v9
	v_cndmask_b32_e32 v0, 0, v0, vcc_lo
	v_cmp_eq_u32_e32 vcc_lo, 0, v9
	s_delay_alu instid0(VALU_DEP_2) | instskip(NEXT) | instid1(VALU_DEP_1)
	v_cndmask_b32_e64 v54, v0, 0x70, vcc_lo
	v_dual_cndmask_b32 v24, v6, v24, vcc_lo :: v_dual_add_nc_u32 v0, 21, v54
	v_add_nc_u32_e32 v7, 20, v54
	s_delay_alu instid0(VALU_DEP_2) | instskip(NEXT) | instid1(VALU_DEP_2)
	v_lshlrev_b64_e64 v[0:1], v0, -1
	v_lshlrev_b64_e64 v[6:7], v7, 1
	s_delay_alu instid0(VALU_DEP_2) | instskip(NEXT) | instid1(VALU_DEP_3)
	v_bfi_b32 v65, v1, 0, 0
	v_bfi_b32 v64, v0, 0, v24
	v_lshrrev_b64 v[0:1], v54, v[24:25]
	s_delay_alu instid0(VALU_DEP_2) | instskip(NEXT) | instid1(VALU_DEP_2)
	v_cmp_eq_u64_e64 s7, v[64:65], v[6:7]
	v_mov_b64_e32 v[6:7], v[0:1]
	s_and_saveexec_b32 s42, s7
; %bb.7911:                             ;   in Loop: Header=BB6_7543 Depth=2
	v_bfe_u32 v24, v0, 21, 1
	s_delay_alu instid0(VALU_DEP_1) | instskip(NEXT) | instid1(VALU_DEP_1)
	v_add_nc_u64_e32 v[6:7], v[0:1], v[24:25]
	v_add_nc_u64_e32 v[6:7], -1, v[6:7]
; %bb.7912:                             ;   in Loop: Header=BB6_7543 Depth=2
	s_or_b32 exec_lo, exec_lo, s42
	v_add_nc_u32_e32 v1, 0xffffff81, v9
	v_lshrrev_b32_e32 v7, 23, v0
	s_mov_b32 s7, exec_lo
	s_delay_alu instid0(VALU_DEP_2) | instskip(NEXT) | instid1(VALU_DEP_1)
	v_cndmask_b32_e64 v1, v1, 0xffffff82, vcc_lo
	v_add3_u32 v7, v54, v1, v7
	v_and_b32_e32 v1, 0x1fffff, v6
                                        ; implicit-def: $vgpr6
	s_delay_alu instid0(VALU_DEP_1) | instskip(NEXT) | instid1(VALU_DEP_1)
	v_dual_add_nc_u32 v9, 14, v7 :: v_dual_add_nc_u32 v24, v1, v0
                                        ; implicit-def: $vgpr0_vgpr1
	v_cmpx_ne_u32_e32 0, v9
	s_xor_b32 s7, exec_lo, s7
; %bb.7913:                             ;   in Loop: Header=BB6_7543 Depth=2
	s_delay_alu instid0(VALU_DEP_2) | instskip(SKIP_1) | instid1(VALU_DEP_1)
	v_cmp_lt_u64_e32 vcc_lo, 0xffffff, v[24:25]
	v_add_nc_u32_e32 v0, 15, v7
	v_cndmask_b32_e32 v6, v9, v0, vcc_lo
	v_cndmask_b32_e64 v0, 0, 1, vcc_lo
	s_delay_alu instid0(VALU_DEP_1)
	v_lshrrev_b64 v[0:1], v0, v[24:25]
; %bb.7914:                             ;   in Loop: Header=BB6_7543 Depth=2
	s_and_not1_saveexec_b32 s7, s7
; %bb.7915:                             ;   in Loop: Header=BB6_7543 Depth=2
	v_mov_b64_e32 v[0:1], v[24:25]
	v_bfe_u32 v6, v24, 23, 1
; %bb.7916:                             ;   in Loop: Header=BB6_7543 Depth=2
	s_or_b32 exec_lo, exec_lo, s7
	s_delay_alu instid0(VALU_DEP_2) | instskip(NEXT) | instid1(VALU_DEP_2)
	v_lshrrev_b64 v[0:1], 21, v[0:1]
	v_cmp_gt_i32_e32 vcc_lo, 32, v6
	v_min_i32_e32 v7, 31, v6
	v_cmp_eq_u32_e64 s7, 0, v6
	s_delay_alu instid0(VALU_DEP_2) | instskip(SKIP_1) | instid1(VALU_DEP_2)
	v_dual_cndmask_b32 v1, 0, v1, vcc_lo :: v_dual_lshlrev_b32 v7, 2, v7
	v_cndmask_b32_e32 v0, 3, v0, vcc_lo
	v_and_b32_e32 v7, 0xfc, v7
	s_delay_alu instid0(VALU_DEP_2) | instskip(NEXT) | instid1(VALU_DEP_2)
	v_cmp_eq_u64_e32 vcc_lo, 0, v[0:1]
	v_and_or_b32 v0, v0, 3, v7
	s_and_b32 s7, s7, vcc_lo
	s_delay_alu instid0(VALU_DEP_1) | instid1(SALU_CYCLE_1)
	v_cndmask_b32_e64 v0, v0, 0, s7
	s_delay_alu instid0(VALU_DEP_1)
	v_or_b32_e32 v54, v0, v8
.LBB6_7917:                             ;   in Loop: Header=BB6_7543 Depth=2
	s_or_b32 exec_lo, exec_lo, s41
                                        ; implicit-def: $vgpr8
.LBB6_7918:                             ;   in Loop: Header=BB6_7543 Depth=2
	s_and_not1_saveexec_b32 s7, s14
; %bb.7919:                             ;   in Loop: Header=BB6_7543 Depth=2
	v_or_b32_e32 v54, 0x7b, v8
; %bb.7920:                             ;   in Loop: Header=BB6_7543 Depth=2
	s_or_b32 exec_lo, exec_lo, s7
                                        ; implicit-def: $vgpr7
                                        ; implicit-def: $vgpr0
.LBB6_7921:                             ;   in Loop: Header=BB6_7543 Depth=2
	s_and_not1_saveexec_b32 s7, s10
	s_cbranch_execz .LBB6_7927
; %bb.7922:                             ;   in Loop: Header=BB6_7543 Depth=2
	s_mov_b32 s10, exec_lo
                                        ; implicit-def: $vgpr54
	v_cmpx_ne_u64_e32 0, v[24:25]
	s_xor_b32 s10, exec_lo, s10
; %bb.7923:                             ;   in Loop: Header=BB6_7543 Depth=2
	v_or_b32_e32 v54, 0x7f, v0
                                        ; implicit-def: $vgpr7
; %bb.7924:                             ;   in Loop: Header=BB6_7543 Depth=2
	s_and_not1_saveexec_b32 s10, s10
; %bb.7925:                             ;   in Loop: Header=BB6_7543 Depth=2
	v_cmp_lt_i32_e32 vcc_lo, -1, v7
	v_cndmask_b32_e32 v54, 0xfc, v41, vcc_lo
; %bb.7926:                             ;   in Loop: Header=BB6_7543 Depth=2
	s_or_b32 exec_lo, exec_lo, s10
.LBB6_7927:                             ;   in Loop: Header=BB6_7543 Depth=2
	s_delay_alu instid0(SALU_CYCLE_1) | instskip(SKIP_4) | instid1(VALU_DEP_2)
	s_or_b32 exec_lo, exec_lo, s7
	v_lshrrev_b32_e32 v6, 16, v49
	v_lshrrev_b32_e32 v0, 16, v37
	s_and_b32 vcc_lo, exec_lo, s13
	s_mov_b32 s10, -1
                                        ; implicit-def: $vgpr7
	v_and_b32_e32 v1, 0xff, v6
	s_delay_alu instid0(VALU_DEP_1)
	v_cmp_ne_u16_e64 s7, 0, v1
	s_cbranch_vccz .LBB6_7949
; %bb.7928:                             ;   in Loop: Header=BB6_7543 Depth=2
	v_dual_mov_b32 v8, 0 :: v_dual_mov_b32 v7, 0
	s_and_saveexec_b32 s10, s7
	s_cbranch_execz .LBB6_7938
; %bb.7929:                             ;   in Loop: Header=BB6_7543 Depth=2
	v_bfrev_b32_e32 v7, 1
	s_mov_b32 s14, exec_lo
	v_cmpx_ne_u16_e32 0x80, v1
	s_cbranch_execz .LBB6_7937
; %bb.7930:                             ;   in Loop: Header=BB6_7543 Depth=2
	v_and_b32_e32 v7, 0x7c0000, v49
	v_bfe_u32 v9, v49, 16, 2
	s_delay_alu instid0(VALU_DEP_2) | instskip(SKIP_1) | instid1(SALU_CYCLE_1)
	v_cmp_ne_u32_e32 vcc_lo, 0x7c0000, v7
                                        ; implicit-def: $vgpr7
	s_and_saveexec_b32 s41, vcc_lo
	s_xor_b32 s41, exec_lo, s41
	s_cbranch_execz .LBB6_7934
; %bb.7931:                             ;   in Loop: Header=BB6_7543 Depth=2
	v_bfe_u32 v7, v49, 18, 5
	s_mov_b32 s42, exec_lo
	s_delay_alu instid0(VALU_DEP_1)
	v_cmpx_eq_u32_e32 0, v7
; %bb.7932:                             ;   in Loop: Header=BB6_7543 Depth=2
	v_clz_i32_u32_e32 v7, v9
	s_delay_alu instid0(VALU_DEP_1) | instskip(NEXT) | instid1(VALU_DEP_1)
	v_min_u32_e32 v7, 32, v7
	v_subrev_nc_u32_e32 v9, 29, v7
	s_delay_alu instid0(VALU_DEP_1) | instskip(NEXT) | instid1(VALU_DEP_1)
	v_lshlrev_b64_e32 v[64:65], v9, v[6:7]
	v_dual_sub_nc_u32 v7, 30, v7 :: v_dual_bitop2_b32 v9, 3, v64 bitop3:0x40
; %bb.7933:                             ;   in Loop: Header=BB6_7543 Depth=2
	s_or_b32 exec_lo, exec_lo, s42
	v_lshlrev_b32_e32 v24, 24, v6
	s_delay_alu instid0(VALU_DEP_1) | instskip(NEXT) | instid1(VALU_DEP_1)
	v_and_b32_e32 v24, 0x80000000, v24
	v_lshl_add_u32 v7, v7, 23, v24
	s_delay_alu instid0(VALU_DEP_1) | instskip(NEXT) | instid1(VALU_DEP_1)
	v_lshl_or_b32 v7, v9, 21, v7
                                        ; implicit-def: $vgpr9
	v_add_nc_u32_e32 v7, 0x38000000, v7
.LBB6_7934:                             ;   in Loop: Header=BB6_7543 Depth=2
	s_and_not1_saveexec_b32 s41, s41
; %bb.7935:                             ;   in Loop: Header=BB6_7543 Depth=2
	v_bfe_i32 v7, v6, 0, 8
	s_delay_alu instid0(VALU_DEP_1) | instskip(SKIP_2) | instid1(VALU_DEP_2)
	v_cmp_lt_i16_e32 vcc_lo, -1, v7
	v_cndmask_b32_e32 v7, 0xff800000, v75, vcc_lo
	v_cmp_eq_u32_e32 vcc_lo, 0, v9
	v_cndmask_b32_e32 v7, 0x7f800001, v7, vcc_lo
; %bb.7936:                             ;   in Loop: Header=BB6_7543 Depth=2
	s_or_b32 exec_lo, exec_lo, s41
.LBB6_7937:                             ;   in Loop: Header=BB6_7543 Depth=2
	s_delay_alu instid0(SALU_CYCLE_1)
	s_or_b32 exec_lo, exec_lo, s14
.LBB6_7938:                             ;   in Loop: Header=BB6_7543 Depth=2
	s_delay_alu instid0(SALU_CYCLE_1) | instskip(SKIP_2) | instid1(VALU_DEP_1)
	s_or_b32 exec_lo, exec_lo, s10
	v_and_b32_e32 v9, 0xff, v0
	s_mov_b32 s10, exec_lo
	v_cmpx_ne_u16_e32 0, v9
	s_cbranch_execz .LBB6_7948
; %bb.7939:                             ;   in Loop: Header=BB6_7543 Depth=2
	v_bfrev_b32_e32 v8, 1
	s_mov_b32 s14, exec_lo
	v_cmpx_ne_u16_e32 0x80, v9
	s_cbranch_execz .LBB6_7947
; %bb.7940:                             ;   in Loop: Header=BB6_7543 Depth=2
	v_and_b32_e32 v8, 0x7c0000, v37
	v_bfe_u32 v9, v37, 16, 2
	s_delay_alu instid0(VALU_DEP_2) | instskip(SKIP_1) | instid1(SALU_CYCLE_1)
	v_cmp_ne_u32_e32 vcc_lo, 0x7c0000, v8
                                        ; implicit-def: $vgpr8
	s_and_saveexec_b32 s41, vcc_lo
	s_xor_b32 s41, exec_lo, s41
	s_cbranch_execz .LBB6_7944
; %bb.7941:                             ;   in Loop: Header=BB6_7543 Depth=2
	v_bfe_u32 v8, v37, 18, 5
	s_mov_b32 s42, exec_lo
	s_delay_alu instid0(VALU_DEP_1)
	v_cmpx_eq_u32_e32 0, v8
; %bb.7942:                             ;   in Loop: Header=BB6_7543 Depth=2
	v_clz_i32_u32_e32 v8, v9
	s_delay_alu instid0(VALU_DEP_1) | instskip(NEXT) | instid1(VALU_DEP_1)
	v_min_u32_e32 v8, 32, v8
	v_subrev_nc_u32_e32 v9, 29, v8
	v_sub_nc_u32_e32 v8, 30, v8
	s_delay_alu instid0(VALU_DEP_2) | instskip(NEXT) | instid1(VALU_DEP_1)
	v_lshlrev_b64_e32 v[64:65], v9, v[0:1]
	v_and_b32_e32 v9, 3, v64
; %bb.7943:                             ;   in Loop: Header=BB6_7543 Depth=2
	s_or_b32 exec_lo, exec_lo, s42
	v_lshlrev_b32_e32 v24, 24, v0
	s_delay_alu instid0(VALU_DEP_1) | instskip(NEXT) | instid1(VALU_DEP_1)
	v_and_b32_e32 v24, 0x80000000, v24
	v_lshl_add_u32 v8, v8, 23, v24
	s_delay_alu instid0(VALU_DEP_1) | instskip(NEXT) | instid1(VALU_DEP_1)
	v_lshl_or_b32 v8, v9, 21, v8
                                        ; implicit-def: $vgpr9
	v_add_nc_u32_e32 v8, 0x38000000, v8
.LBB6_7944:                             ;   in Loop: Header=BB6_7543 Depth=2
	s_and_not1_saveexec_b32 s41, s41
; %bb.7945:                             ;   in Loop: Header=BB6_7543 Depth=2
	v_bfe_i32 v8, v0, 0, 8
	s_delay_alu instid0(VALU_DEP_1) | instskip(SKIP_2) | instid1(VALU_DEP_2)
	v_cmp_lt_i16_e32 vcc_lo, -1, v8
	v_cndmask_b32_e32 v8, 0xff800000, v75, vcc_lo
	v_cmp_eq_u32_e32 vcc_lo, 0, v9
	v_cndmask_b32_e32 v8, 0x7f800001, v8, vcc_lo
; %bb.7946:                             ;   in Loop: Header=BB6_7543 Depth=2
	s_or_b32 exec_lo, exec_lo, s41
.LBB6_7947:                             ;   in Loop: Header=BB6_7543 Depth=2
	s_delay_alu instid0(SALU_CYCLE_1)
	s_or_b32 exec_lo, exec_lo, s14
.LBB6_7948:                             ;   in Loop: Header=BB6_7543 Depth=2
	s_delay_alu instid0(SALU_CYCLE_1) | instskip(NEXT) | instid1(VALU_DEP_1)
	s_or_b32 exec_lo, exec_lo, s10
	v_dual_max_num_f32 v8, v8, v8 :: v_dual_max_num_f32 v7, v7, v7
	s_mov_b32 s10, 0
	s_delay_alu instid0(VALU_DEP_1)
	v_max_num_f32_e32 v7, v7, v8
.LBB6_7949:                             ;   in Loop: Header=BB6_7543 Depth=2
	s_and_b32 vcc_lo, exec_lo, s10
	s_cbranch_vccz .LBB6_7971
; %bb.7950:                             ;   in Loop: Header=BB6_7543 Depth=2
	v_dual_mov_b32 v8, 0 :: v_dual_mov_b32 v7, 0
	s_and_saveexec_b32 s10, s7
	s_cbranch_execz .LBB6_7960
; %bb.7951:                             ;   in Loop: Header=BB6_7543 Depth=2
	v_bfrev_b32_e32 v7, 1
	s_mov_b32 s7, exec_lo
	v_cmpx_ne_u16_e32 0x80, v1
	s_cbranch_execz .LBB6_7959
; %bb.7952:                             ;   in Loop: Header=BB6_7543 Depth=2
	v_and_b32_e32 v7, 0x7c0000, v49
	v_bfe_u32 v1, v49, 16, 2
	s_delay_alu instid0(VALU_DEP_2) | instskip(SKIP_1) | instid1(SALU_CYCLE_1)
	v_cmp_ne_u32_e32 vcc_lo, 0x7c0000, v7
                                        ; implicit-def: $vgpr7
	s_and_saveexec_b32 s14, vcc_lo
	s_xor_b32 s14, exec_lo, s14
	s_cbranch_execz .LBB6_7956
; %bb.7953:                             ;   in Loop: Header=BB6_7543 Depth=2
	v_bfe_u32 v7, v49, 18, 5
	s_mov_b32 s41, exec_lo
	s_delay_alu instid0(VALU_DEP_1)
	v_cmpx_eq_u32_e32 0, v7
; %bb.7954:                             ;   in Loop: Header=BB6_7543 Depth=2
	v_clz_i32_u32_e32 v1, v1
	s_delay_alu instid0(VALU_DEP_1) | instskip(NEXT) | instid1(VALU_DEP_1)
	v_min_u32_e32 v1, 32, v1
	v_subrev_nc_u32_e32 v7, 29, v1
	s_delay_alu instid0(VALU_DEP_1) | instskip(NEXT) | instid1(VALU_DEP_1)
	v_lshlrev_b64_e32 v[64:65], v7, v[6:7]
	v_dual_sub_nc_u32 v7, 30, v1 :: v_dual_bitop2_b32 v1, 3, v64 bitop3:0x40
; %bb.7955:                             ;   in Loop: Header=BB6_7543 Depth=2
	s_or_b32 exec_lo, exec_lo, s41
	v_lshlrev_b32_e32 v6, 24, v6
	s_delay_alu instid0(VALU_DEP_1) | instskip(NEXT) | instid1(VALU_DEP_1)
	v_and_b32_e32 v6, 0x80000000, v6
	v_lshl_add_u32 v6, v7, 23, v6
	s_delay_alu instid0(VALU_DEP_1) | instskip(NEXT) | instid1(VALU_DEP_1)
	v_lshl_or_b32 v1, v1, 21, v6
                                        ; implicit-def: $vgpr6
	v_add_nc_u32_e32 v7, 0x38000000, v1
                                        ; implicit-def: $vgpr1
.LBB6_7956:                             ;   in Loop: Header=BB6_7543 Depth=2
	s_and_not1_saveexec_b32 s14, s14
; %bb.7957:                             ;   in Loop: Header=BB6_7543 Depth=2
	v_bfe_i32 v6, v6, 0, 8
	s_delay_alu instid0(VALU_DEP_1) | instskip(SKIP_2) | instid1(VALU_DEP_2)
	v_cmp_lt_i16_e32 vcc_lo, -1, v6
	v_cndmask_b32_e32 v6, 0xff800000, v75, vcc_lo
	v_cmp_eq_u32_e32 vcc_lo, 0, v1
	v_cndmask_b32_e32 v7, 0x7f800001, v6, vcc_lo
; %bb.7958:                             ;   in Loop: Header=BB6_7543 Depth=2
	s_or_b32 exec_lo, exec_lo, s14
.LBB6_7959:                             ;   in Loop: Header=BB6_7543 Depth=2
	s_delay_alu instid0(SALU_CYCLE_1)
	s_or_b32 exec_lo, exec_lo, s7
.LBB6_7960:                             ;   in Loop: Header=BB6_7543 Depth=2
	s_delay_alu instid0(SALU_CYCLE_1) | instskip(SKIP_2) | instid1(VALU_DEP_1)
	s_or_b32 exec_lo, exec_lo, s10
	v_and_b32_e32 v1, 0xff, v0
	s_mov_b32 s7, exec_lo
	v_cmpx_ne_u16_e32 0, v1
	s_cbranch_execz .LBB6_7970
; %bb.7961:                             ;   in Loop: Header=BB6_7543 Depth=2
	v_bfrev_b32_e32 v8, 1
	s_mov_b32 s10, exec_lo
	v_cmpx_ne_u16_e32 0x80, v1
	s_cbranch_execz .LBB6_7969
; %bb.7962:                             ;   in Loop: Header=BB6_7543 Depth=2
	v_and_b32_e32 v6, 0x7c0000, v37
	v_bfe_u32 v1, v37, 16, 2
	s_mov_b32 s14, exec_lo
                                        ; implicit-def: $vgpr8
	s_delay_alu instid0(VALU_DEP_2)
	v_cmpx_ne_u32_e32 0x7c0000, v6
	s_xor_b32 s14, exec_lo, s14
	s_cbranch_execz .LBB6_7966
; %bb.7963:                             ;   in Loop: Header=BB6_7543 Depth=2
	v_bfe_u32 v6, v37, 18, 5
	s_mov_b32 s41, exec_lo
	s_delay_alu instid0(VALU_DEP_1)
	v_cmpx_eq_u32_e32 0, v6
; %bb.7964:                             ;   in Loop: Header=BB6_7543 Depth=2
	v_clz_i32_u32_e32 v1, v1
	s_delay_alu instid0(VALU_DEP_1) | instskip(NEXT) | instid1(VALU_DEP_1)
	v_min_u32_e32 v1, 32, v1
	v_subrev_nc_u32_e32 v6, 29, v1
	s_delay_alu instid0(VALU_DEP_1) | instskip(NEXT) | instid1(VALU_DEP_1)
	v_lshlrev_b64_e32 v[8:9], v6, v[0:1]
	v_dual_sub_nc_u32 v6, 30, v1 :: v_dual_bitop2_b32 v1, 3, v8 bitop3:0x40
; %bb.7965:                             ;   in Loop: Header=BB6_7543 Depth=2
	s_or_b32 exec_lo, exec_lo, s41
	v_lshlrev_b32_e32 v0, 24, v0
	s_delay_alu instid0(VALU_DEP_1) | instskip(NEXT) | instid1(VALU_DEP_1)
	v_and_b32_e32 v0, 0x80000000, v0
	v_lshl_add_u32 v0, v6, 23, v0
	s_delay_alu instid0(VALU_DEP_1) | instskip(NEXT) | instid1(VALU_DEP_1)
	v_lshl_or_b32 v0, v1, 21, v0
                                        ; implicit-def: $vgpr1
	v_add_nc_u32_e32 v8, 0x38000000, v0
                                        ; implicit-def: $vgpr0
.LBB6_7966:                             ;   in Loop: Header=BB6_7543 Depth=2
	s_and_not1_saveexec_b32 s14, s14
; %bb.7967:                             ;   in Loop: Header=BB6_7543 Depth=2
	v_bfe_i32 v0, v0, 0, 8
	s_delay_alu instid0(VALU_DEP_1) | instskip(SKIP_2) | instid1(VALU_DEP_2)
	v_cmp_lt_i16_e32 vcc_lo, -1, v0
	v_cndmask_b32_e32 v0, 0xff800000, v75, vcc_lo
	v_cmp_eq_u32_e32 vcc_lo, 0, v1
	v_cndmask_b32_e32 v8, 0x7f800001, v0, vcc_lo
; %bb.7968:                             ;   in Loop: Header=BB6_7543 Depth=2
	s_or_b32 exec_lo, exec_lo, s14
.LBB6_7969:                             ;   in Loop: Header=BB6_7543 Depth=2
	s_delay_alu instid0(SALU_CYCLE_1)
	s_or_b32 exec_lo, exec_lo, s10
.LBB6_7970:                             ;   in Loop: Header=BB6_7543 Depth=2
	s_delay_alu instid0(SALU_CYCLE_1) | instskip(NEXT) | instid1(VALU_DEP_1)
	s_or_b32 exec_lo, exec_lo, s7
	v_dual_max_num_f32 v0, v8, v8 :: v_dual_max_num_f32 v1, v7, v7
	s_delay_alu instid0(VALU_DEP_1)
	v_min_num_f32_e32 v7, v1, v0
.LBB6_7971:                             ;   in Loop: Header=BB6_7543 Depth=2
	s_delay_alu instid0(VALU_DEP_1) | instskip(SKIP_2) | instid1(VALU_DEP_2)
	v_and_b32_e32 v0, 0x7f800000, v7
	v_mov_b32_e32 v1, v25
	v_and_b32_e32 v24, 0x7fffff, v7
                                        ; implicit-def: $vgpr55
	v_cmp_ne_u64_e32 vcc_lo, 0x7f800000, v[0:1]
	v_lshrrev_b32_e32 v0, 24, v7
	s_and_saveexec_b32 s7, vcc_lo
	s_delay_alu instid0(SALU_CYCLE_1)
	s_xor_b32 s10, exec_lo, s7
	s_cbranch_execz .LBB6_7985
; %bb.7972:                             ;   in Loop: Header=BB6_7543 Depth=2
	v_and_b32_e32 v8, 0x7fffffff, v7
	v_mov_b32_e32 v9, v25
                                        ; implicit-def: $vgpr55
	s_delay_alu instid0(VALU_DEP_1) | instskip(SKIP_2) | instid1(SALU_CYCLE_1)
	v_cmp_gt_u64_e32 vcc_lo, 0x47600001, v[8:9]
	v_and_b32_e32 v8, 0x80, v0
	s_and_saveexec_b32 s7, vcc_lo
	s_xor_b32 s14, exec_lo, s7
	s_cbranch_execz .LBB6_7982
; %bb.7973:                             ;   in Loop: Header=BB6_7543 Depth=2
	v_mov_b32_e32 v55, 0
	s_mov_b32 s41, exec_lo
	v_cmpx_ne_u32_e32 0, v7
	s_cbranch_execz .LBB6_7981
; %bb.7974:                             ;   in Loop: Header=BB6_7543 Depth=2
	v_bfe_u32 v9, v7, 23, 8
	v_or_b32_e32 v6, 0x800000, v24
	s_delay_alu instid0(VALU_DEP_2) | instskip(SKIP_1) | instid1(VALU_DEP_2)
	v_sub_nc_u32_e32 v0, 0x71, v9
	v_cmp_gt_u32_e32 vcc_lo, 0x72, v9
	v_cndmask_b32_e32 v0, 0, v0, vcc_lo
	v_cmp_eq_u32_e32 vcc_lo, 0, v9
	s_delay_alu instid0(VALU_DEP_2) | instskip(NEXT) | instid1(VALU_DEP_1)
	v_cndmask_b32_e64 v55, v0, 0x70, vcc_lo
	v_dual_cndmask_b32 v24, v6, v24, vcc_lo :: v_dual_add_nc_u32 v0, 21, v55
	v_add_nc_u32_e32 v7, 20, v55
	s_delay_alu instid0(VALU_DEP_2) | instskip(NEXT) | instid1(VALU_DEP_2)
	v_lshlrev_b64_e64 v[0:1], v0, -1
	v_lshlrev_b64_e64 v[6:7], v7, 1
	s_delay_alu instid0(VALU_DEP_2) | instskip(NEXT) | instid1(VALU_DEP_3)
	v_bfi_b32 v65, v1, 0, 0
	v_bfi_b32 v64, v0, 0, v24
	v_lshrrev_b64 v[0:1], v55, v[24:25]
	s_delay_alu instid0(VALU_DEP_2) | instskip(NEXT) | instid1(VALU_DEP_2)
	v_cmp_eq_u64_e64 s7, v[64:65], v[6:7]
	v_mov_b64_e32 v[6:7], v[0:1]
	s_and_saveexec_b32 s42, s7
; %bb.7975:                             ;   in Loop: Header=BB6_7543 Depth=2
	v_bfe_u32 v24, v0, 21, 1
	s_delay_alu instid0(VALU_DEP_1) | instskip(NEXT) | instid1(VALU_DEP_1)
	v_add_nc_u64_e32 v[6:7], v[0:1], v[24:25]
	v_add_nc_u64_e32 v[6:7], -1, v[6:7]
; %bb.7976:                             ;   in Loop: Header=BB6_7543 Depth=2
	s_or_b32 exec_lo, exec_lo, s42
	v_add_nc_u32_e32 v1, 0xffffff81, v9
	v_lshrrev_b32_e32 v7, 23, v0
	s_mov_b32 s7, exec_lo
	s_delay_alu instid0(VALU_DEP_2) | instskip(NEXT) | instid1(VALU_DEP_1)
	v_cndmask_b32_e64 v1, v1, 0xffffff82, vcc_lo
	v_add3_u32 v7, v55, v1, v7
	v_and_b32_e32 v1, 0x1fffff, v6
                                        ; implicit-def: $vgpr6
	s_delay_alu instid0(VALU_DEP_1) | instskip(NEXT) | instid1(VALU_DEP_1)
	v_dual_add_nc_u32 v9, 14, v7 :: v_dual_add_nc_u32 v24, v1, v0
                                        ; implicit-def: $vgpr0_vgpr1
	v_cmpx_ne_u32_e32 0, v9
	s_xor_b32 s7, exec_lo, s7
; %bb.7977:                             ;   in Loop: Header=BB6_7543 Depth=2
	s_delay_alu instid0(VALU_DEP_2) | instskip(SKIP_1) | instid1(VALU_DEP_1)
	v_cmp_lt_u64_e32 vcc_lo, 0xffffff, v[24:25]
	v_add_nc_u32_e32 v0, 15, v7
	v_cndmask_b32_e32 v6, v9, v0, vcc_lo
	v_cndmask_b32_e64 v0, 0, 1, vcc_lo
	s_delay_alu instid0(VALU_DEP_1)
	v_lshrrev_b64 v[0:1], v0, v[24:25]
; %bb.7978:                             ;   in Loop: Header=BB6_7543 Depth=2
	s_and_not1_saveexec_b32 s7, s7
; %bb.7979:                             ;   in Loop: Header=BB6_7543 Depth=2
	v_mov_b64_e32 v[0:1], v[24:25]
	v_bfe_u32 v6, v24, 23, 1
; %bb.7980:                             ;   in Loop: Header=BB6_7543 Depth=2
	s_or_b32 exec_lo, exec_lo, s7
	s_delay_alu instid0(VALU_DEP_2) | instskip(NEXT) | instid1(VALU_DEP_2)
	v_lshrrev_b64 v[0:1], 21, v[0:1]
	v_cmp_gt_i32_e32 vcc_lo, 32, v6
	v_min_i32_e32 v7, 31, v6
	v_cmp_eq_u32_e64 s7, 0, v6
	s_delay_alu instid0(VALU_DEP_2) | instskip(SKIP_1) | instid1(VALU_DEP_2)
	v_dual_cndmask_b32 v1, 0, v1, vcc_lo :: v_dual_lshlrev_b32 v7, 2, v7
	v_cndmask_b32_e32 v0, 3, v0, vcc_lo
	v_and_b32_e32 v7, 0xfc, v7
	s_delay_alu instid0(VALU_DEP_2) | instskip(NEXT) | instid1(VALU_DEP_2)
	v_cmp_eq_u64_e32 vcc_lo, 0, v[0:1]
	v_and_or_b32 v0, v0, 3, v7
	s_and_b32 s7, s7, vcc_lo
	s_delay_alu instid0(VALU_DEP_1) | instid1(SALU_CYCLE_1)
	v_cndmask_b32_e64 v0, v0, 0, s7
	s_delay_alu instid0(VALU_DEP_1)
	v_or_b32_e32 v55, v0, v8
.LBB6_7981:                             ;   in Loop: Header=BB6_7543 Depth=2
	s_or_b32 exec_lo, exec_lo, s41
                                        ; implicit-def: $vgpr8
.LBB6_7982:                             ;   in Loop: Header=BB6_7543 Depth=2
	s_and_not1_saveexec_b32 s7, s14
; %bb.7983:                             ;   in Loop: Header=BB6_7543 Depth=2
	v_or_b32_e32 v55, 0x7b, v8
; %bb.7984:                             ;   in Loop: Header=BB6_7543 Depth=2
	s_or_b32 exec_lo, exec_lo, s7
                                        ; implicit-def: $vgpr7
                                        ; implicit-def: $vgpr0
.LBB6_7985:                             ;   in Loop: Header=BB6_7543 Depth=2
	s_and_not1_saveexec_b32 s7, s10
	s_cbranch_execz .LBB6_7991
; %bb.7986:                             ;   in Loop: Header=BB6_7543 Depth=2
	s_mov_b32 s10, exec_lo
                                        ; implicit-def: $vgpr55
	v_cmpx_ne_u64_e32 0, v[24:25]
	s_xor_b32 s10, exec_lo, s10
; %bb.7987:                             ;   in Loop: Header=BB6_7543 Depth=2
	v_or_b32_e32 v55, 0x7f, v0
                                        ; implicit-def: $vgpr7
; %bb.7988:                             ;   in Loop: Header=BB6_7543 Depth=2
	s_and_not1_saveexec_b32 s10, s10
; %bb.7989:                             ;   in Loop: Header=BB6_7543 Depth=2
	v_cmp_lt_i32_e32 vcc_lo, -1, v7
	v_cndmask_b32_e32 v55, 0xfc, v41, vcc_lo
; %bb.7990:                             ;   in Loop: Header=BB6_7543 Depth=2
	s_or_b32 exec_lo, exec_lo, s10
.LBB6_7991:                             ;   in Loop: Header=BB6_7543 Depth=2
	s_delay_alu instid0(SALU_CYCLE_1)
	s_or_b32 exec_lo, exec_lo, s7
	v_cmp_lt_u64_e64 s7, s[16:17], v[48:49]
	v_lshrrev_b32_e32 v6, 24, v49
	v_lshrrev_b32_e32 v0, 24, v37
	s_and_b32 vcc_lo, exec_lo, s13
	s_mov_b32 s10, -1
                                        ; implicit-def: $vgpr1
	s_cbranch_vccz .LBB6_8013
; %bb.7992:                             ;   in Loop: Header=BB6_7543 Depth=2
	v_dual_mov_b32 v7, 0 :: v_dual_mov_b32 v1, 0
	s_and_saveexec_b32 s10, s7
	s_cbranch_execz .LBB6_8002
; %bb.7993:                             ;   in Loop: Header=BB6_7543 Depth=2
	v_bfrev_b32_e32 v1, 1
	s_mov_b32 s14, exec_lo
	v_cmpx_ne_u32_e32 0x80, v6
	s_cbranch_execz .LBB6_8001
; %bb.7994:                             ;   in Loop: Header=BB6_7543 Depth=2
	v_and_b32_e32 v1, 0x7c000000, v49
	v_bfe_u32 v8, v49, 24, 2
	s_delay_alu instid0(VALU_DEP_2) | instskip(SKIP_1) | instid1(SALU_CYCLE_1)
	v_cmp_ne_u32_e32 vcc_lo, 0x7c000000, v1
                                        ; implicit-def: $vgpr1
	s_and_saveexec_b32 s41, vcc_lo
	s_xor_b32 s41, exec_lo, s41
	s_cbranch_execz .LBB6_7998
; %bb.7995:                             ;   in Loop: Header=BB6_7543 Depth=2
	v_bfe_u32 v1, v49, 26, 5
	s_mov_b32 s42, exec_lo
	s_delay_alu instid0(VALU_DEP_1)
	v_cmpx_eq_u32_e32 0, v1
; %bb.7996:                             ;   in Loop: Header=BB6_7543 Depth=2
	v_clz_i32_u32_e32 v1, v8
	s_delay_alu instid0(VALU_DEP_1) | instskip(NEXT) | instid1(VALU_DEP_1)
	v_min_u32_e32 v1, 32, v1
	v_subrev_nc_u32_e32 v8, 29, v1
	s_delay_alu instid0(VALU_DEP_1) | instskip(NEXT) | instid1(VALU_DEP_1)
	v_lshlrev_b64_e32 v[8:9], v8, v[6:7]
	v_dual_sub_nc_u32 v1, 30, v1 :: v_dual_bitop2_b32 v8, 3, v8 bitop3:0x40
; %bb.7997:                             ;   in Loop: Header=BB6_7543 Depth=2
	s_or_b32 exec_lo, exec_lo, s42
	v_and_b32_e32 v9, 0x80000000, v49
	s_delay_alu instid0(VALU_DEP_1) | instskip(NEXT) | instid1(VALU_DEP_1)
	v_lshl_add_u32 v1, v1, 23, v9
	v_lshl_or_b32 v1, v8, 21, v1
                                        ; implicit-def: $vgpr8
	s_delay_alu instid0(VALU_DEP_1)
	v_add_nc_u32_e32 v1, 0x38000000, v1
.LBB6_7998:                             ;   in Loop: Header=BB6_7543 Depth=2
	s_and_not1_saveexec_b32 s41, s41
; %bb.7999:                             ;   in Loop: Header=BB6_7543 Depth=2
	v_cmp_lt_i64_e32 vcc_lo, -1, v[48:49]
	v_cndmask_b32_e32 v1, 0xff800000, v75, vcc_lo
	v_cmp_eq_u32_e32 vcc_lo, 0, v8
	s_delay_alu instid0(VALU_DEP_2)
	v_cndmask_b32_e32 v1, 0x7f800001, v1, vcc_lo
; %bb.8000:                             ;   in Loop: Header=BB6_7543 Depth=2
	s_or_b32 exec_lo, exec_lo, s41
.LBB6_8001:                             ;   in Loop: Header=BB6_7543 Depth=2
	s_delay_alu instid0(SALU_CYCLE_1)
	s_or_b32 exec_lo, exec_lo, s14
.LBB6_8002:                             ;   in Loop: Header=BB6_7543 Depth=2
	s_delay_alu instid0(SALU_CYCLE_1) | instskip(NEXT) | instid1(SALU_CYCLE_1)
	s_or_b32 exec_lo, exec_lo, s10
	s_mov_b32 s10, exec_lo
	v_cmpx_lt_u64_e64 s[16:17], v[36:37]
	s_cbranch_execz .LBB6_8012
; %bb.8003:                             ;   in Loop: Header=BB6_7543 Depth=2
	v_bfrev_b32_e32 v7, 1
	s_mov_b32 s14, exec_lo
	v_cmpx_ne_u32_e32 0x80, v0
	s_cbranch_execz .LBB6_8011
; %bb.8004:                             ;   in Loop: Header=BB6_7543 Depth=2
	v_and_b32_e32 v7, 0x7c000000, v37
	v_bfe_u32 v8, v37, 24, 2
	s_delay_alu instid0(VALU_DEP_2) | instskip(SKIP_1) | instid1(SALU_CYCLE_1)
	v_cmp_ne_u32_e32 vcc_lo, 0x7c000000, v7
                                        ; implicit-def: $vgpr7
	s_and_saveexec_b32 s41, vcc_lo
	s_xor_b32 s41, exec_lo, s41
	s_cbranch_execz .LBB6_8008
; %bb.8005:                             ;   in Loop: Header=BB6_7543 Depth=2
	v_bfe_u32 v7, v37, 26, 5
	s_mov_b32 s42, exec_lo
	s_delay_alu instid0(VALU_DEP_1)
	v_cmpx_eq_u32_e32 0, v7
; %bb.8006:                             ;   in Loop: Header=BB6_7543 Depth=2
	v_clz_i32_u32_e32 v7, v8
	s_delay_alu instid0(VALU_DEP_1) | instskip(NEXT) | instid1(VALU_DEP_1)
	v_min_u32_e32 v7, 32, v7
	v_subrev_nc_u32_e32 v8, 29, v7
	s_delay_alu instid0(VALU_DEP_1) | instskip(NEXT) | instid1(VALU_DEP_1)
	v_lshlrev_b64_e32 v[8:9], v8, v[0:1]
	v_dual_sub_nc_u32 v7, 30, v7 :: v_dual_bitop2_b32 v8, 3, v8 bitop3:0x40
; %bb.8007:                             ;   in Loop: Header=BB6_7543 Depth=2
	s_or_b32 exec_lo, exec_lo, s42
	v_and_b32_e32 v9, 0x80000000, v37
	s_delay_alu instid0(VALU_DEP_1) | instskip(NEXT) | instid1(VALU_DEP_1)
	v_lshl_add_u32 v7, v7, 23, v9
	v_lshl_or_b32 v7, v8, 21, v7
                                        ; implicit-def: $vgpr8
	s_delay_alu instid0(VALU_DEP_1)
	v_add_nc_u32_e32 v7, 0x38000000, v7
.LBB6_8008:                             ;   in Loop: Header=BB6_7543 Depth=2
	s_and_not1_saveexec_b32 s41, s41
; %bb.8009:                             ;   in Loop: Header=BB6_7543 Depth=2
	v_cmp_lt_i64_e32 vcc_lo, -1, v[36:37]
	v_cndmask_b32_e32 v7, 0xff800000, v75, vcc_lo
	v_cmp_eq_u32_e32 vcc_lo, 0, v8
	s_delay_alu instid0(VALU_DEP_2)
	v_cndmask_b32_e32 v7, 0x7f800001, v7, vcc_lo
; %bb.8010:                             ;   in Loop: Header=BB6_7543 Depth=2
	s_or_b32 exec_lo, exec_lo, s41
.LBB6_8011:                             ;   in Loop: Header=BB6_7543 Depth=2
	s_delay_alu instid0(SALU_CYCLE_1)
	s_or_b32 exec_lo, exec_lo, s14
.LBB6_8012:                             ;   in Loop: Header=BB6_7543 Depth=2
	s_delay_alu instid0(SALU_CYCLE_1) | instskip(NEXT) | instid1(VALU_DEP_1)
	s_or_b32 exec_lo, exec_lo, s10
	v_dual_max_num_f32 v7, v7, v7 :: v_dual_max_num_f32 v1, v1, v1
	s_mov_b32 s10, 0
	s_delay_alu instid0(VALU_DEP_1)
	v_max_num_f32_e32 v1, v1, v7
.LBB6_8013:                             ;   in Loop: Header=BB6_7543 Depth=2
	s_and_b32 vcc_lo, exec_lo, s10
	s_cbranch_vccz .LBB6_8035
; %bb.8014:                             ;   in Loop: Header=BB6_7543 Depth=2
	v_dual_mov_b32 v7, 0 :: v_dual_mov_b32 v1, 0
	s_and_saveexec_b32 s10, s7
	s_cbranch_execz .LBB6_8024
; %bb.8015:                             ;   in Loop: Header=BB6_7543 Depth=2
	v_bfrev_b32_e32 v1, 1
	s_mov_b32 s7, exec_lo
	v_cmpx_ne_u32_e32 0x80, v6
	s_cbranch_execz .LBB6_8023
; %bb.8016:                             ;   in Loop: Header=BB6_7543 Depth=2
	v_and_b32_e32 v1, 0x7c000000, v49
	v_bfe_u32 v8, v49, 24, 2
	s_delay_alu instid0(VALU_DEP_2) | instskip(SKIP_1) | instid1(SALU_CYCLE_1)
	v_cmp_ne_u32_e32 vcc_lo, 0x7c000000, v1
                                        ; implicit-def: $vgpr1
	s_and_saveexec_b32 s14, vcc_lo
	s_xor_b32 s14, exec_lo, s14
	s_cbranch_execz .LBB6_8020
; %bb.8017:                             ;   in Loop: Header=BB6_7543 Depth=2
	v_bfe_u32 v1, v49, 26, 5
	s_mov_b32 s41, exec_lo
	s_delay_alu instid0(VALU_DEP_1)
	v_cmpx_eq_u32_e32 0, v1
; %bb.8018:                             ;   in Loop: Header=BB6_7543 Depth=2
	v_clz_i32_u32_e32 v1, v8
	s_delay_alu instid0(VALU_DEP_1) | instskip(NEXT) | instid1(VALU_DEP_1)
	v_min_u32_e32 v1, 32, v1
	v_subrev_nc_u32_e32 v8, 29, v1
	s_delay_alu instid0(VALU_DEP_1) | instskip(NEXT) | instid1(VALU_DEP_1)
	v_lshlrev_b64_e32 v[8:9], v8, v[6:7]
	v_dual_sub_nc_u32 v1, 30, v1 :: v_dual_bitop2_b32 v8, 3, v8 bitop3:0x40
; %bb.8019:                             ;   in Loop: Header=BB6_7543 Depth=2
	s_or_b32 exec_lo, exec_lo, s41
	v_and_b32_e32 v6, 0x80000000, v49
	s_delay_alu instid0(VALU_DEP_1) | instskip(NEXT) | instid1(VALU_DEP_1)
	v_lshl_add_u32 v1, v1, 23, v6
	v_lshl_or_b32 v1, v8, 21, v1
                                        ; implicit-def: $vgpr8
	s_delay_alu instid0(VALU_DEP_1)
	v_add_nc_u32_e32 v1, 0x38000000, v1
.LBB6_8020:                             ;   in Loop: Header=BB6_7543 Depth=2
	s_and_not1_saveexec_b32 s14, s14
; %bb.8021:                             ;   in Loop: Header=BB6_7543 Depth=2
	v_cmp_lt_i64_e32 vcc_lo, -1, v[48:49]
	v_cndmask_b32_e32 v1, 0xff800000, v75, vcc_lo
	v_cmp_eq_u32_e32 vcc_lo, 0, v8
	s_delay_alu instid0(VALU_DEP_2)
	v_cndmask_b32_e32 v1, 0x7f800001, v1, vcc_lo
; %bb.8022:                             ;   in Loop: Header=BB6_7543 Depth=2
	s_or_b32 exec_lo, exec_lo, s14
.LBB6_8023:                             ;   in Loop: Header=BB6_7543 Depth=2
	s_delay_alu instid0(SALU_CYCLE_1)
	s_or_b32 exec_lo, exec_lo, s7
.LBB6_8024:                             ;   in Loop: Header=BB6_7543 Depth=2
	s_delay_alu instid0(SALU_CYCLE_1) | instskip(NEXT) | instid1(SALU_CYCLE_1)
	s_or_b32 exec_lo, exec_lo, s10
	s_mov_b32 s7, exec_lo
	v_cmpx_lt_u64_e64 s[16:17], v[36:37]
	s_cbranch_execz .LBB6_8034
; %bb.8025:                             ;   in Loop: Header=BB6_7543 Depth=2
	v_bfrev_b32_e32 v7, 1
	s_mov_b32 s10, exec_lo
	v_cmpx_ne_u32_e32 0x80, v0
	s_cbranch_execz .LBB6_8033
; %bb.8026:                             ;   in Loop: Header=BB6_7543 Depth=2
	v_and_b32_e32 v7, 0x7c000000, v37
	v_bfe_u32 v6, v37, 24, 2
	s_delay_alu instid0(VALU_DEP_2) | instskip(SKIP_1) | instid1(SALU_CYCLE_1)
	v_cmp_ne_u32_e32 vcc_lo, 0x7c000000, v7
                                        ; implicit-def: $vgpr7
	s_and_saveexec_b32 s14, vcc_lo
	s_xor_b32 s14, exec_lo, s14
	s_cbranch_execz .LBB6_8030
; %bb.8027:                             ;   in Loop: Header=BB6_7543 Depth=2
	v_bfe_u32 v7, v37, 26, 5
	s_mov_b32 s41, exec_lo
	s_delay_alu instid0(VALU_DEP_1)
	v_cmpx_eq_u32_e32 0, v7
; %bb.8028:                             ;   in Loop: Header=BB6_7543 Depth=2
	v_clz_i32_u32_e32 v6, v6
	s_delay_alu instid0(VALU_DEP_1) | instskip(NEXT) | instid1(VALU_DEP_1)
	v_min_u32_e32 v8, 32, v6
	v_subrev_nc_u32_e32 v6, 29, v8
	s_delay_alu instid0(VALU_DEP_1) | instskip(NEXT) | instid1(VALU_DEP_1)
	v_lshlrev_b64_e32 v[6:7], v6, v[0:1]
	v_dual_sub_nc_u32 v7, 30, v8 :: v_dual_bitop2_b32 v6, 3, v6 bitop3:0x40
; %bb.8029:                             ;   in Loop: Header=BB6_7543 Depth=2
	s_or_b32 exec_lo, exec_lo, s41
	v_and_b32_e32 v0, 0x80000000, v37
	s_delay_alu instid0(VALU_DEP_1) | instskip(NEXT) | instid1(VALU_DEP_1)
	v_lshl_add_u32 v0, v7, 23, v0
	v_lshl_or_b32 v0, v6, 21, v0
                                        ; implicit-def: $vgpr6
	s_delay_alu instid0(VALU_DEP_1)
	v_add_nc_u32_e32 v7, 0x38000000, v0
.LBB6_8030:                             ;   in Loop: Header=BB6_7543 Depth=2
	s_and_not1_saveexec_b32 s14, s14
; %bb.8031:                             ;   in Loop: Header=BB6_7543 Depth=2
	v_cmp_lt_i64_e32 vcc_lo, -1, v[36:37]
	v_cndmask_b32_e32 v0, 0xff800000, v75, vcc_lo
	v_cmp_eq_u32_e32 vcc_lo, 0, v6
	s_delay_alu instid0(VALU_DEP_2)
	v_cndmask_b32_e32 v7, 0x7f800001, v0, vcc_lo
; %bb.8032:                             ;   in Loop: Header=BB6_7543 Depth=2
	s_or_b32 exec_lo, exec_lo, s14
.LBB6_8033:                             ;   in Loop: Header=BB6_7543 Depth=2
	s_delay_alu instid0(SALU_CYCLE_1)
	s_or_b32 exec_lo, exec_lo, s10
.LBB6_8034:                             ;   in Loop: Header=BB6_7543 Depth=2
	s_delay_alu instid0(SALU_CYCLE_1) | instskip(NEXT) | instid1(VALU_DEP_1)
	s_or_b32 exec_lo, exec_lo, s7
	v_dual_max_num_f32 v0, v7, v7 :: v_dual_max_num_f32 v1, v1, v1
	s_delay_alu instid0(VALU_DEP_1)
	v_min_num_f32_e32 v1, v1, v0
.LBB6_8035:                             ;   in Loop: Header=BB6_7543 Depth=2
	s_delay_alu instid0(VALU_DEP_1) | instskip(SKIP_3) | instid1(VALU_DEP_2)
	v_and_b32_e32 v6, 0x7f800000, v1
	v_dual_mov_b32 v7, v25 :: v_dual_lshrrev_b32 v0, 24, v1
	v_and_b32_e32 v24, 0x7fffff, v1
                                        ; implicit-def: $vgpr36
	s_mov_b32 s7, exec_lo
	v_cmpx_ne_u64_e32 0x7f800000, v[6:7]
	s_xor_b32 s10, exec_lo, s7
	s_cbranch_execz .LBB6_8049
; %bb.8036:                             ;   in Loop: Header=BB6_7543 Depth=2
	v_and_b32_e32 v6, 0x7fffffff, v1
	v_mov_b32_e32 v7, v25
	v_and_b32_e32 v8, 0x80, v0
                                        ; implicit-def: $vgpr36
	s_mov_b32 s7, exec_lo
	s_delay_alu instid0(VALU_DEP_2)
	v_cmpx_gt_u64_e32 0x47600001, v[6:7]
	s_xor_b32 s14, exec_lo, s7
	s_cbranch_execz .LBB6_8046
; %bb.8037:                             ;   in Loop: Header=BB6_7543 Depth=2
	v_mov_b32_e32 v36, 0
	s_mov_b32 s41, exec_lo
	v_cmpx_ne_u32_e32 0, v1
	s_cbranch_execz .LBB6_8045
; %bb.8038:                             ;   in Loop: Header=BB6_7543 Depth=2
	v_bfe_u32 v9, v1, 23, 8
	v_or_b32_e32 v6, 0x800000, v24
	s_delay_alu instid0(VALU_DEP_2) | instskip(SKIP_1) | instid1(VALU_DEP_2)
	v_sub_nc_u32_e32 v0, 0x71, v9
	v_cmp_gt_u32_e32 vcc_lo, 0x72, v9
	v_cndmask_b32_e32 v0, 0, v0, vcc_lo
	v_cmp_eq_u32_e32 vcc_lo, 0, v9
	s_delay_alu instid0(VALU_DEP_2) | instskip(SKIP_1) | instid1(VALU_DEP_2)
	v_cndmask_b32_e64 v36, v0, 0x70, vcc_lo
	v_cndmask_b32_e32 v24, v6, v24, vcc_lo
	v_dual_add_nc_u32 v0, 21, v36 :: v_dual_add_nc_u32 v7, 20, v36
	s_delay_alu instid0(VALU_DEP_1) | instskip(NEXT) | instid1(VALU_DEP_2)
	v_lshlrev_b64_e64 v[0:1], v0, -1
	v_lshlrev_b64_e64 v[6:7], v7, 1
	s_delay_alu instid0(VALU_DEP_2) | instskip(NEXT) | instid1(VALU_DEP_3)
	v_bfi_b32 v49, v1, 0, 0
	v_bfi_b32 v48, v0, 0, v24
	v_lshrrev_b64 v[0:1], v36, v[24:25]
	s_delay_alu instid0(VALU_DEP_2) | instskip(NEXT) | instid1(VALU_DEP_2)
	v_cmp_eq_u64_e64 s7, v[48:49], v[6:7]
	v_mov_b64_e32 v[6:7], v[0:1]
	s_and_saveexec_b32 s42, s7
; %bb.8039:                             ;   in Loop: Header=BB6_7543 Depth=2
	v_bfe_u32 v24, v0, 21, 1
	s_delay_alu instid0(VALU_DEP_1) | instskip(NEXT) | instid1(VALU_DEP_1)
	v_add_nc_u64_e32 v[6:7], v[0:1], v[24:25]
	v_add_nc_u64_e32 v[6:7], -1, v[6:7]
; %bb.8040:                             ;   in Loop: Header=BB6_7543 Depth=2
	s_or_b32 exec_lo, exec_lo, s42
	v_add_nc_u32_e32 v1, 0xffffff81, v9
	v_lshrrev_b32_e32 v7, 23, v0
	s_mov_b32 s7, exec_lo
	s_delay_alu instid0(VALU_DEP_2) | instskip(NEXT) | instid1(VALU_DEP_1)
	v_cndmask_b32_e64 v1, v1, 0xffffff82, vcc_lo
	v_add3_u32 v7, v36, v1, v7
	v_and_b32_e32 v1, 0x1fffff, v6
                                        ; implicit-def: $vgpr6
	s_delay_alu instid0(VALU_DEP_1) | instskip(NEXT) | instid1(VALU_DEP_1)
	v_dual_add_nc_u32 v9, 14, v7 :: v_dual_add_nc_u32 v24, v1, v0
                                        ; implicit-def: $vgpr0_vgpr1
	v_cmpx_ne_u32_e32 0, v9
	s_xor_b32 s7, exec_lo, s7
; %bb.8041:                             ;   in Loop: Header=BB6_7543 Depth=2
	s_delay_alu instid0(VALU_DEP_2) | instskip(SKIP_1) | instid1(VALU_DEP_1)
	v_cmp_lt_u64_e32 vcc_lo, 0xffffff, v[24:25]
	v_add_nc_u32_e32 v0, 15, v7
	v_cndmask_b32_e32 v6, v9, v0, vcc_lo
	v_cndmask_b32_e64 v0, 0, 1, vcc_lo
	s_delay_alu instid0(VALU_DEP_1)
	v_lshrrev_b64 v[0:1], v0, v[24:25]
; %bb.8042:                             ;   in Loop: Header=BB6_7543 Depth=2
	s_and_not1_saveexec_b32 s7, s7
; %bb.8043:                             ;   in Loop: Header=BB6_7543 Depth=2
	v_mov_b64_e32 v[0:1], v[24:25]
	v_bfe_u32 v6, v24, 23, 1
; %bb.8044:                             ;   in Loop: Header=BB6_7543 Depth=2
	s_or_b32 exec_lo, exec_lo, s7
	s_delay_alu instid0(VALU_DEP_2) | instskip(NEXT) | instid1(VALU_DEP_2)
	v_lshrrev_b64 v[0:1], 21, v[0:1]
	v_cmp_gt_i32_e32 vcc_lo, 32, v6
	v_min_i32_e32 v7, 31, v6
	v_cmp_eq_u32_e64 s7, 0, v6
	s_delay_alu instid0(VALU_DEP_2) | instskip(SKIP_1) | instid1(VALU_DEP_2)
	v_dual_cndmask_b32 v1, 0, v1, vcc_lo :: v_dual_lshlrev_b32 v7, 2, v7
	v_cndmask_b32_e32 v0, 3, v0, vcc_lo
	v_and_b32_e32 v7, 0xfc, v7
	s_delay_alu instid0(VALU_DEP_2) | instskip(NEXT) | instid1(VALU_DEP_2)
	v_cmp_eq_u64_e32 vcc_lo, 0, v[0:1]
	v_and_or_b32 v0, v0, 3, v7
	s_and_b32 s7, s7, vcc_lo
	s_delay_alu instid0(VALU_DEP_1) | instid1(SALU_CYCLE_1)
	v_cndmask_b32_e64 v0, v0, 0, s7
	s_delay_alu instid0(VALU_DEP_1)
	v_or_b32_e32 v36, v0, v8
.LBB6_8045:                             ;   in Loop: Header=BB6_7543 Depth=2
	s_or_b32 exec_lo, exec_lo, s41
                                        ; implicit-def: $vgpr8
.LBB6_8046:                             ;   in Loop: Header=BB6_7543 Depth=2
	s_and_not1_saveexec_b32 s7, s14
; %bb.8047:                             ;   in Loop: Header=BB6_7543 Depth=2
	v_or_b32_e32 v36, 0x7b, v8
; %bb.8048:                             ;   in Loop: Header=BB6_7543 Depth=2
	s_or_b32 exec_lo, exec_lo, s7
                                        ; implicit-def: $vgpr1
                                        ; implicit-def: $vgpr0
.LBB6_8049:                             ;   in Loop: Header=BB6_7543 Depth=2
	s_and_not1_saveexec_b32 s7, s10
	s_cbranch_execz .LBB6_8055
; %bb.8050:                             ;   in Loop: Header=BB6_7543 Depth=2
	s_mov_b32 s10, exec_lo
                                        ; implicit-def: $vgpr36
	v_cmpx_ne_u64_e32 0, v[24:25]
	s_xor_b32 s10, exec_lo, s10
; %bb.8051:                             ;   in Loop: Header=BB6_7543 Depth=2
	v_or_b32_e32 v36, 0x7f, v0
                                        ; implicit-def: $vgpr1
; %bb.8052:                             ;   in Loop: Header=BB6_7543 Depth=2
	s_and_not1_saveexec_b32 s10, s10
; %bb.8053:                             ;   in Loop: Header=BB6_7543 Depth=2
	v_cmp_lt_i32_e32 vcc_lo, -1, v1
	v_cndmask_b32_e32 v36, 0xfc, v41, vcc_lo
; %bb.8054:                             ;   in Loop: Header=BB6_7543 Depth=2
	s_or_b32 exec_lo, exec_lo, s10
.LBB6_8055:                             ;   in Loop: Header=BB6_7543 Depth=2
	s_delay_alu instid0(SALU_CYCLE_1)
	s_or_b32 exec_lo, exec_lo, s7
	v_and_b32_e32 v6, 0xff, v50
	v_bfe_i32 v1, v50, 0, 8
	v_bfe_i32 v0, v38, 0, 8
	s_and_b32 vcc_lo, exec_lo, s13
	s_mov_b32 s10, -1
	v_cmp_ne_u16_e64 s7, 0, v6
                                        ; implicit-def: $vgpr6
	s_cbranch_vccz .LBB6_8077
; %bb.8056:                             ;   in Loop: Header=BB6_7543 Depth=2
	v_dual_mov_b32 v7, 0 :: v_dual_mov_b32 v6, 0
	s_and_saveexec_b32 s10, s7
	s_cbranch_execz .LBB6_8066
; %bb.8057:                             ;   in Loop: Header=BB6_7543 Depth=2
	v_bfrev_b32_e32 v6, 1
	s_mov_b32 s14, exec_lo
	v_cmpx_ne_u16_e32 0xff80, v1
	s_cbranch_execz .LBB6_8065
; %bb.8058:                             ;   in Loop: Header=BB6_7543 Depth=2
	v_and_b32_e32 v6, 0x7c, v50
	v_and_b32_e32 v8, 3, v50
	s_delay_alu instid0(VALU_DEP_2) | instskip(SKIP_1) | instid1(SALU_CYCLE_1)
	v_cmp_ne_u32_e32 vcc_lo, 0x7c, v6
                                        ; implicit-def: $vgpr6
	s_and_saveexec_b32 s41, vcc_lo
	s_xor_b32 s41, exec_lo, s41
	s_cbranch_execz .LBB6_8062
; %bb.8059:                             ;   in Loop: Header=BB6_7543 Depth=2
	v_bfe_u32 v6, v50, 2, 5
	s_mov_b32 s42, exec_lo
	s_delay_alu instid0(VALU_DEP_1)
	v_cmpx_eq_u32_e32 0, v6
; %bb.8060:                             ;   in Loop: Header=BB6_7543 Depth=2
	v_clz_i32_u32_e32 v6, v8
	s_delay_alu instid0(VALU_DEP_1) | instskip(NEXT) | instid1(VALU_DEP_1)
	v_min_u32_e32 v6, 32, v6
	v_subrev_nc_u32_e32 v8, 29, v6
	s_delay_alu instid0(VALU_DEP_1) | instskip(NEXT) | instid1(VALU_DEP_1)
	v_lshlrev_b64_e32 v[8:9], v8, v[50:51]
	v_dual_sub_nc_u32 v6, 30, v6 :: v_dual_bitop2_b32 v8, 3, v8 bitop3:0x40
; %bb.8061:                             ;   in Loop: Header=BB6_7543 Depth=2
	s_or_b32 exec_lo, exec_lo, s42
	v_lshlrev_b32_e32 v9, 24, v50
	s_delay_alu instid0(VALU_DEP_1) | instskip(NEXT) | instid1(VALU_DEP_1)
	v_and_b32_e32 v9, 0x80000000, v9
	v_lshl_add_u32 v6, v6, 23, v9
	s_delay_alu instid0(VALU_DEP_1) | instskip(NEXT) | instid1(VALU_DEP_1)
	v_lshl_or_b32 v6, v8, 21, v6
                                        ; implicit-def: $vgpr8
	v_add_nc_u32_e32 v6, 0x38000000, v6
.LBB6_8062:                             ;   in Loop: Header=BB6_7543 Depth=2
	s_and_not1_saveexec_b32 s41, s41
; %bb.8063:                             ;   in Loop: Header=BB6_7543 Depth=2
	v_cmp_lt_i16_e32 vcc_lo, -1, v1
	v_cndmask_b32_e32 v6, 0xff800000, v75, vcc_lo
	v_cmp_eq_u32_e32 vcc_lo, 0, v8
	s_delay_alu instid0(VALU_DEP_2)
	v_cndmask_b32_e32 v6, 0x7f800001, v6, vcc_lo
; %bb.8064:                             ;   in Loop: Header=BB6_7543 Depth=2
	s_or_b32 exec_lo, exec_lo, s41
.LBB6_8065:                             ;   in Loop: Header=BB6_7543 Depth=2
	s_delay_alu instid0(SALU_CYCLE_1)
	s_or_b32 exec_lo, exec_lo, s14
.LBB6_8066:                             ;   in Loop: Header=BB6_7543 Depth=2
	s_delay_alu instid0(SALU_CYCLE_1) | instskip(NEXT) | instid1(SALU_CYCLE_1)
	s_or_b32 exec_lo, exec_lo, s10
	s_mov_b32 s10, exec_lo
	v_cmpx_ne_u16_e32 0, v0
	s_cbranch_execz .LBB6_8076
; %bb.8067:                             ;   in Loop: Header=BB6_7543 Depth=2
	v_bfrev_b32_e32 v7, 1
	s_mov_b32 s14, exec_lo
	v_cmpx_ne_u16_e32 0xff80, v0
	s_cbranch_execz .LBB6_8075
; %bb.8068:                             ;   in Loop: Header=BB6_7543 Depth=2
	v_and_b32_e32 v7, 0x7c, v38
	v_and_b32_e32 v8, 3, v38
	s_delay_alu instid0(VALU_DEP_2) | instskip(SKIP_1) | instid1(SALU_CYCLE_1)
	v_cmp_ne_u32_e32 vcc_lo, 0x7c, v7
                                        ; implicit-def: $vgpr7
	s_and_saveexec_b32 s41, vcc_lo
	s_xor_b32 s41, exec_lo, s41
	s_cbranch_execz .LBB6_8072
; %bb.8069:                             ;   in Loop: Header=BB6_7543 Depth=2
	v_bfe_u32 v7, v38, 2, 5
	s_mov_b32 s42, exec_lo
	s_delay_alu instid0(VALU_DEP_1)
	v_cmpx_eq_u32_e32 0, v7
; %bb.8070:                             ;   in Loop: Header=BB6_7543 Depth=2
	v_clz_i32_u32_e32 v7, v8
	s_delay_alu instid0(VALU_DEP_1) | instskip(NEXT) | instid1(VALU_DEP_1)
	v_min_u32_e32 v7, 32, v7
	v_subrev_nc_u32_e32 v8, 29, v7
	s_delay_alu instid0(VALU_DEP_1) | instskip(NEXT) | instid1(VALU_DEP_1)
	v_lshlrev_b64_e32 v[8:9], v8, v[38:39]
	v_dual_sub_nc_u32 v7, 30, v7 :: v_dual_bitop2_b32 v8, 3, v8 bitop3:0x40
; %bb.8071:                             ;   in Loop: Header=BB6_7543 Depth=2
	s_or_b32 exec_lo, exec_lo, s42
	v_lshlrev_b32_e32 v9, 24, v38
	s_delay_alu instid0(VALU_DEP_1) | instskip(NEXT) | instid1(VALU_DEP_1)
	v_and_b32_e32 v9, 0x80000000, v9
	v_lshl_add_u32 v7, v7, 23, v9
	s_delay_alu instid0(VALU_DEP_1) | instskip(NEXT) | instid1(VALU_DEP_1)
	v_lshl_or_b32 v7, v8, 21, v7
                                        ; implicit-def: $vgpr8
	v_add_nc_u32_e32 v7, 0x38000000, v7
.LBB6_8072:                             ;   in Loop: Header=BB6_7543 Depth=2
	s_and_not1_saveexec_b32 s41, s41
; %bb.8073:                             ;   in Loop: Header=BB6_7543 Depth=2
	v_cmp_lt_i16_e32 vcc_lo, -1, v0
	v_cndmask_b32_e32 v7, 0xff800000, v75, vcc_lo
	v_cmp_eq_u32_e32 vcc_lo, 0, v8
	s_delay_alu instid0(VALU_DEP_2)
	v_cndmask_b32_e32 v7, 0x7f800001, v7, vcc_lo
; %bb.8074:                             ;   in Loop: Header=BB6_7543 Depth=2
	s_or_b32 exec_lo, exec_lo, s41
.LBB6_8075:                             ;   in Loop: Header=BB6_7543 Depth=2
	s_delay_alu instid0(SALU_CYCLE_1)
	s_or_b32 exec_lo, exec_lo, s14
.LBB6_8076:                             ;   in Loop: Header=BB6_7543 Depth=2
	s_delay_alu instid0(SALU_CYCLE_1) | instskip(NEXT) | instid1(VALU_DEP_1)
	s_or_b32 exec_lo, exec_lo, s10
	v_dual_max_num_f32 v7, v7, v7 :: v_dual_max_num_f32 v6, v6, v6
	s_mov_b32 s10, 0
	s_delay_alu instid0(VALU_DEP_1)
	v_max_num_f32_e32 v6, v6, v7
.LBB6_8077:                             ;   in Loop: Header=BB6_7543 Depth=2
	s_and_b32 vcc_lo, exec_lo, s10
	s_cbranch_vccz .LBB6_8099
; %bb.8078:                             ;   in Loop: Header=BB6_7543 Depth=2
	v_dual_mov_b32 v7, 0 :: v_dual_mov_b32 v6, 0
	s_and_saveexec_b32 s10, s7
	s_cbranch_execz .LBB6_8088
; %bb.8079:                             ;   in Loop: Header=BB6_7543 Depth=2
	v_bfrev_b32_e32 v6, 1
	s_mov_b32 s7, exec_lo
	v_cmpx_ne_u16_e32 0xff80, v1
	s_cbranch_execz .LBB6_8087
; %bb.8080:                             ;   in Loop: Header=BB6_7543 Depth=2
	v_and_b32_e32 v6, 0x7c, v50
	v_and_b32_e32 v8, 3, v50
	s_delay_alu instid0(VALU_DEP_2) | instskip(SKIP_1) | instid1(SALU_CYCLE_1)
	v_cmp_ne_u32_e32 vcc_lo, 0x7c, v6
                                        ; implicit-def: $vgpr6
	s_and_saveexec_b32 s14, vcc_lo
	s_xor_b32 s14, exec_lo, s14
	s_cbranch_execz .LBB6_8084
; %bb.8081:                             ;   in Loop: Header=BB6_7543 Depth=2
	v_bfe_u32 v1, v50, 2, 5
	s_mov_b32 s41, exec_lo
	s_delay_alu instid0(VALU_DEP_1)
	v_cmpx_eq_u32_e32 0, v1
; %bb.8082:                             ;   in Loop: Header=BB6_7543 Depth=2
	v_clz_i32_u32_e32 v1, v8
	s_delay_alu instid0(VALU_DEP_1) | instskip(NEXT) | instid1(VALU_DEP_1)
	v_min_u32_e32 v1, 32, v1
	v_subrev_nc_u32_e32 v6, 29, v1
	s_delay_alu instid0(VALU_DEP_1) | instskip(NEXT) | instid1(VALU_DEP_1)
	v_lshlrev_b64_e32 v[8:9], v6, v[50:51]
	v_dual_sub_nc_u32 v1, 30, v1 :: v_dual_bitop2_b32 v8, 3, v8 bitop3:0x40
; %bb.8083:                             ;   in Loop: Header=BB6_7543 Depth=2
	s_or_b32 exec_lo, exec_lo, s41
	v_lshlrev_b32_e32 v6, 24, v50
	s_delay_alu instid0(VALU_DEP_1) | instskip(NEXT) | instid1(VALU_DEP_1)
	v_and_b32_e32 v6, 0x80000000, v6
	v_lshl_add_u32 v1, v1, 23, v6
	s_delay_alu instid0(VALU_DEP_1) | instskip(NEXT) | instid1(VALU_DEP_1)
	v_lshl_or_b32 v1, v8, 21, v1
                                        ; implicit-def: $vgpr8
	v_add_nc_u32_e32 v6, 0x38000000, v1
                                        ; implicit-def: $vgpr1
.LBB6_8084:                             ;   in Loop: Header=BB6_7543 Depth=2
	s_and_not1_saveexec_b32 s14, s14
; %bb.8085:                             ;   in Loop: Header=BB6_7543 Depth=2
	v_cmp_lt_i16_e32 vcc_lo, -1, v1
	v_cndmask_b32_e32 v1, 0xff800000, v75, vcc_lo
	v_cmp_eq_u32_e32 vcc_lo, 0, v8
	s_delay_alu instid0(VALU_DEP_2)
	v_cndmask_b32_e32 v6, 0x7f800001, v1, vcc_lo
; %bb.8086:                             ;   in Loop: Header=BB6_7543 Depth=2
	s_or_b32 exec_lo, exec_lo, s14
.LBB6_8087:                             ;   in Loop: Header=BB6_7543 Depth=2
	s_delay_alu instid0(SALU_CYCLE_1)
	s_or_b32 exec_lo, exec_lo, s7
.LBB6_8088:                             ;   in Loop: Header=BB6_7543 Depth=2
	s_delay_alu instid0(SALU_CYCLE_1) | instskip(NEXT) | instid1(SALU_CYCLE_1)
	s_or_b32 exec_lo, exec_lo, s10
	s_mov_b32 s7, exec_lo
	v_cmpx_ne_u16_e32 0, v0
	s_cbranch_execz .LBB6_8098
; %bb.8089:                             ;   in Loop: Header=BB6_7543 Depth=2
	v_bfrev_b32_e32 v7, 1
	s_mov_b32 s10, exec_lo
	v_cmpx_ne_u16_e32 0xff80, v0
	s_cbranch_execz .LBB6_8097
; %bb.8090:                             ;   in Loop: Header=BB6_7543 Depth=2
	v_and_b32_e32 v7, 0x7c, v38
	v_and_b32_e32 v1, 3, v38
	s_delay_alu instid0(VALU_DEP_2) | instskip(SKIP_1) | instid1(SALU_CYCLE_1)
	v_cmp_ne_u32_e32 vcc_lo, 0x7c, v7
                                        ; implicit-def: $vgpr7
	s_and_saveexec_b32 s14, vcc_lo
	s_xor_b32 s14, exec_lo, s14
	s_cbranch_execz .LBB6_8094
; %bb.8091:                             ;   in Loop: Header=BB6_7543 Depth=2
	v_bfe_u32 v0, v38, 2, 5
	s_mov_b32 s41, exec_lo
	s_delay_alu instid0(VALU_DEP_1)
	v_cmpx_eq_u32_e32 0, v0
; %bb.8092:                             ;   in Loop: Header=BB6_7543 Depth=2
	v_clz_i32_u32_e32 v0, v1
	s_delay_alu instid0(VALU_DEP_1) | instskip(NEXT) | instid1(VALU_DEP_1)
	v_min_u32_e32 v0, 32, v0
	v_subrev_nc_u32_e32 v1, 29, v0
	v_sub_nc_u32_e32 v0, 30, v0
	s_delay_alu instid0(VALU_DEP_2) | instskip(NEXT) | instid1(VALU_DEP_1)
	v_lshlrev_b64_e32 v[8:9], v1, v[38:39]
	v_and_b32_e32 v1, 3, v8
; %bb.8093:                             ;   in Loop: Header=BB6_7543 Depth=2
	s_or_b32 exec_lo, exec_lo, s41
	v_lshlrev_b32_e32 v7, 24, v38
	s_delay_alu instid0(VALU_DEP_1) | instskip(NEXT) | instid1(VALU_DEP_1)
	v_and_b32_e32 v7, 0x80000000, v7
	v_lshl_add_u32 v0, v0, 23, v7
	s_delay_alu instid0(VALU_DEP_1) | instskip(NEXT) | instid1(VALU_DEP_1)
	v_lshl_or_b32 v0, v1, 21, v0
                                        ; implicit-def: $vgpr1
	v_add_nc_u32_e32 v7, 0x38000000, v0
                                        ; implicit-def: $vgpr0
.LBB6_8094:                             ;   in Loop: Header=BB6_7543 Depth=2
	s_and_not1_saveexec_b32 s14, s14
; %bb.8095:                             ;   in Loop: Header=BB6_7543 Depth=2
	v_cmp_lt_i16_e32 vcc_lo, -1, v0
	v_cndmask_b32_e32 v0, 0xff800000, v75, vcc_lo
	v_cmp_eq_u32_e32 vcc_lo, 0, v1
	s_delay_alu instid0(VALU_DEP_2)
	v_cndmask_b32_e32 v7, 0x7f800001, v0, vcc_lo
; %bb.8096:                             ;   in Loop: Header=BB6_7543 Depth=2
	s_or_b32 exec_lo, exec_lo, s14
.LBB6_8097:                             ;   in Loop: Header=BB6_7543 Depth=2
	s_delay_alu instid0(SALU_CYCLE_1)
	s_or_b32 exec_lo, exec_lo, s10
.LBB6_8098:                             ;   in Loop: Header=BB6_7543 Depth=2
	s_delay_alu instid0(SALU_CYCLE_1) | instskip(NEXT) | instid1(VALU_DEP_1)
	s_or_b32 exec_lo, exec_lo, s7
	v_dual_max_num_f32 v0, v7, v7 :: v_dual_max_num_f32 v1, v6, v6
	s_delay_alu instid0(VALU_DEP_1)
	v_min_num_f32_e32 v6, v1, v0
.LBB6_8099:                             ;   in Loop: Header=BB6_7543 Depth=2
	s_delay_alu instid0(VALU_DEP_1) | instskip(SKIP_2) | instid1(VALU_DEP_2)
	v_and_b32_e32 v0, 0x7f800000, v6
	v_mov_b32_e32 v1, v25
	v_and_b32_e32 v24, 0x7fffff, v6
                                        ; implicit-def: $vgpr37
	v_cmp_ne_u64_e32 vcc_lo, 0x7f800000, v[0:1]
	v_lshrrev_b32_e32 v0, 24, v6
	s_and_saveexec_b32 s7, vcc_lo
	s_delay_alu instid0(SALU_CYCLE_1)
	s_xor_b32 s10, exec_lo, s7
	s_cbranch_execz .LBB6_8113
; %bb.8100:                             ;   in Loop: Header=BB6_7543 Depth=2
	v_and_b32_e32 v8, 0x7fffffff, v6
	v_mov_b32_e32 v9, v25
                                        ; implicit-def: $vgpr37
	s_delay_alu instid0(VALU_DEP_1) | instskip(SKIP_2) | instid1(SALU_CYCLE_1)
	v_cmp_gt_u64_e32 vcc_lo, 0x47600001, v[8:9]
	v_and_b32_e32 v8, 0x80, v0
	s_and_saveexec_b32 s7, vcc_lo
	s_xor_b32 s14, exec_lo, s7
	s_cbranch_execz .LBB6_8110
; %bb.8101:                             ;   in Loop: Header=BB6_7543 Depth=2
	v_mov_b32_e32 v37, 0
	s_mov_b32 s41, exec_lo
	v_cmpx_ne_u32_e32 0, v6
	s_cbranch_execz .LBB6_8109
; %bb.8102:                             ;   in Loop: Header=BB6_7543 Depth=2
	v_bfe_u32 v9, v6, 23, 8
	v_or_b32_e32 v6, 0x800000, v24
	s_delay_alu instid0(VALU_DEP_2) | instskip(SKIP_1) | instid1(VALU_DEP_2)
	v_sub_nc_u32_e32 v0, 0x71, v9
	v_cmp_gt_u32_e32 vcc_lo, 0x72, v9
	v_cndmask_b32_e32 v0, 0, v0, vcc_lo
	v_cmp_eq_u32_e32 vcc_lo, 0, v9
	s_delay_alu instid0(VALU_DEP_2) | instskip(NEXT) | instid1(VALU_DEP_1)
	v_cndmask_b32_e64 v37, v0, 0x70, vcc_lo
	v_dual_cndmask_b32 v24, v6, v24, vcc_lo :: v_dual_add_nc_u32 v0, 21, v37
	v_add_nc_u32_e32 v7, 20, v37
	s_delay_alu instid0(VALU_DEP_2) | instskip(NEXT) | instid1(VALU_DEP_2)
	v_lshlrev_b64_e64 v[0:1], v0, -1
	v_lshlrev_b64_e64 v[6:7], v7, 1
	s_delay_alu instid0(VALU_DEP_2) | instskip(NEXT) | instid1(VALU_DEP_3)
	v_bfi_b32 v49, v1, 0, 0
	v_bfi_b32 v48, v0, 0, v24
	v_lshrrev_b64 v[0:1], v37, v[24:25]
	s_delay_alu instid0(VALU_DEP_2) | instskip(NEXT) | instid1(VALU_DEP_2)
	v_cmp_eq_u64_e64 s7, v[48:49], v[6:7]
	v_mov_b64_e32 v[6:7], v[0:1]
	s_and_saveexec_b32 s42, s7
; %bb.8103:                             ;   in Loop: Header=BB6_7543 Depth=2
	v_bfe_u32 v24, v0, 21, 1
	s_delay_alu instid0(VALU_DEP_1) | instskip(NEXT) | instid1(VALU_DEP_1)
	v_add_nc_u64_e32 v[6:7], v[0:1], v[24:25]
	v_add_nc_u64_e32 v[6:7], -1, v[6:7]
; %bb.8104:                             ;   in Loop: Header=BB6_7543 Depth=2
	s_or_b32 exec_lo, exec_lo, s42
	v_add_nc_u32_e32 v1, 0xffffff81, v9
	v_lshrrev_b32_e32 v7, 23, v0
	s_mov_b32 s7, exec_lo
	s_delay_alu instid0(VALU_DEP_2) | instskip(NEXT) | instid1(VALU_DEP_1)
	v_cndmask_b32_e64 v1, v1, 0xffffff82, vcc_lo
	v_add3_u32 v7, v37, v1, v7
	v_and_b32_e32 v1, 0x1fffff, v6
                                        ; implicit-def: $vgpr6
	s_delay_alu instid0(VALU_DEP_1) | instskip(NEXT) | instid1(VALU_DEP_1)
	v_dual_add_nc_u32 v9, 14, v7 :: v_dual_add_nc_u32 v24, v1, v0
                                        ; implicit-def: $vgpr0_vgpr1
	v_cmpx_ne_u32_e32 0, v9
	s_xor_b32 s7, exec_lo, s7
; %bb.8105:                             ;   in Loop: Header=BB6_7543 Depth=2
	s_delay_alu instid0(VALU_DEP_2) | instskip(SKIP_1) | instid1(VALU_DEP_1)
	v_cmp_lt_u64_e32 vcc_lo, 0xffffff, v[24:25]
	v_add_nc_u32_e32 v0, 15, v7
	v_cndmask_b32_e32 v6, v9, v0, vcc_lo
	v_cndmask_b32_e64 v0, 0, 1, vcc_lo
	s_delay_alu instid0(VALU_DEP_1)
	v_lshrrev_b64 v[0:1], v0, v[24:25]
; %bb.8106:                             ;   in Loop: Header=BB6_7543 Depth=2
	s_and_not1_saveexec_b32 s7, s7
; %bb.8107:                             ;   in Loop: Header=BB6_7543 Depth=2
	v_mov_b64_e32 v[0:1], v[24:25]
	v_bfe_u32 v6, v24, 23, 1
; %bb.8108:                             ;   in Loop: Header=BB6_7543 Depth=2
	s_or_b32 exec_lo, exec_lo, s7
	s_delay_alu instid0(VALU_DEP_2) | instskip(NEXT) | instid1(VALU_DEP_2)
	v_lshrrev_b64 v[0:1], 21, v[0:1]
	v_cmp_gt_i32_e32 vcc_lo, 32, v6
	v_min_i32_e32 v7, 31, v6
	v_cmp_eq_u32_e64 s7, 0, v6
	s_delay_alu instid0(VALU_DEP_2) | instskip(SKIP_1) | instid1(VALU_DEP_2)
	v_dual_cndmask_b32 v1, 0, v1, vcc_lo :: v_dual_lshlrev_b32 v7, 2, v7
	v_cndmask_b32_e32 v0, 3, v0, vcc_lo
	v_and_b32_e32 v7, 0xfc, v7
	s_delay_alu instid0(VALU_DEP_2) | instskip(NEXT) | instid1(VALU_DEP_2)
	v_cmp_eq_u64_e32 vcc_lo, 0, v[0:1]
	v_and_or_b32 v0, v0, 3, v7
	s_and_b32 s7, s7, vcc_lo
	s_delay_alu instid0(VALU_DEP_1) | instid1(SALU_CYCLE_1)
	v_cndmask_b32_e64 v0, v0, 0, s7
	s_delay_alu instid0(VALU_DEP_1)
	v_or_b32_e32 v37, v0, v8
.LBB6_8109:                             ;   in Loop: Header=BB6_7543 Depth=2
	s_or_b32 exec_lo, exec_lo, s41
                                        ; implicit-def: $vgpr8
.LBB6_8110:                             ;   in Loop: Header=BB6_7543 Depth=2
	s_and_not1_saveexec_b32 s7, s14
; %bb.8111:                             ;   in Loop: Header=BB6_7543 Depth=2
	v_or_b32_e32 v37, 0x7b, v8
; %bb.8112:                             ;   in Loop: Header=BB6_7543 Depth=2
	s_or_b32 exec_lo, exec_lo, s7
                                        ; implicit-def: $vgpr6
                                        ; implicit-def: $vgpr0
.LBB6_8113:                             ;   in Loop: Header=BB6_7543 Depth=2
	s_and_not1_saveexec_b32 s7, s10
	s_cbranch_execz .LBB6_8119
; %bb.8114:                             ;   in Loop: Header=BB6_7543 Depth=2
	s_mov_b32 s10, exec_lo
                                        ; implicit-def: $vgpr37
	v_cmpx_ne_u64_e32 0, v[24:25]
	s_xor_b32 s10, exec_lo, s10
; %bb.8115:                             ;   in Loop: Header=BB6_7543 Depth=2
	v_or_b32_e32 v37, 0x7f, v0
                                        ; implicit-def: $vgpr6
; %bb.8116:                             ;   in Loop: Header=BB6_7543 Depth=2
	s_and_not1_saveexec_b32 s10, s10
; %bb.8117:                             ;   in Loop: Header=BB6_7543 Depth=2
	v_cmp_lt_i32_e32 vcc_lo, -1, v6
	v_cndmask_b32_e32 v37, 0xfc, v41, vcc_lo
; %bb.8118:                             ;   in Loop: Header=BB6_7543 Depth=2
	s_or_b32 exec_lo, exec_lo, s10
.LBB6_8119:                             ;   in Loop: Header=BB6_7543 Depth=2
	s_delay_alu instid0(SALU_CYCLE_1) | instskip(SKIP_4) | instid1(VALU_DEP_2)
	s_or_b32 exec_lo, exec_lo, s7
	v_lshrrev_b16 v24, 8, v50
	v_lshrrev_b16 v0, 8, v38
	s_and_b32 vcc_lo, exec_lo, s13
	s_mov_b32 s10, -1
                                        ; implicit-def: $vgpr1
	v_and_b32_e32 v6, 0xffff, v24
	v_cmp_ne_u16_e64 s7, 0, v24
	s_cbranch_vccz .LBB6_8141
; %bb.8120:                             ;   in Loop: Header=BB6_7543 Depth=2
	v_dual_mov_b32 v1, 0 :: v_dual_mov_b32 v7, 0
	s_and_saveexec_b32 s10, s7
	s_cbranch_execz .LBB6_8130
; %bb.8121:                             ;   in Loop: Header=BB6_7543 Depth=2
	v_bfrev_b32_e32 v7, 1
	s_mov_b32 s14, exec_lo
	v_cmpx_ne_u16_e32 0x80, v24
	s_cbranch_execz .LBB6_8129
; %bb.8122:                             ;   in Loop: Header=BB6_7543 Depth=2
	v_and_b32_e32 v7, 0x7c, v6
	v_and_b32_e32 v8, 3, v6
	s_delay_alu instid0(VALU_DEP_2) | instskip(SKIP_1) | instid1(SALU_CYCLE_1)
	v_cmp_ne_u32_e32 vcc_lo, 0x7c, v7
                                        ; implicit-def: $vgpr7
	s_and_saveexec_b32 s41, vcc_lo
	s_xor_b32 s41, exec_lo, s41
	s_cbranch_execz .LBB6_8126
; %bb.8123:                             ;   in Loop: Header=BB6_7543 Depth=2
	v_bfe_u32 v7, v6, 2, 5
	s_mov_b32 s42, exec_lo
	s_delay_alu instid0(VALU_DEP_1)
	v_cmpx_eq_u32_e32 0, v7
; %bb.8124:                             ;   in Loop: Header=BB6_7543 Depth=2
	v_clz_i32_u32_e32 v7, v8
	s_delay_alu instid0(VALU_DEP_1) | instskip(NEXT) | instid1(VALU_DEP_1)
	v_min_u32_e32 v7, 32, v7
	v_subrev_nc_u32_e32 v8, 29, v7
	s_delay_alu instid0(VALU_DEP_1) | instskip(NEXT) | instid1(VALU_DEP_1)
	v_lshlrev_b64_e32 v[8:9], v8, v[24:25]
	v_dual_sub_nc_u32 v7, 30, v7 :: v_dual_bitop2_b32 v8, 3, v8 bitop3:0x40
; %bb.8125:                             ;   in Loop: Header=BB6_7543 Depth=2
	s_or_b32 exec_lo, exec_lo, s42
	v_lshlrev_b32_e32 v9, 16, v50
	s_delay_alu instid0(VALU_DEP_1) | instskip(NEXT) | instid1(VALU_DEP_1)
	v_and_b32_e32 v9, 0x80000000, v9
	v_lshl_add_u32 v7, v7, 23, v9
	s_delay_alu instid0(VALU_DEP_1) | instskip(NEXT) | instid1(VALU_DEP_1)
	v_lshl_or_b32 v7, v8, 21, v7
                                        ; implicit-def: $vgpr8
	v_add_nc_u32_e32 v7, 0x38000000, v7
.LBB6_8126:                             ;   in Loop: Header=BB6_7543 Depth=2
	s_and_not1_saveexec_b32 s41, s41
; %bb.8127:                             ;   in Loop: Header=BB6_7543 Depth=2
	v_cmp_lt_i16_e32 vcc_lo, -1, v50
	v_cndmask_b32_e32 v7, 0xff800000, v75, vcc_lo
	v_cmp_eq_u32_e32 vcc_lo, 0, v8
	s_delay_alu instid0(VALU_DEP_2)
	v_cndmask_b32_e32 v7, 0x7f800001, v7, vcc_lo
; %bb.8128:                             ;   in Loop: Header=BB6_7543 Depth=2
	s_or_b32 exec_lo, exec_lo, s41
.LBB6_8129:                             ;   in Loop: Header=BB6_7543 Depth=2
	s_delay_alu instid0(SALU_CYCLE_1)
	s_or_b32 exec_lo, exec_lo, s14
.LBB6_8130:                             ;   in Loop: Header=BB6_7543 Depth=2
	s_delay_alu instid0(SALU_CYCLE_1) | instskip(NEXT) | instid1(SALU_CYCLE_1)
	s_or_b32 exec_lo, exec_lo, s10
	s_mov_b32 s10, exec_lo
	v_cmpx_ne_u16_e32 0, v0
	s_cbranch_execz .LBB6_8140
; %bb.8131:                             ;   in Loop: Header=BB6_7543 Depth=2
	v_bfrev_b32_e32 v1, 1
	s_mov_b32 s14, exec_lo
	v_cmpx_ne_u16_e32 0x80, v0
	s_cbranch_execz .LBB6_8139
; %bb.8132:                             ;   in Loop: Header=BB6_7543 Depth=2
	v_and_b32_e32 v9, 0xffff, v0
	s_delay_alu instid0(VALU_DEP_1) | instskip(SKIP_1) | instid1(VALU_DEP_2)
	v_and_b32_e32 v1, 0x7c, v9
	v_and_b32_e32 v8, 3, v9
	v_cmp_ne_u32_e32 vcc_lo, 0x7c, v1
                                        ; implicit-def: $vgpr1
	s_and_saveexec_b32 s41, vcc_lo
	s_delay_alu instid0(SALU_CYCLE_1)
	s_xor_b32 s41, exec_lo, s41
	s_cbranch_execz .LBB6_8136
; %bb.8133:                             ;   in Loop: Header=BB6_7543 Depth=2
	v_bfe_u32 v1, v9, 2, 5
	s_mov_b32 s42, exec_lo
	s_delay_alu instid0(VALU_DEP_1)
	v_cmpx_eq_u32_e32 0, v1
	s_cbranch_execz .LBB6_8135
; %bb.8134:                             ;   in Loop: Header=BB6_7543 Depth=2
	v_clz_i32_u32_e32 v1, v8
	s_delay_alu instid0(VALU_DEP_1) | instskip(SKIP_1) | instid1(VALU_DEP_2)
	v_min_u32_e32 v48, 32, v1
	v_mov_b32_e32 v1, v25
	v_subrev_nc_u32_e32 v8, 29, v48
	s_delay_alu instid0(VALU_DEP_1) | instskip(SKIP_1) | instid1(VALU_DEP_2)
	v_lshlrev_b64_e32 v[8:9], v8, v[0:1]
	v_sub_nc_u32_e32 v1, 30, v48
	v_and_b32_e32 v8, 3, v8
.LBB6_8135:                             ;   in Loop: Header=BB6_7543 Depth=2
	s_or_b32 exec_lo, exec_lo, s42
	v_lshlrev_b32_e32 v9, 16, v38
	s_delay_alu instid0(VALU_DEP_1) | instskip(NEXT) | instid1(VALU_DEP_1)
	v_and_b32_e32 v9, 0x80000000, v9
	v_lshl_add_u32 v1, v1, 23, v9
	s_delay_alu instid0(VALU_DEP_1) | instskip(NEXT) | instid1(VALU_DEP_1)
	v_lshl_or_b32 v1, v8, 21, v1
                                        ; implicit-def: $vgpr8
	v_add_nc_u32_e32 v1, 0x38000000, v1
.LBB6_8136:                             ;   in Loop: Header=BB6_7543 Depth=2
	s_and_not1_saveexec_b32 s41, s41
; %bb.8137:                             ;   in Loop: Header=BB6_7543 Depth=2
	v_cmp_lt_i16_e32 vcc_lo, -1, v38
	v_cndmask_b32_e32 v1, 0xff800000, v75, vcc_lo
	v_cmp_eq_u32_e32 vcc_lo, 0, v8
	s_delay_alu instid0(VALU_DEP_2)
	v_cndmask_b32_e32 v1, 0x7f800001, v1, vcc_lo
; %bb.8138:                             ;   in Loop: Header=BB6_7543 Depth=2
	s_or_b32 exec_lo, exec_lo, s41
.LBB6_8139:                             ;   in Loop: Header=BB6_7543 Depth=2
	s_delay_alu instid0(SALU_CYCLE_1)
	s_or_b32 exec_lo, exec_lo, s14
.LBB6_8140:                             ;   in Loop: Header=BB6_7543 Depth=2
	s_delay_alu instid0(SALU_CYCLE_1) | instskip(NEXT) | instid1(VALU_DEP_1)
	s_or_b32 exec_lo, exec_lo, s10
	v_dual_max_num_f32 v1, v1, v1 :: v_dual_max_num_f32 v7, v7, v7
	s_mov_b32 s10, 0
	s_delay_alu instid0(VALU_DEP_1)
	v_max_num_f32_e32 v1, v7, v1
.LBB6_8141:                             ;   in Loop: Header=BB6_7543 Depth=2
	s_and_b32 vcc_lo, exec_lo, s10
	s_cbranch_vccz .LBB6_8163
; %bb.8142:                             ;   in Loop: Header=BB6_7543 Depth=2
	v_dual_mov_b32 v1, 0 :: v_dual_mov_b32 v7, 0
	s_and_saveexec_b32 s10, s7
	s_cbranch_execz .LBB6_8152
; %bb.8143:                             ;   in Loop: Header=BB6_7543 Depth=2
	v_bfrev_b32_e32 v7, 1
	s_mov_b32 s7, exec_lo
	v_cmpx_ne_u16_e32 0x80, v24
	s_cbranch_execz .LBB6_8151
; %bb.8144:                             ;   in Loop: Header=BB6_7543 Depth=2
	v_and_b32_e32 v7, 0x7c, v6
	v_and_b32_e32 v8, 3, v6
	s_delay_alu instid0(VALU_DEP_2) | instskip(SKIP_1) | instid1(SALU_CYCLE_1)
	v_cmp_ne_u32_e32 vcc_lo, 0x7c, v7
                                        ; implicit-def: $vgpr7
	s_and_saveexec_b32 s14, vcc_lo
	s_xor_b32 s14, exec_lo, s14
	s_cbranch_execz .LBB6_8148
; %bb.8145:                             ;   in Loop: Header=BB6_7543 Depth=2
	v_bfe_u32 v6, v6, 2, 5
	s_mov_b32 s41, exec_lo
	s_delay_alu instid0(VALU_DEP_1)
	v_cmpx_eq_u32_e32 0, v6
; %bb.8146:                             ;   in Loop: Header=BB6_7543 Depth=2
	v_clz_i32_u32_e32 v6, v8
	s_delay_alu instid0(VALU_DEP_1) | instskip(NEXT) | instid1(VALU_DEP_1)
	v_min_u32_e32 v6, 32, v6
	v_subrev_nc_u32_e32 v7, 29, v6
	s_delay_alu instid0(VALU_DEP_1) | instskip(NEXT) | instid1(VALU_DEP_1)
	v_lshlrev_b64_e32 v[8:9], v7, v[24:25]
	v_dual_sub_nc_u32 v6, 30, v6 :: v_dual_bitop2_b32 v8, 3, v8 bitop3:0x40
; %bb.8147:                             ;   in Loop: Header=BB6_7543 Depth=2
	s_or_b32 exec_lo, exec_lo, s41
	v_lshlrev_b32_e32 v7, 16, v50
	s_delay_alu instid0(VALU_DEP_1) | instskip(NEXT) | instid1(VALU_DEP_1)
	v_and_b32_e32 v7, 0x80000000, v7
	v_lshl_add_u32 v6, v6, 23, v7
	s_delay_alu instid0(VALU_DEP_1) | instskip(NEXT) | instid1(VALU_DEP_1)
	v_lshl_or_b32 v6, v8, 21, v6
                                        ; implicit-def: $vgpr8
	v_add_nc_u32_e32 v7, 0x38000000, v6
.LBB6_8148:                             ;   in Loop: Header=BB6_7543 Depth=2
	s_and_not1_saveexec_b32 s14, s14
; %bb.8149:                             ;   in Loop: Header=BB6_7543 Depth=2
	v_cmp_lt_i16_e32 vcc_lo, -1, v50
	v_cndmask_b32_e32 v6, 0xff800000, v75, vcc_lo
	v_cmp_eq_u32_e32 vcc_lo, 0, v8
	s_delay_alu instid0(VALU_DEP_2)
	v_cndmask_b32_e32 v7, 0x7f800001, v6, vcc_lo
; %bb.8150:                             ;   in Loop: Header=BB6_7543 Depth=2
	s_or_b32 exec_lo, exec_lo, s14
.LBB6_8151:                             ;   in Loop: Header=BB6_7543 Depth=2
	s_delay_alu instid0(SALU_CYCLE_1)
	s_or_b32 exec_lo, exec_lo, s7
.LBB6_8152:                             ;   in Loop: Header=BB6_7543 Depth=2
	s_delay_alu instid0(SALU_CYCLE_1) | instskip(NEXT) | instid1(SALU_CYCLE_1)
	s_or_b32 exec_lo, exec_lo, s10
	s_mov_b32 s7, exec_lo
	v_cmpx_ne_u16_e32 0, v0
	s_cbranch_execz .LBB6_8162
; %bb.8153:                             ;   in Loop: Header=BB6_7543 Depth=2
	v_bfrev_b32_e32 v1, 1
	s_mov_b32 s10, exec_lo
	v_cmpx_ne_u16_e32 0x80, v0
	s_cbranch_execz .LBB6_8161
; %bb.8154:                             ;   in Loop: Header=BB6_7543 Depth=2
	v_and_b32_e32 v8, 0xffff, v0
	s_delay_alu instid0(VALU_DEP_1) | instskip(SKIP_1) | instid1(VALU_DEP_2)
	v_and_b32_e32 v1, 0x7c, v8
	v_and_b32_e32 v6, 3, v8
	v_cmp_ne_u32_e32 vcc_lo, 0x7c, v1
                                        ; implicit-def: $vgpr1
	s_and_saveexec_b32 s14, vcc_lo
	s_delay_alu instid0(SALU_CYCLE_1)
	s_xor_b32 s14, exec_lo, s14
	s_cbranch_execz .LBB6_8158
; %bb.8155:                             ;   in Loop: Header=BB6_7543 Depth=2
	v_bfe_u32 v1, v8, 2, 5
	s_mov_b32 s41, exec_lo
	s_delay_alu instid0(VALU_DEP_1)
	v_cmpx_eq_u32_e32 0, v1
; %bb.8156:                             ;   in Loop: Header=BB6_7543 Depth=2
	v_clz_i32_u32_e32 v1, v6
	s_delay_alu instid0(VALU_DEP_1) | instskip(SKIP_1) | instid1(VALU_DEP_2)
	v_min_u32_e32 v6, 32, v1
	v_mov_b32_e32 v1, v25
	v_subrev_nc_u32_e32 v8, 29, v6
	s_delay_alu instid0(VALU_DEP_1) | instskip(NEXT) | instid1(VALU_DEP_1)
	v_lshlrev_b64_e32 v[0:1], v8, v[0:1]
	v_dual_sub_nc_u32 v1, 30, v6 :: v_dual_bitop2_b32 v6, 3, v0 bitop3:0x40
; %bb.8157:                             ;   in Loop: Header=BB6_7543 Depth=2
	s_or_b32 exec_lo, exec_lo, s41
	v_lshlrev_b32_e32 v0, 16, v38
	s_delay_alu instid0(VALU_DEP_1) | instskip(NEXT) | instid1(VALU_DEP_1)
	v_and_b32_e32 v0, 0x80000000, v0
	v_lshl_add_u32 v0, v1, 23, v0
	s_delay_alu instid0(VALU_DEP_1) | instskip(NEXT) | instid1(VALU_DEP_1)
	v_lshl_or_b32 v0, v6, 21, v0
                                        ; implicit-def: $vgpr6
	v_add_nc_u32_e32 v1, 0x38000000, v0
.LBB6_8158:                             ;   in Loop: Header=BB6_7543 Depth=2
	s_and_not1_saveexec_b32 s14, s14
; %bb.8159:                             ;   in Loop: Header=BB6_7543 Depth=2
	v_cmp_lt_i16_e32 vcc_lo, -1, v38
	v_cndmask_b32_e32 v0, 0xff800000, v75, vcc_lo
	v_cmp_eq_u32_e32 vcc_lo, 0, v6
	s_delay_alu instid0(VALU_DEP_2)
	v_cndmask_b32_e32 v1, 0x7f800001, v0, vcc_lo
; %bb.8160:                             ;   in Loop: Header=BB6_7543 Depth=2
	s_or_b32 exec_lo, exec_lo, s14
.LBB6_8161:                             ;   in Loop: Header=BB6_7543 Depth=2
	s_delay_alu instid0(SALU_CYCLE_1)
	s_or_b32 exec_lo, exec_lo, s10
.LBB6_8162:                             ;   in Loop: Header=BB6_7543 Depth=2
	s_delay_alu instid0(SALU_CYCLE_1) | instskip(NEXT) | instid1(VALU_DEP_1)
	s_or_b32 exec_lo, exec_lo, s7
	v_dual_max_num_f32 v0, v1, v1 :: v_dual_max_num_f32 v1, v7, v7
	s_delay_alu instid0(VALU_DEP_1)
	v_min_num_f32_e32 v1, v1, v0
.LBB6_8163:                             ;   in Loop: Header=BB6_7543 Depth=2
	s_delay_alu instid0(VALU_DEP_1) | instskip(SKIP_3) | instid1(VALU_DEP_2)
	v_and_b32_e32 v6, 0x7f800000, v1
	v_dual_mov_b32 v7, v25 :: v_dual_lshrrev_b32 v0, 24, v1
	v_and_b32_e32 v24, 0x7fffff, v1
                                        ; implicit-def: $vgpr48
	s_mov_b32 s7, exec_lo
	v_cmpx_ne_u64_e32 0x7f800000, v[6:7]
	s_xor_b32 s10, exec_lo, s7
	s_cbranch_execz .LBB6_8177
; %bb.8164:                             ;   in Loop: Header=BB6_7543 Depth=2
	v_and_b32_e32 v6, 0x7fffffff, v1
	v_mov_b32_e32 v7, v25
	v_and_b32_e32 v8, 0x80, v0
                                        ; implicit-def: $vgpr48
	s_mov_b32 s7, exec_lo
	s_delay_alu instid0(VALU_DEP_2)
	v_cmpx_gt_u64_e32 0x47600001, v[6:7]
	s_xor_b32 s14, exec_lo, s7
	s_cbranch_execz .LBB6_8174
; %bb.8165:                             ;   in Loop: Header=BB6_7543 Depth=2
	v_mov_b32_e32 v48, 0
	s_mov_b32 s41, exec_lo
	v_cmpx_ne_u32_e32 0, v1
	s_cbranch_execz .LBB6_8173
; %bb.8166:                             ;   in Loop: Header=BB6_7543 Depth=2
	v_bfe_u32 v9, v1, 23, 8
	v_or_b32_e32 v6, 0x800000, v24
	s_delay_alu instid0(VALU_DEP_2) | instskip(SKIP_1) | instid1(VALU_DEP_2)
	v_sub_nc_u32_e32 v0, 0x71, v9
	v_cmp_gt_u32_e32 vcc_lo, 0x72, v9
	v_cndmask_b32_e32 v0, 0, v0, vcc_lo
	v_cmp_eq_u32_e32 vcc_lo, 0, v9
	s_delay_alu instid0(VALU_DEP_2) | instskip(SKIP_1) | instid1(VALU_DEP_2)
	v_cndmask_b32_e64 v48, v0, 0x70, vcc_lo
	v_cndmask_b32_e32 v24, v6, v24, vcc_lo
	v_dual_add_nc_u32 v0, 21, v48 :: v_dual_add_nc_u32 v7, 20, v48
	s_delay_alu instid0(VALU_DEP_1) | instskip(NEXT) | instid1(VALU_DEP_2)
	v_lshlrev_b64_e64 v[0:1], v0, -1
	v_lshlrev_b64_e64 v[6:7], v7, 1
	s_delay_alu instid0(VALU_DEP_2) | instskip(NEXT) | instid1(VALU_DEP_3)
	v_bfi_b32 v65, v1, 0, 0
	v_bfi_b32 v64, v0, 0, v24
	v_lshrrev_b64 v[0:1], v48, v[24:25]
	s_delay_alu instid0(VALU_DEP_2) | instskip(NEXT) | instid1(VALU_DEP_2)
	v_cmp_eq_u64_e64 s7, v[64:65], v[6:7]
	v_mov_b64_e32 v[6:7], v[0:1]
	s_and_saveexec_b32 s42, s7
; %bb.8167:                             ;   in Loop: Header=BB6_7543 Depth=2
	v_bfe_u32 v24, v0, 21, 1
	s_delay_alu instid0(VALU_DEP_1) | instskip(NEXT) | instid1(VALU_DEP_1)
	v_add_nc_u64_e32 v[6:7], v[0:1], v[24:25]
	v_add_nc_u64_e32 v[6:7], -1, v[6:7]
; %bb.8168:                             ;   in Loop: Header=BB6_7543 Depth=2
	s_or_b32 exec_lo, exec_lo, s42
	v_add_nc_u32_e32 v1, 0xffffff81, v9
	v_lshrrev_b32_e32 v7, 23, v0
	s_mov_b32 s7, exec_lo
	s_delay_alu instid0(VALU_DEP_2) | instskip(NEXT) | instid1(VALU_DEP_1)
	v_cndmask_b32_e64 v1, v1, 0xffffff82, vcc_lo
	v_add3_u32 v7, v48, v1, v7
	v_and_b32_e32 v1, 0x1fffff, v6
                                        ; implicit-def: $vgpr6
	s_delay_alu instid0(VALU_DEP_1) | instskip(NEXT) | instid1(VALU_DEP_1)
	v_dual_add_nc_u32 v9, 14, v7 :: v_dual_add_nc_u32 v24, v1, v0
                                        ; implicit-def: $vgpr0_vgpr1
	v_cmpx_ne_u32_e32 0, v9
	s_xor_b32 s7, exec_lo, s7
; %bb.8169:                             ;   in Loop: Header=BB6_7543 Depth=2
	s_delay_alu instid0(VALU_DEP_2) | instskip(SKIP_1) | instid1(VALU_DEP_1)
	v_cmp_lt_u64_e32 vcc_lo, 0xffffff, v[24:25]
	v_add_nc_u32_e32 v0, 15, v7
	v_cndmask_b32_e32 v6, v9, v0, vcc_lo
	v_cndmask_b32_e64 v0, 0, 1, vcc_lo
	s_delay_alu instid0(VALU_DEP_1)
	v_lshrrev_b64 v[0:1], v0, v[24:25]
; %bb.8170:                             ;   in Loop: Header=BB6_7543 Depth=2
	s_and_not1_saveexec_b32 s7, s7
; %bb.8171:                             ;   in Loop: Header=BB6_7543 Depth=2
	v_mov_b64_e32 v[0:1], v[24:25]
	v_bfe_u32 v6, v24, 23, 1
; %bb.8172:                             ;   in Loop: Header=BB6_7543 Depth=2
	s_or_b32 exec_lo, exec_lo, s7
	s_delay_alu instid0(VALU_DEP_2) | instskip(NEXT) | instid1(VALU_DEP_2)
	v_lshrrev_b64 v[0:1], 21, v[0:1]
	v_cmp_gt_i32_e32 vcc_lo, 32, v6
	v_min_i32_e32 v7, 31, v6
	v_cmp_eq_u32_e64 s7, 0, v6
	s_delay_alu instid0(VALU_DEP_2) | instskip(SKIP_1) | instid1(VALU_DEP_2)
	v_dual_cndmask_b32 v1, 0, v1, vcc_lo :: v_dual_lshlrev_b32 v7, 2, v7
	v_cndmask_b32_e32 v0, 3, v0, vcc_lo
	v_and_b32_e32 v7, 0xfc, v7
	s_delay_alu instid0(VALU_DEP_2) | instskip(NEXT) | instid1(VALU_DEP_2)
	v_cmp_eq_u64_e32 vcc_lo, 0, v[0:1]
	v_and_or_b32 v0, v0, 3, v7
	s_and_b32 s7, s7, vcc_lo
	s_delay_alu instid0(VALU_DEP_1) | instid1(SALU_CYCLE_1)
	v_cndmask_b32_e64 v0, v0, 0, s7
	s_delay_alu instid0(VALU_DEP_1)
	v_or_b32_e32 v48, v0, v8
.LBB6_8173:                             ;   in Loop: Header=BB6_7543 Depth=2
	s_or_b32 exec_lo, exec_lo, s41
                                        ; implicit-def: $vgpr8
.LBB6_8174:                             ;   in Loop: Header=BB6_7543 Depth=2
	s_and_not1_saveexec_b32 s7, s14
; %bb.8175:                             ;   in Loop: Header=BB6_7543 Depth=2
	v_or_b32_e32 v48, 0x7b, v8
; %bb.8176:                             ;   in Loop: Header=BB6_7543 Depth=2
	s_or_b32 exec_lo, exec_lo, s7
                                        ; implicit-def: $vgpr1
                                        ; implicit-def: $vgpr0
.LBB6_8177:                             ;   in Loop: Header=BB6_7543 Depth=2
	s_and_not1_saveexec_b32 s7, s10
	s_cbranch_execz .LBB6_8183
; %bb.8178:                             ;   in Loop: Header=BB6_7543 Depth=2
	s_mov_b32 s10, exec_lo
                                        ; implicit-def: $vgpr48
	v_cmpx_ne_u64_e32 0, v[24:25]
	s_xor_b32 s10, exec_lo, s10
; %bb.8179:                             ;   in Loop: Header=BB6_7543 Depth=2
	v_or_b32_e32 v48, 0x7f, v0
                                        ; implicit-def: $vgpr1
; %bb.8180:                             ;   in Loop: Header=BB6_7543 Depth=2
	s_and_not1_saveexec_b32 s10, s10
; %bb.8181:                             ;   in Loop: Header=BB6_7543 Depth=2
	v_cmp_lt_i32_e32 vcc_lo, -1, v1
	v_cndmask_b32_e32 v48, 0xfc, v41, vcc_lo
; %bb.8182:                             ;   in Loop: Header=BB6_7543 Depth=2
	s_or_b32 exec_lo, exec_lo, s10
.LBB6_8183:                             ;   in Loop: Header=BB6_7543 Depth=2
	s_delay_alu instid0(SALU_CYCLE_1) | instskip(SKIP_4) | instid1(VALU_DEP_2)
	s_or_b32 exec_lo, exec_lo, s7
	v_lshrrev_b32_e32 v6, 16, v50
	v_lshrrev_b32_e32 v0, 16, v38
	s_and_b32 vcc_lo, exec_lo, s13
	s_mov_b32 s10, -1
                                        ; implicit-def: $vgpr7
	v_and_b32_e32 v1, 0xff, v6
	s_delay_alu instid0(VALU_DEP_1)
	v_cmp_ne_u16_e64 s7, 0, v1
	s_cbranch_vccz .LBB6_8205
; %bb.8184:                             ;   in Loop: Header=BB6_7543 Depth=2
	v_dual_mov_b32 v8, 0 :: v_dual_mov_b32 v7, 0
	s_and_saveexec_b32 s10, s7
	s_cbranch_execz .LBB6_8194
; %bb.8185:                             ;   in Loop: Header=BB6_7543 Depth=2
	v_bfrev_b32_e32 v7, 1
	s_mov_b32 s14, exec_lo
	v_cmpx_ne_u16_e32 0x80, v1
	s_cbranch_execz .LBB6_8193
; %bb.8186:                             ;   in Loop: Header=BB6_7543 Depth=2
	v_and_b32_e32 v7, 0x7c0000, v50
	v_bfe_u32 v9, v50, 16, 2
	s_delay_alu instid0(VALU_DEP_2) | instskip(SKIP_1) | instid1(SALU_CYCLE_1)
	v_cmp_ne_u32_e32 vcc_lo, 0x7c0000, v7
                                        ; implicit-def: $vgpr7
	s_and_saveexec_b32 s41, vcc_lo
	s_xor_b32 s41, exec_lo, s41
	s_cbranch_execz .LBB6_8190
; %bb.8187:                             ;   in Loop: Header=BB6_7543 Depth=2
	v_bfe_u32 v7, v50, 18, 5
	s_mov_b32 s42, exec_lo
	s_delay_alu instid0(VALU_DEP_1)
	v_cmpx_eq_u32_e32 0, v7
; %bb.8188:                             ;   in Loop: Header=BB6_7543 Depth=2
	v_clz_i32_u32_e32 v7, v9
	s_delay_alu instid0(VALU_DEP_1) | instskip(NEXT) | instid1(VALU_DEP_1)
	v_min_u32_e32 v7, 32, v7
	v_subrev_nc_u32_e32 v9, 29, v7
	s_delay_alu instid0(VALU_DEP_1) | instskip(NEXT) | instid1(VALU_DEP_1)
	v_lshlrev_b64_e32 v[64:65], v9, v[6:7]
	v_dual_sub_nc_u32 v7, 30, v7 :: v_dual_bitop2_b32 v9, 3, v64 bitop3:0x40
; %bb.8189:                             ;   in Loop: Header=BB6_7543 Depth=2
	s_or_b32 exec_lo, exec_lo, s42
	v_lshlrev_b32_e32 v24, 24, v6
	s_delay_alu instid0(VALU_DEP_1) | instskip(NEXT) | instid1(VALU_DEP_1)
	v_and_b32_e32 v24, 0x80000000, v24
	v_lshl_add_u32 v7, v7, 23, v24
	s_delay_alu instid0(VALU_DEP_1) | instskip(NEXT) | instid1(VALU_DEP_1)
	v_lshl_or_b32 v7, v9, 21, v7
                                        ; implicit-def: $vgpr9
	v_add_nc_u32_e32 v7, 0x38000000, v7
.LBB6_8190:                             ;   in Loop: Header=BB6_7543 Depth=2
	s_and_not1_saveexec_b32 s41, s41
; %bb.8191:                             ;   in Loop: Header=BB6_7543 Depth=2
	v_bfe_i32 v7, v6, 0, 8
	s_delay_alu instid0(VALU_DEP_1) | instskip(SKIP_2) | instid1(VALU_DEP_2)
	v_cmp_lt_i16_e32 vcc_lo, -1, v7
	v_cndmask_b32_e32 v7, 0xff800000, v75, vcc_lo
	v_cmp_eq_u32_e32 vcc_lo, 0, v9
	v_cndmask_b32_e32 v7, 0x7f800001, v7, vcc_lo
; %bb.8192:                             ;   in Loop: Header=BB6_7543 Depth=2
	s_or_b32 exec_lo, exec_lo, s41
.LBB6_8193:                             ;   in Loop: Header=BB6_7543 Depth=2
	s_delay_alu instid0(SALU_CYCLE_1)
	s_or_b32 exec_lo, exec_lo, s14
.LBB6_8194:                             ;   in Loop: Header=BB6_7543 Depth=2
	s_delay_alu instid0(SALU_CYCLE_1) | instskip(SKIP_2) | instid1(VALU_DEP_1)
	s_or_b32 exec_lo, exec_lo, s10
	v_and_b32_e32 v9, 0xff, v0
	s_mov_b32 s10, exec_lo
	v_cmpx_ne_u16_e32 0, v9
	s_cbranch_execz .LBB6_8204
; %bb.8195:                             ;   in Loop: Header=BB6_7543 Depth=2
	v_bfrev_b32_e32 v8, 1
	s_mov_b32 s14, exec_lo
	v_cmpx_ne_u16_e32 0x80, v9
	s_cbranch_execz .LBB6_8203
; %bb.8196:                             ;   in Loop: Header=BB6_7543 Depth=2
	v_and_b32_e32 v8, 0x7c0000, v38
	v_bfe_u32 v9, v38, 16, 2
	s_delay_alu instid0(VALU_DEP_2) | instskip(SKIP_1) | instid1(SALU_CYCLE_1)
	v_cmp_ne_u32_e32 vcc_lo, 0x7c0000, v8
                                        ; implicit-def: $vgpr8
	s_and_saveexec_b32 s41, vcc_lo
	s_xor_b32 s41, exec_lo, s41
	s_cbranch_execz .LBB6_8200
; %bb.8197:                             ;   in Loop: Header=BB6_7543 Depth=2
	v_bfe_u32 v8, v38, 18, 5
	s_mov_b32 s42, exec_lo
	s_delay_alu instid0(VALU_DEP_1)
	v_cmpx_eq_u32_e32 0, v8
; %bb.8198:                             ;   in Loop: Header=BB6_7543 Depth=2
	v_clz_i32_u32_e32 v8, v9
	s_delay_alu instid0(VALU_DEP_1) | instskip(NEXT) | instid1(VALU_DEP_1)
	v_min_u32_e32 v8, 32, v8
	v_subrev_nc_u32_e32 v9, 29, v8
	v_sub_nc_u32_e32 v8, 30, v8
	s_delay_alu instid0(VALU_DEP_2) | instskip(NEXT) | instid1(VALU_DEP_1)
	v_lshlrev_b64_e32 v[64:65], v9, v[0:1]
	v_and_b32_e32 v9, 3, v64
; %bb.8199:                             ;   in Loop: Header=BB6_7543 Depth=2
	s_or_b32 exec_lo, exec_lo, s42
	v_lshlrev_b32_e32 v24, 24, v0
	s_delay_alu instid0(VALU_DEP_1) | instskip(NEXT) | instid1(VALU_DEP_1)
	v_and_b32_e32 v24, 0x80000000, v24
	v_lshl_add_u32 v8, v8, 23, v24
	s_delay_alu instid0(VALU_DEP_1) | instskip(NEXT) | instid1(VALU_DEP_1)
	v_lshl_or_b32 v8, v9, 21, v8
                                        ; implicit-def: $vgpr9
	v_add_nc_u32_e32 v8, 0x38000000, v8
.LBB6_8200:                             ;   in Loop: Header=BB6_7543 Depth=2
	s_and_not1_saveexec_b32 s41, s41
; %bb.8201:                             ;   in Loop: Header=BB6_7543 Depth=2
	v_bfe_i32 v8, v0, 0, 8
	s_delay_alu instid0(VALU_DEP_1) | instskip(SKIP_2) | instid1(VALU_DEP_2)
	v_cmp_lt_i16_e32 vcc_lo, -1, v8
	v_cndmask_b32_e32 v8, 0xff800000, v75, vcc_lo
	v_cmp_eq_u32_e32 vcc_lo, 0, v9
	v_cndmask_b32_e32 v8, 0x7f800001, v8, vcc_lo
; %bb.8202:                             ;   in Loop: Header=BB6_7543 Depth=2
	s_or_b32 exec_lo, exec_lo, s41
.LBB6_8203:                             ;   in Loop: Header=BB6_7543 Depth=2
	s_delay_alu instid0(SALU_CYCLE_1)
	s_or_b32 exec_lo, exec_lo, s14
.LBB6_8204:                             ;   in Loop: Header=BB6_7543 Depth=2
	s_delay_alu instid0(SALU_CYCLE_1) | instskip(NEXT) | instid1(VALU_DEP_1)
	s_or_b32 exec_lo, exec_lo, s10
	v_dual_max_num_f32 v8, v8, v8 :: v_dual_max_num_f32 v7, v7, v7
	s_mov_b32 s10, 0
	s_delay_alu instid0(VALU_DEP_1)
	v_max_num_f32_e32 v7, v7, v8
.LBB6_8205:                             ;   in Loop: Header=BB6_7543 Depth=2
	s_and_b32 vcc_lo, exec_lo, s10
	s_cbranch_vccz .LBB6_8227
; %bb.8206:                             ;   in Loop: Header=BB6_7543 Depth=2
	v_dual_mov_b32 v8, 0 :: v_dual_mov_b32 v7, 0
	s_and_saveexec_b32 s10, s7
	s_cbranch_execz .LBB6_8216
; %bb.8207:                             ;   in Loop: Header=BB6_7543 Depth=2
	v_bfrev_b32_e32 v7, 1
	s_mov_b32 s7, exec_lo
	v_cmpx_ne_u16_e32 0x80, v1
	s_cbranch_execz .LBB6_8215
; %bb.8208:                             ;   in Loop: Header=BB6_7543 Depth=2
	v_and_b32_e32 v7, 0x7c0000, v50
	v_bfe_u32 v1, v50, 16, 2
	s_delay_alu instid0(VALU_DEP_2) | instskip(SKIP_1) | instid1(SALU_CYCLE_1)
	v_cmp_ne_u32_e32 vcc_lo, 0x7c0000, v7
                                        ; implicit-def: $vgpr7
	s_and_saveexec_b32 s14, vcc_lo
	s_xor_b32 s14, exec_lo, s14
	s_cbranch_execz .LBB6_8212
; %bb.8209:                             ;   in Loop: Header=BB6_7543 Depth=2
	v_bfe_u32 v7, v50, 18, 5
	s_mov_b32 s41, exec_lo
	s_delay_alu instid0(VALU_DEP_1)
	v_cmpx_eq_u32_e32 0, v7
; %bb.8210:                             ;   in Loop: Header=BB6_7543 Depth=2
	v_clz_i32_u32_e32 v1, v1
	s_delay_alu instid0(VALU_DEP_1) | instskip(NEXT) | instid1(VALU_DEP_1)
	v_min_u32_e32 v1, 32, v1
	v_subrev_nc_u32_e32 v7, 29, v1
	s_delay_alu instid0(VALU_DEP_1) | instskip(NEXT) | instid1(VALU_DEP_1)
	v_lshlrev_b64_e32 v[64:65], v7, v[6:7]
	v_dual_sub_nc_u32 v7, 30, v1 :: v_dual_bitop2_b32 v1, 3, v64 bitop3:0x40
; %bb.8211:                             ;   in Loop: Header=BB6_7543 Depth=2
	s_or_b32 exec_lo, exec_lo, s41
	v_lshlrev_b32_e32 v6, 24, v6
	s_delay_alu instid0(VALU_DEP_1) | instskip(NEXT) | instid1(VALU_DEP_1)
	v_and_b32_e32 v6, 0x80000000, v6
	v_lshl_add_u32 v6, v7, 23, v6
	s_delay_alu instid0(VALU_DEP_1) | instskip(NEXT) | instid1(VALU_DEP_1)
	v_lshl_or_b32 v1, v1, 21, v6
                                        ; implicit-def: $vgpr6
	v_add_nc_u32_e32 v7, 0x38000000, v1
                                        ; implicit-def: $vgpr1
.LBB6_8212:                             ;   in Loop: Header=BB6_7543 Depth=2
	s_and_not1_saveexec_b32 s14, s14
; %bb.8213:                             ;   in Loop: Header=BB6_7543 Depth=2
	v_bfe_i32 v6, v6, 0, 8
	s_delay_alu instid0(VALU_DEP_1) | instskip(SKIP_2) | instid1(VALU_DEP_2)
	v_cmp_lt_i16_e32 vcc_lo, -1, v6
	v_cndmask_b32_e32 v6, 0xff800000, v75, vcc_lo
	v_cmp_eq_u32_e32 vcc_lo, 0, v1
	v_cndmask_b32_e32 v7, 0x7f800001, v6, vcc_lo
; %bb.8214:                             ;   in Loop: Header=BB6_7543 Depth=2
	s_or_b32 exec_lo, exec_lo, s14
.LBB6_8215:                             ;   in Loop: Header=BB6_7543 Depth=2
	s_delay_alu instid0(SALU_CYCLE_1)
	s_or_b32 exec_lo, exec_lo, s7
.LBB6_8216:                             ;   in Loop: Header=BB6_7543 Depth=2
	s_delay_alu instid0(SALU_CYCLE_1) | instskip(SKIP_2) | instid1(VALU_DEP_1)
	s_or_b32 exec_lo, exec_lo, s10
	v_and_b32_e32 v1, 0xff, v0
	s_mov_b32 s7, exec_lo
	v_cmpx_ne_u16_e32 0, v1
	s_cbranch_execz .LBB6_8226
; %bb.8217:                             ;   in Loop: Header=BB6_7543 Depth=2
	v_bfrev_b32_e32 v8, 1
	s_mov_b32 s10, exec_lo
	v_cmpx_ne_u16_e32 0x80, v1
	s_cbranch_execz .LBB6_8225
; %bb.8218:                             ;   in Loop: Header=BB6_7543 Depth=2
	v_and_b32_e32 v6, 0x7c0000, v38
	v_bfe_u32 v1, v38, 16, 2
	s_mov_b32 s14, exec_lo
                                        ; implicit-def: $vgpr8
	s_delay_alu instid0(VALU_DEP_2)
	v_cmpx_ne_u32_e32 0x7c0000, v6
	s_xor_b32 s14, exec_lo, s14
	s_cbranch_execz .LBB6_8222
; %bb.8219:                             ;   in Loop: Header=BB6_7543 Depth=2
	v_bfe_u32 v6, v38, 18, 5
	s_mov_b32 s41, exec_lo
	s_delay_alu instid0(VALU_DEP_1)
	v_cmpx_eq_u32_e32 0, v6
; %bb.8220:                             ;   in Loop: Header=BB6_7543 Depth=2
	v_clz_i32_u32_e32 v1, v1
	s_delay_alu instid0(VALU_DEP_1) | instskip(NEXT) | instid1(VALU_DEP_1)
	v_min_u32_e32 v1, 32, v1
	v_subrev_nc_u32_e32 v6, 29, v1
	s_delay_alu instid0(VALU_DEP_1) | instskip(NEXT) | instid1(VALU_DEP_1)
	v_lshlrev_b64_e32 v[8:9], v6, v[0:1]
	v_dual_sub_nc_u32 v6, 30, v1 :: v_dual_bitop2_b32 v1, 3, v8 bitop3:0x40
; %bb.8221:                             ;   in Loop: Header=BB6_7543 Depth=2
	s_or_b32 exec_lo, exec_lo, s41
	v_lshlrev_b32_e32 v0, 24, v0
	s_delay_alu instid0(VALU_DEP_1) | instskip(NEXT) | instid1(VALU_DEP_1)
	v_and_b32_e32 v0, 0x80000000, v0
	v_lshl_add_u32 v0, v6, 23, v0
	s_delay_alu instid0(VALU_DEP_1) | instskip(NEXT) | instid1(VALU_DEP_1)
	v_lshl_or_b32 v0, v1, 21, v0
                                        ; implicit-def: $vgpr1
	v_add_nc_u32_e32 v8, 0x38000000, v0
                                        ; implicit-def: $vgpr0
.LBB6_8222:                             ;   in Loop: Header=BB6_7543 Depth=2
	s_and_not1_saveexec_b32 s14, s14
; %bb.8223:                             ;   in Loop: Header=BB6_7543 Depth=2
	v_bfe_i32 v0, v0, 0, 8
	s_delay_alu instid0(VALU_DEP_1) | instskip(SKIP_2) | instid1(VALU_DEP_2)
	v_cmp_lt_i16_e32 vcc_lo, -1, v0
	v_cndmask_b32_e32 v0, 0xff800000, v75, vcc_lo
	v_cmp_eq_u32_e32 vcc_lo, 0, v1
	v_cndmask_b32_e32 v8, 0x7f800001, v0, vcc_lo
; %bb.8224:                             ;   in Loop: Header=BB6_7543 Depth=2
	s_or_b32 exec_lo, exec_lo, s14
.LBB6_8225:                             ;   in Loop: Header=BB6_7543 Depth=2
	s_delay_alu instid0(SALU_CYCLE_1)
	s_or_b32 exec_lo, exec_lo, s10
.LBB6_8226:                             ;   in Loop: Header=BB6_7543 Depth=2
	s_delay_alu instid0(SALU_CYCLE_1) | instskip(NEXT) | instid1(VALU_DEP_1)
	s_or_b32 exec_lo, exec_lo, s7
	v_dual_max_num_f32 v0, v8, v8 :: v_dual_max_num_f32 v1, v7, v7
	s_delay_alu instid0(VALU_DEP_1)
	v_min_num_f32_e32 v7, v1, v0
.LBB6_8227:                             ;   in Loop: Header=BB6_7543 Depth=2
	s_delay_alu instid0(VALU_DEP_1) | instskip(SKIP_2) | instid1(VALU_DEP_2)
	v_and_b32_e32 v0, 0x7f800000, v7
	v_mov_b32_e32 v1, v25
	v_and_b32_e32 v24, 0x7fffff, v7
                                        ; implicit-def: $vgpr49
	v_cmp_ne_u64_e32 vcc_lo, 0x7f800000, v[0:1]
	v_lshrrev_b32_e32 v0, 24, v7
	s_and_saveexec_b32 s7, vcc_lo
	s_delay_alu instid0(SALU_CYCLE_1)
	s_xor_b32 s10, exec_lo, s7
	s_cbranch_execz .LBB6_8241
; %bb.8228:                             ;   in Loop: Header=BB6_7543 Depth=2
	v_and_b32_e32 v8, 0x7fffffff, v7
	v_mov_b32_e32 v9, v25
                                        ; implicit-def: $vgpr49
	s_delay_alu instid0(VALU_DEP_1) | instskip(SKIP_2) | instid1(SALU_CYCLE_1)
	v_cmp_gt_u64_e32 vcc_lo, 0x47600001, v[8:9]
	v_and_b32_e32 v8, 0x80, v0
	s_and_saveexec_b32 s7, vcc_lo
	s_xor_b32 s14, exec_lo, s7
	s_cbranch_execz .LBB6_8238
; %bb.8229:                             ;   in Loop: Header=BB6_7543 Depth=2
	v_mov_b32_e32 v49, 0
	s_mov_b32 s41, exec_lo
	v_cmpx_ne_u32_e32 0, v7
	s_cbranch_execz .LBB6_8237
; %bb.8230:                             ;   in Loop: Header=BB6_7543 Depth=2
	v_bfe_u32 v9, v7, 23, 8
	v_or_b32_e32 v6, 0x800000, v24
	s_delay_alu instid0(VALU_DEP_2) | instskip(SKIP_1) | instid1(VALU_DEP_2)
	v_sub_nc_u32_e32 v0, 0x71, v9
	v_cmp_gt_u32_e32 vcc_lo, 0x72, v9
	v_cndmask_b32_e32 v0, 0, v0, vcc_lo
	v_cmp_eq_u32_e32 vcc_lo, 0, v9
	s_delay_alu instid0(VALU_DEP_2) | instskip(NEXT) | instid1(VALU_DEP_1)
	v_cndmask_b32_e64 v49, v0, 0x70, vcc_lo
	v_dual_cndmask_b32 v24, v6, v24, vcc_lo :: v_dual_add_nc_u32 v0, 21, v49
	v_add_nc_u32_e32 v7, 20, v49
	s_delay_alu instid0(VALU_DEP_2) | instskip(NEXT) | instid1(VALU_DEP_2)
	v_lshlrev_b64_e64 v[0:1], v0, -1
	v_lshlrev_b64_e64 v[6:7], v7, 1
	s_delay_alu instid0(VALU_DEP_2) | instskip(NEXT) | instid1(VALU_DEP_3)
	v_bfi_b32 v65, v1, 0, 0
	v_bfi_b32 v64, v0, 0, v24
	v_lshrrev_b64 v[0:1], v49, v[24:25]
	s_delay_alu instid0(VALU_DEP_2) | instskip(NEXT) | instid1(VALU_DEP_2)
	v_cmp_eq_u64_e64 s7, v[64:65], v[6:7]
	v_mov_b64_e32 v[6:7], v[0:1]
	s_and_saveexec_b32 s42, s7
; %bb.8231:                             ;   in Loop: Header=BB6_7543 Depth=2
	v_bfe_u32 v24, v0, 21, 1
	s_delay_alu instid0(VALU_DEP_1) | instskip(NEXT) | instid1(VALU_DEP_1)
	v_add_nc_u64_e32 v[6:7], v[0:1], v[24:25]
	v_add_nc_u64_e32 v[6:7], -1, v[6:7]
; %bb.8232:                             ;   in Loop: Header=BB6_7543 Depth=2
	s_or_b32 exec_lo, exec_lo, s42
	v_add_nc_u32_e32 v1, 0xffffff81, v9
	v_lshrrev_b32_e32 v7, 23, v0
	s_mov_b32 s7, exec_lo
	s_delay_alu instid0(VALU_DEP_2) | instskip(NEXT) | instid1(VALU_DEP_1)
	v_cndmask_b32_e64 v1, v1, 0xffffff82, vcc_lo
	v_add3_u32 v7, v49, v1, v7
	v_and_b32_e32 v1, 0x1fffff, v6
                                        ; implicit-def: $vgpr6
	s_delay_alu instid0(VALU_DEP_1) | instskip(NEXT) | instid1(VALU_DEP_1)
	v_dual_add_nc_u32 v9, 14, v7 :: v_dual_add_nc_u32 v24, v1, v0
                                        ; implicit-def: $vgpr0_vgpr1
	v_cmpx_ne_u32_e32 0, v9
	s_xor_b32 s7, exec_lo, s7
; %bb.8233:                             ;   in Loop: Header=BB6_7543 Depth=2
	s_delay_alu instid0(VALU_DEP_2) | instskip(SKIP_1) | instid1(VALU_DEP_1)
	v_cmp_lt_u64_e32 vcc_lo, 0xffffff, v[24:25]
	v_add_nc_u32_e32 v0, 15, v7
	v_cndmask_b32_e32 v6, v9, v0, vcc_lo
	v_cndmask_b32_e64 v0, 0, 1, vcc_lo
	s_delay_alu instid0(VALU_DEP_1)
	v_lshrrev_b64 v[0:1], v0, v[24:25]
; %bb.8234:                             ;   in Loop: Header=BB6_7543 Depth=2
	s_and_not1_saveexec_b32 s7, s7
; %bb.8235:                             ;   in Loop: Header=BB6_7543 Depth=2
	v_mov_b64_e32 v[0:1], v[24:25]
	v_bfe_u32 v6, v24, 23, 1
; %bb.8236:                             ;   in Loop: Header=BB6_7543 Depth=2
	s_or_b32 exec_lo, exec_lo, s7
	s_delay_alu instid0(VALU_DEP_2) | instskip(NEXT) | instid1(VALU_DEP_2)
	v_lshrrev_b64 v[0:1], 21, v[0:1]
	v_cmp_gt_i32_e32 vcc_lo, 32, v6
	v_min_i32_e32 v7, 31, v6
	v_cmp_eq_u32_e64 s7, 0, v6
	s_delay_alu instid0(VALU_DEP_2) | instskip(SKIP_1) | instid1(VALU_DEP_2)
	v_dual_cndmask_b32 v1, 0, v1, vcc_lo :: v_dual_lshlrev_b32 v7, 2, v7
	v_cndmask_b32_e32 v0, 3, v0, vcc_lo
	v_and_b32_e32 v7, 0xfc, v7
	s_delay_alu instid0(VALU_DEP_2) | instskip(NEXT) | instid1(VALU_DEP_2)
	v_cmp_eq_u64_e32 vcc_lo, 0, v[0:1]
	v_and_or_b32 v0, v0, 3, v7
	s_and_b32 s7, s7, vcc_lo
	s_delay_alu instid0(VALU_DEP_1) | instid1(SALU_CYCLE_1)
	v_cndmask_b32_e64 v0, v0, 0, s7
	s_delay_alu instid0(VALU_DEP_1)
	v_or_b32_e32 v49, v0, v8
.LBB6_8237:                             ;   in Loop: Header=BB6_7543 Depth=2
	s_or_b32 exec_lo, exec_lo, s41
                                        ; implicit-def: $vgpr8
.LBB6_8238:                             ;   in Loop: Header=BB6_7543 Depth=2
	s_and_not1_saveexec_b32 s7, s14
; %bb.8239:                             ;   in Loop: Header=BB6_7543 Depth=2
	v_or_b32_e32 v49, 0x7b, v8
; %bb.8240:                             ;   in Loop: Header=BB6_7543 Depth=2
	s_or_b32 exec_lo, exec_lo, s7
                                        ; implicit-def: $vgpr7
                                        ; implicit-def: $vgpr0
.LBB6_8241:                             ;   in Loop: Header=BB6_7543 Depth=2
	s_and_not1_saveexec_b32 s7, s10
	s_cbranch_execz .LBB6_8247
; %bb.8242:                             ;   in Loop: Header=BB6_7543 Depth=2
	s_mov_b32 s10, exec_lo
                                        ; implicit-def: $vgpr49
	v_cmpx_ne_u64_e32 0, v[24:25]
	s_xor_b32 s10, exec_lo, s10
; %bb.8243:                             ;   in Loop: Header=BB6_7543 Depth=2
	v_or_b32_e32 v49, 0x7f, v0
                                        ; implicit-def: $vgpr7
; %bb.8244:                             ;   in Loop: Header=BB6_7543 Depth=2
	s_and_not1_saveexec_b32 s10, s10
; %bb.8245:                             ;   in Loop: Header=BB6_7543 Depth=2
	v_cmp_lt_i32_e32 vcc_lo, -1, v7
	v_cndmask_b32_e32 v49, 0xfc, v41, vcc_lo
; %bb.8246:                             ;   in Loop: Header=BB6_7543 Depth=2
	s_or_b32 exec_lo, exec_lo, s10
.LBB6_8247:                             ;   in Loop: Header=BB6_7543 Depth=2
	s_delay_alu instid0(SALU_CYCLE_1)
	s_or_b32 exec_lo, exec_lo, s7
	v_lshrrev_b32_e32 v6, 24, v50
	v_lshrrev_b32_e32 v0, 24, v38
	v_cmp_lt_u32_e64 s7, 0xffffff, v50
	s_and_b32 vcc_lo, exec_lo, s13
	s_mov_b32 s10, -1
                                        ; implicit-def: $vgpr1
	s_cbranch_vccz .LBB6_8269
; %bb.8248:                             ;   in Loop: Header=BB6_7543 Depth=2
	v_dual_mov_b32 v7, 0 :: v_dual_mov_b32 v1, 0
	s_and_saveexec_b32 s10, s7
	s_cbranch_execz .LBB6_8258
; %bb.8249:                             ;   in Loop: Header=BB6_7543 Depth=2
	v_bfrev_b32_e32 v1, 1
	s_mov_b32 s14, exec_lo
	v_cmpx_ne_u32_e32 0x80, v6
	s_cbranch_execz .LBB6_8257
; %bb.8250:                             ;   in Loop: Header=BB6_7543 Depth=2
	v_and_b32_e32 v1, 0x7c000000, v50
	v_bfe_u32 v8, v50, 24, 2
	s_delay_alu instid0(VALU_DEP_2) | instskip(SKIP_1) | instid1(SALU_CYCLE_1)
	v_cmp_ne_u32_e32 vcc_lo, 0x7c000000, v1
                                        ; implicit-def: $vgpr1
	s_and_saveexec_b32 s41, vcc_lo
	s_xor_b32 s41, exec_lo, s41
	s_cbranch_execz .LBB6_8254
; %bb.8251:                             ;   in Loop: Header=BB6_7543 Depth=2
	v_bfe_u32 v1, v50, 26, 5
	s_mov_b32 s42, exec_lo
	s_delay_alu instid0(VALU_DEP_1)
	v_cmpx_eq_u32_e32 0, v1
; %bb.8252:                             ;   in Loop: Header=BB6_7543 Depth=2
	v_clz_i32_u32_e32 v1, v8
	s_delay_alu instid0(VALU_DEP_1) | instskip(NEXT) | instid1(VALU_DEP_1)
	v_min_u32_e32 v1, 32, v1
	v_subrev_nc_u32_e32 v8, 29, v1
	s_delay_alu instid0(VALU_DEP_1) | instskip(NEXT) | instid1(VALU_DEP_1)
	v_lshlrev_b64_e32 v[8:9], v8, v[6:7]
	v_dual_sub_nc_u32 v1, 30, v1 :: v_dual_bitop2_b32 v8, 3, v8 bitop3:0x40
; %bb.8253:                             ;   in Loop: Header=BB6_7543 Depth=2
	s_or_b32 exec_lo, exec_lo, s42
	v_and_b32_e32 v9, 0x80000000, v50
	s_delay_alu instid0(VALU_DEP_1) | instskip(NEXT) | instid1(VALU_DEP_1)
	v_lshl_add_u32 v1, v1, 23, v9
	v_lshl_or_b32 v1, v8, 21, v1
                                        ; implicit-def: $vgpr8
	s_delay_alu instid0(VALU_DEP_1)
	v_add_nc_u32_e32 v1, 0x38000000, v1
.LBB6_8254:                             ;   in Loop: Header=BB6_7543 Depth=2
	s_and_not1_saveexec_b32 s41, s41
; %bb.8255:                             ;   in Loop: Header=BB6_7543 Depth=2
	v_cmp_lt_i32_e32 vcc_lo, -1, v50
	v_cndmask_b32_e32 v1, 0xff800000, v75, vcc_lo
	v_cmp_eq_u32_e32 vcc_lo, 0, v8
	s_delay_alu instid0(VALU_DEP_2)
	v_cndmask_b32_e32 v1, 0x7f800001, v1, vcc_lo
; %bb.8256:                             ;   in Loop: Header=BB6_7543 Depth=2
	s_or_b32 exec_lo, exec_lo, s41
.LBB6_8257:                             ;   in Loop: Header=BB6_7543 Depth=2
	s_delay_alu instid0(SALU_CYCLE_1)
	s_or_b32 exec_lo, exec_lo, s14
.LBB6_8258:                             ;   in Loop: Header=BB6_7543 Depth=2
	s_delay_alu instid0(SALU_CYCLE_1) | instskip(NEXT) | instid1(SALU_CYCLE_1)
	s_or_b32 exec_lo, exec_lo, s10
	s_mov_b32 s10, exec_lo
	v_cmpx_lt_u32_e32 0xffffff, v38
	s_cbranch_execz .LBB6_8268
; %bb.8259:                             ;   in Loop: Header=BB6_7543 Depth=2
	v_bfrev_b32_e32 v7, 1
	s_mov_b32 s14, exec_lo
	v_cmpx_ne_u32_e32 0x80, v0
	s_cbranch_execz .LBB6_8267
; %bb.8260:                             ;   in Loop: Header=BB6_7543 Depth=2
	v_and_b32_e32 v7, 0x7c000000, v38
	v_bfe_u32 v8, v38, 24, 2
	s_delay_alu instid0(VALU_DEP_2) | instskip(SKIP_1) | instid1(SALU_CYCLE_1)
	v_cmp_ne_u32_e32 vcc_lo, 0x7c000000, v7
                                        ; implicit-def: $vgpr7
	s_and_saveexec_b32 s41, vcc_lo
	s_xor_b32 s41, exec_lo, s41
	s_cbranch_execz .LBB6_8264
; %bb.8261:                             ;   in Loop: Header=BB6_7543 Depth=2
	v_bfe_u32 v7, v38, 26, 5
	s_mov_b32 s42, exec_lo
	s_delay_alu instid0(VALU_DEP_1)
	v_cmpx_eq_u32_e32 0, v7
; %bb.8262:                             ;   in Loop: Header=BB6_7543 Depth=2
	v_clz_i32_u32_e32 v7, v8
	s_delay_alu instid0(VALU_DEP_1) | instskip(NEXT) | instid1(VALU_DEP_1)
	v_min_u32_e32 v7, 32, v7
	v_subrev_nc_u32_e32 v8, 29, v7
	s_delay_alu instid0(VALU_DEP_1) | instskip(NEXT) | instid1(VALU_DEP_1)
	v_lshlrev_b64_e32 v[8:9], v8, v[0:1]
	v_dual_sub_nc_u32 v7, 30, v7 :: v_dual_bitop2_b32 v8, 3, v8 bitop3:0x40
; %bb.8263:                             ;   in Loop: Header=BB6_7543 Depth=2
	s_or_b32 exec_lo, exec_lo, s42
	v_and_b32_e32 v9, 0x80000000, v38
	s_delay_alu instid0(VALU_DEP_1) | instskip(NEXT) | instid1(VALU_DEP_1)
	v_lshl_add_u32 v7, v7, 23, v9
	v_lshl_or_b32 v7, v8, 21, v7
                                        ; implicit-def: $vgpr8
	s_delay_alu instid0(VALU_DEP_1)
	v_add_nc_u32_e32 v7, 0x38000000, v7
.LBB6_8264:                             ;   in Loop: Header=BB6_7543 Depth=2
	s_and_not1_saveexec_b32 s41, s41
; %bb.8265:                             ;   in Loop: Header=BB6_7543 Depth=2
	v_cmp_lt_i32_e32 vcc_lo, -1, v38
	v_cndmask_b32_e32 v7, 0xff800000, v75, vcc_lo
	v_cmp_eq_u32_e32 vcc_lo, 0, v8
	s_delay_alu instid0(VALU_DEP_2)
	v_cndmask_b32_e32 v7, 0x7f800001, v7, vcc_lo
; %bb.8266:                             ;   in Loop: Header=BB6_7543 Depth=2
	s_or_b32 exec_lo, exec_lo, s41
.LBB6_8267:                             ;   in Loop: Header=BB6_7543 Depth=2
	s_delay_alu instid0(SALU_CYCLE_1)
	s_or_b32 exec_lo, exec_lo, s14
.LBB6_8268:                             ;   in Loop: Header=BB6_7543 Depth=2
	s_delay_alu instid0(SALU_CYCLE_1) | instskip(NEXT) | instid1(VALU_DEP_1)
	s_or_b32 exec_lo, exec_lo, s10
	v_dual_max_num_f32 v7, v7, v7 :: v_dual_max_num_f32 v1, v1, v1
	s_mov_b32 s10, 0
	s_delay_alu instid0(VALU_DEP_1)
	v_max_num_f32_e32 v1, v1, v7
.LBB6_8269:                             ;   in Loop: Header=BB6_7543 Depth=2
	s_and_b32 vcc_lo, exec_lo, s10
	s_cbranch_vccz .LBB6_8291
; %bb.8270:                             ;   in Loop: Header=BB6_7543 Depth=2
	v_dual_mov_b32 v7, 0 :: v_dual_mov_b32 v1, 0
	s_and_saveexec_b32 s10, s7
	s_cbranch_execz .LBB6_8280
; %bb.8271:                             ;   in Loop: Header=BB6_7543 Depth=2
	v_bfrev_b32_e32 v1, 1
	s_mov_b32 s7, exec_lo
	v_cmpx_ne_u32_e32 0x80, v6
	s_cbranch_execz .LBB6_8279
; %bb.8272:                             ;   in Loop: Header=BB6_7543 Depth=2
	v_and_b32_e32 v1, 0x7c000000, v50
	v_bfe_u32 v8, v50, 24, 2
	s_delay_alu instid0(VALU_DEP_2) | instskip(SKIP_1) | instid1(SALU_CYCLE_1)
	v_cmp_ne_u32_e32 vcc_lo, 0x7c000000, v1
                                        ; implicit-def: $vgpr1
	s_and_saveexec_b32 s14, vcc_lo
	s_xor_b32 s14, exec_lo, s14
	s_cbranch_execz .LBB6_8276
; %bb.8273:                             ;   in Loop: Header=BB6_7543 Depth=2
	v_bfe_u32 v1, v50, 26, 5
	s_mov_b32 s41, exec_lo
	s_delay_alu instid0(VALU_DEP_1)
	v_cmpx_eq_u32_e32 0, v1
; %bb.8274:                             ;   in Loop: Header=BB6_7543 Depth=2
	v_clz_i32_u32_e32 v1, v8
	s_delay_alu instid0(VALU_DEP_1) | instskip(NEXT) | instid1(VALU_DEP_1)
	v_min_u32_e32 v1, 32, v1
	v_subrev_nc_u32_e32 v8, 29, v1
	s_delay_alu instid0(VALU_DEP_1) | instskip(NEXT) | instid1(VALU_DEP_1)
	v_lshlrev_b64_e32 v[8:9], v8, v[6:7]
	v_dual_sub_nc_u32 v1, 30, v1 :: v_dual_bitop2_b32 v8, 3, v8 bitop3:0x40
; %bb.8275:                             ;   in Loop: Header=BB6_7543 Depth=2
	s_or_b32 exec_lo, exec_lo, s41
	v_and_b32_e32 v6, 0x80000000, v50
	s_delay_alu instid0(VALU_DEP_1) | instskip(NEXT) | instid1(VALU_DEP_1)
	v_lshl_add_u32 v1, v1, 23, v6
	v_lshl_or_b32 v1, v8, 21, v1
                                        ; implicit-def: $vgpr8
	s_delay_alu instid0(VALU_DEP_1)
	v_add_nc_u32_e32 v1, 0x38000000, v1
.LBB6_8276:                             ;   in Loop: Header=BB6_7543 Depth=2
	s_and_not1_saveexec_b32 s14, s14
; %bb.8277:                             ;   in Loop: Header=BB6_7543 Depth=2
	v_cmp_lt_i32_e32 vcc_lo, -1, v50
	v_cndmask_b32_e32 v1, 0xff800000, v75, vcc_lo
	v_cmp_eq_u32_e32 vcc_lo, 0, v8
	s_delay_alu instid0(VALU_DEP_2)
	v_cndmask_b32_e32 v1, 0x7f800001, v1, vcc_lo
; %bb.8278:                             ;   in Loop: Header=BB6_7543 Depth=2
	s_or_b32 exec_lo, exec_lo, s14
.LBB6_8279:                             ;   in Loop: Header=BB6_7543 Depth=2
	s_delay_alu instid0(SALU_CYCLE_1)
	s_or_b32 exec_lo, exec_lo, s7
.LBB6_8280:                             ;   in Loop: Header=BB6_7543 Depth=2
	s_delay_alu instid0(SALU_CYCLE_1) | instskip(NEXT) | instid1(SALU_CYCLE_1)
	s_or_b32 exec_lo, exec_lo, s10
	s_mov_b32 s7, exec_lo
	v_cmpx_lt_u32_e32 0xffffff, v38
	s_cbranch_execz .LBB6_8290
; %bb.8281:                             ;   in Loop: Header=BB6_7543 Depth=2
	v_bfrev_b32_e32 v7, 1
	s_mov_b32 s10, exec_lo
	v_cmpx_ne_u32_e32 0x80, v0
	s_cbranch_execz .LBB6_8289
; %bb.8282:                             ;   in Loop: Header=BB6_7543 Depth=2
	v_and_b32_e32 v7, 0x7c000000, v38
	v_bfe_u32 v6, v38, 24, 2
	s_delay_alu instid0(VALU_DEP_2) | instskip(SKIP_1) | instid1(SALU_CYCLE_1)
	v_cmp_ne_u32_e32 vcc_lo, 0x7c000000, v7
                                        ; implicit-def: $vgpr7
	s_and_saveexec_b32 s14, vcc_lo
	s_xor_b32 s14, exec_lo, s14
	s_cbranch_execz .LBB6_8286
; %bb.8283:                             ;   in Loop: Header=BB6_7543 Depth=2
	v_bfe_u32 v7, v38, 26, 5
	s_mov_b32 s41, exec_lo
	s_delay_alu instid0(VALU_DEP_1)
	v_cmpx_eq_u32_e32 0, v7
; %bb.8284:                             ;   in Loop: Header=BB6_7543 Depth=2
	v_clz_i32_u32_e32 v6, v6
	s_delay_alu instid0(VALU_DEP_1) | instskip(NEXT) | instid1(VALU_DEP_1)
	v_min_u32_e32 v8, 32, v6
	v_subrev_nc_u32_e32 v6, 29, v8
	s_delay_alu instid0(VALU_DEP_1) | instskip(NEXT) | instid1(VALU_DEP_1)
	v_lshlrev_b64_e32 v[6:7], v6, v[0:1]
	v_dual_sub_nc_u32 v7, 30, v8 :: v_dual_bitop2_b32 v6, 3, v6 bitop3:0x40
; %bb.8285:                             ;   in Loop: Header=BB6_7543 Depth=2
	s_or_b32 exec_lo, exec_lo, s41
	v_and_b32_e32 v0, 0x80000000, v38
	s_delay_alu instid0(VALU_DEP_1) | instskip(NEXT) | instid1(VALU_DEP_1)
	v_lshl_add_u32 v0, v7, 23, v0
	v_lshl_or_b32 v0, v6, 21, v0
                                        ; implicit-def: $vgpr6
	s_delay_alu instid0(VALU_DEP_1)
	v_add_nc_u32_e32 v7, 0x38000000, v0
.LBB6_8286:                             ;   in Loop: Header=BB6_7543 Depth=2
	s_and_not1_saveexec_b32 s14, s14
; %bb.8287:                             ;   in Loop: Header=BB6_7543 Depth=2
	v_cmp_lt_i32_e32 vcc_lo, -1, v38
	v_cndmask_b32_e32 v0, 0xff800000, v75, vcc_lo
	v_cmp_eq_u32_e32 vcc_lo, 0, v6
	s_delay_alu instid0(VALU_DEP_2)
	v_cndmask_b32_e32 v7, 0x7f800001, v0, vcc_lo
; %bb.8288:                             ;   in Loop: Header=BB6_7543 Depth=2
	s_or_b32 exec_lo, exec_lo, s14
.LBB6_8289:                             ;   in Loop: Header=BB6_7543 Depth=2
	s_delay_alu instid0(SALU_CYCLE_1)
	s_or_b32 exec_lo, exec_lo, s10
.LBB6_8290:                             ;   in Loop: Header=BB6_7543 Depth=2
	s_delay_alu instid0(SALU_CYCLE_1) | instskip(NEXT) | instid1(VALU_DEP_1)
	s_or_b32 exec_lo, exec_lo, s7
	v_dual_max_num_f32 v0, v7, v7 :: v_dual_max_num_f32 v1, v1, v1
	s_delay_alu instid0(VALU_DEP_1)
	v_min_num_f32_e32 v1, v1, v0
.LBB6_8291:                             ;   in Loop: Header=BB6_7543 Depth=2
	s_delay_alu instid0(VALU_DEP_1) | instskip(SKIP_3) | instid1(VALU_DEP_2)
	v_and_b32_e32 v6, 0x7f800000, v1
	v_dual_mov_b32 v7, v25 :: v_dual_lshrrev_b32 v0, 24, v1
	v_and_b32_e32 v24, 0x7fffff, v1
                                        ; implicit-def: $vgpr64
	s_mov_b32 s7, exec_lo
	v_cmpx_ne_u64_e32 0x7f800000, v[6:7]
	s_xor_b32 s10, exec_lo, s7
	s_cbranch_execz .LBB6_8305
; %bb.8292:                             ;   in Loop: Header=BB6_7543 Depth=2
	v_and_b32_e32 v6, 0x7fffffff, v1
	v_mov_b32_e32 v7, v25
	v_and_b32_e32 v8, 0x80, v0
                                        ; implicit-def: $vgpr64
	s_mov_b32 s7, exec_lo
	s_delay_alu instid0(VALU_DEP_2)
	v_cmpx_gt_u64_e32 0x47600001, v[6:7]
	s_xor_b32 s14, exec_lo, s7
	s_cbranch_execz .LBB6_8302
; %bb.8293:                             ;   in Loop: Header=BB6_7543 Depth=2
	v_mov_b32_e32 v64, 0
	s_mov_b32 s41, exec_lo
	v_cmpx_ne_u32_e32 0, v1
	s_cbranch_execz .LBB6_8301
; %bb.8294:                             ;   in Loop: Header=BB6_7543 Depth=2
	v_bfe_u32 v9, v1, 23, 8
	v_or_b32_e32 v6, 0x800000, v24
	s_delay_alu instid0(VALU_DEP_2) | instskip(SKIP_1) | instid1(VALU_DEP_2)
	v_sub_nc_u32_e32 v0, 0x71, v9
	v_cmp_gt_u32_e32 vcc_lo, 0x72, v9
	v_cndmask_b32_e32 v0, 0, v0, vcc_lo
	v_cmp_eq_u32_e32 vcc_lo, 0, v9
	s_delay_alu instid0(VALU_DEP_2) | instskip(SKIP_1) | instid1(VALU_DEP_2)
	v_cndmask_b32_e64 v64, v0, 0x70, vcc_lo
	v_cndmask_b32_e32 v24, v6, v24, vcc_lo
	v_dual_add_nc_u32 v0, 21, v64 :: v_dual_add_nc_u32 v7, 20, v64
	s_delay_alu instid0(VALU_DEP_1) | instskip(NEXT) | instid1(VALU_DEP_2)
	v_lshlrev_b64_e64 v[0:1], v0, -1
	v_lshlrev_b64_e64 v[6:7], v7, 1
	s_delay_alu instid0(VALU_DEP_2) | instskip(NEXT) | instid1(VALU_DEP_3)
	v_bfi_b32 v67, v1, 0, 0
	v_bfi_b32 v66, v0, 0, v24
	v_lshrrev_b64 v[0:1], v64, v[24:25]
	s_delay_alu instid0(VALU_DEP_2) | instskip(NEXT) | instid1(VALU_DEP_2)
	v_cmp_eq_u64_e64 s7, v[66:67], v[6:7]
	v_mov_b64_e32 v[6:7], v[0:1]
	s_and_saveexec_b32 s42, s7
; %bb.8295:                             ;   in Loop: Header=BB6_7543 Depth=2
	v_bfe_u32 v24, v0, 21, 1
	s_delay_alu instid0(VALU_DEP_1) | instskip(NEXT) | instid1(VALU_DEP_1)
	v_add_nc_u64_e32 v[6:7], v[0:1], v[24:25]
	v_add_nc_u64_e32 v[6:7], -1, v[6:7]
; %bb.8296:                             ;   in Loop: Header=BB6_7543 Depth=2
	s_or_b32 exec_lo, exec_lo, s42
	v_add_nc_u32_e32 v1, 0xffffff81, v9
	v_lshrrev_b32_e32 v7, 23, v0
	s_mov_b32 s7, exec_lo
	s_delay_alu instid0(VALU_DEP_2) | instskip(NEXT) | instid1(VALU_DEP_1)
	v_cndmask_b32_e64 v1, v1, 0xffffff82, vcc_lo
	v_add3_u32 v7, v64, v1, v7
	v_and_b32_e32 v1, 0x1fffff, v6
                                        ; implicit-def: $vgpr6
	s_delay_alu instid0(VALU_DEP_1) | instskip(NEXT) | instid1(VALU_DEP_1)
	v_dual_add_nc_u32 v9, 14, v7 :: v_dual_add_nc_u32 v24, v1, v0
                                        ; implicit-def: $vgpr0_vgpr1
	v_cmpx_ne_u32_e32 0, v9
	s_xor_b32 s7, exec_lo, s7
; %bb.8297:                             ;   in Loop: Header=BB6_7543 Depth=2
	s_delay_alu instid0(VALU_DEP_2) | instskip(SKIP_1) | instid1(VALU_DEP_1)
	v_cmp_lt_u64_e32 vcc_lo, 0xffffff, v[24:25]
	v_add_nc_u32_e32 v0, 15, v7
	v_cndmask_b32_e32 v6, v9, v0, vcc_lo
	v_cndmask_b32_e64 v0, 0, 1, vcc_lo
	s_delay_alu instid0(VALU_DEP_1)
	v_lshrrev_b64 v[0:1], v0, v[24:25]
; %bb.8298:                             ;   in Loop: Header=BB6_7543 Depth=2
	s_and_not1_saveexec_b32 s7, s7
; %bb.8299:                             ;   in Loop: Header=BB6_7543 Depth=2
	v_mov_b64_e32 v[0:1], v[24:25]
	v_bfe_u32 v6, v24, 23, 1
; %bb.8300:                             ;   in Loop: Header=BB6_7543 Depth=2
	s_or_b32 exec_lo, exec_lo, s7
	s_delay_alu instid0(VALU_DEP_2) | instskip(NEXT) | instid1(VALU_DEP_2)
	v_lshrrev_b64 v[0:1], 21, v[0:1]
	v_cmp_gt_i32_e32 vcc_lo, 32, v6
	v_min_i32_e32 v7, 31, v6
	v_cmp_eq_u32_e64 s7, 0, v6
	s_delay_alu instid0(VALU_DEP_2) | instskip(SKIP_1) | instid1(VALU_DEP_2)
	v_dual_cndmask_b32 v1, 0, v1, vcc_lo :: v_dual_lshlrev_b32 v7, 2, v7
	v_cndmask_b32_e32 v0, 3, v0, vcc_lo
	v_and_b32_e32 v7, 0xfc, v7
	s_delay_alu instid0(VALU_DEP_2) | instskip(NEXT) | instid1(VALU_DEP_2)
	v_cmp_eq_u64_e32 vcc_lo, 0, v[0:1]
	v_and_or_b32 v0, v0, 3, v7
	s_and_b32 s7, s7, vcc_lo
	s_delay_alu instid0(VALU_DEP_1) | instid1(SALU_CYCLE_1)
	v_cndmask_b32_e64 v0, v0, 0, s7
	s_delay_alu instid0(VALU_DEP_1)
	v_or_b32_e32 v64, v0, v8
.LBB6_8301:                             ;   in Loop: Header=BB6_7543 Depth=2
	s_or_b32 exec_lo, exec_lo, s41
                                        ; implicit-def: $vgpr8
.LBB6_8302:                             ;   in Loop: Header=BB6_7543 Depth=2
	s_and_not1_saveexec_b32 s7, s14
; %bb.8303:                             ;   in Loop: Header=BB6_7543 Depth=2
	v_or_b32_e32 v64, 0x7b, v8
; %bb.8304:                             ;   in Loop: Header=BB6_7543 Depth=2
	s_or_b32 exec_lo, exec_lo, s7
                                        ; implicit-def: $vgpr1
                                        ; implicit-def: $vgpr0
.LBB6_8305:                             ;   in Loop: Header=BB6_7543 Depth=2
	s_and_not1_saveexec_b32 s7, s10
	s_cbranch_execz .LBB6_8311
; %bb.8306:                             ;   in Loop: Header=BB6_7543 Depth=2
	s_mov_b32 s10, exec_lo
                                        ; implicit-def: $vgpr64
	v_cmpx_ne_u64_e32 0, v[24:25]
	s_xor_b32 s10, exec_lo, s10
; %bb.8307:                             ;   in Loop: Header=BB6_7543 Depth=2
	v_or_b32_e32 v64, 0x7f, v0
                                        ; implicit-def: $vgpr1
; %bb.8308:                             ;   in Loop: Header=BB6_7543 Depth=2
	s_and_not1_saveexec_b32 s10, s10
; %bb.8309:                             ;   in Loop: Header=BB6_7543 Depth=2
	v_cmp_lt_i32_e32 vcc_lo, -1, v1
	v_cndmask_b32_e32 v64, 0xfc, v41, vcc_lo
; %bb.8310:                             ;   in Loop: Header=BB6_7543 Depth=2
	s_or_b32 exec_lo, exec_lo, s10
.LBB6_8311:                             ;   in Loop: Header=BB6_7543 Depth=2
	s_delay_alu instid0(SALU_CYCLE_1) | instskip(SKIP_4) | instid1(VALU_DEP_3)
	s_or_b32 exec_lo, exec_lo, s7
	v_and_b32_e32 v6, 0xff, v51
	v_dual_mov_b32 v24, v51 :: v_dual_mov_b32 v0, v39
	v_mov_b32_e32 v1, v25
	s_and_b32 vcc_lo, exec_lo, s13
	v_cmp_ne_u16_e64 s7, 0, v6
	s_mov_b32 s10, -1
                                        ; implicit-def: $vgpr8
	s_cbranch_vccz .LBB6_8333
; %bb.8312:                             ;   in Loop: Header=BB6_7543 Depth=2
	v_dual_mov_b32 v8, 0 :: v_dual_mov_b32 v7, 0
	s_and_saveexec_b32 s10, s7
	s_cbranch_execz .LBB6_8322
; %bb.8313:                             ;   in Loop: Header=BB6_7543 Depth=2
	v_bfrev_b32_e32 v7, 1
	s_mov_b32 s14, exec_lo
	v_cmpx_ne_u16_e32 0x80, v6
	s_cbranch_execz .LBB6_8321
; %bb.8314:                             ;   in Loop: Header=BB6_7543 Depth=2
	v_and_b32_e32 v7, 0x7c, v51
	v_and_b32_e32 v9, 3, v51
	s_delay_alu instid0(VALU_DEP_2) | instskip(SKIP_1) | instid1(SALU_CYCLE_1)
	v_cmp_ne_u32_e32 vcc_lo, 0x7c, v7
                                        ; implicit-def: $vgpr7
	s_and_saveexec_b32 s41, vcc_lo
	s_xor_b32 s41, exec_lo, s41
	s_cbranch_execz .LBB6_8318
; %bb.8315:                             ;   in Loop: Header=BB6_7543 Depth=2
	v_bfe_u32 v7, v51, 2, 5
	s_mov_b32 s42, exec_lo
	s_delay_alu instid0(VALU_DEP_1)
	v_cmpx_eq_u32_e32 0, v7
; %bb.8316:                             ;   in Loop: Header=BB6_7543 Depth=2
	v_clz_i32_u32_e32 v7, v9
	s_delay_alu instid0(VALU_DEP_1) | instskip(NEXT) | instid1(VALU_DEP_1)
	v_min_u32_e32 v7, 32, v7
	v_subrev_nc_u32_e32 v9, 29, v7
	s_delay_alu instid0(VALU_DEP_1) | instskip(NEXT) | instid1(VALU_DEP_1)
	v_lshlrev_b64_e32 v[66:67], v9, v[24:25]
	v_dual_sub_nc_u32 v7, 30, v7 :: v_dual_bitop2_b32 v9, 3, v66 bitop3:0x40
; %bb.8317:                             ;   in Loop: Header=BB6_7543 Depth=2
	s_or_b32 exec_lo, exec_lo, s42
	v_lshlrev_b32_e32 v65, 24, v51
	s_delay_alu instid0(VALU_DEP_1) | instskip(NEXT) | instid1(VALU_DEP_1)
	v_and_b32_e32 v65, 0x80000000, v65
	v_lshl_add_u32 v7, v7, 23, v65
	s_delay_alu instid0(VALU_DEP_1) | instskip(NEXT) | instid1(VALU_DEP_1)
	v_lshl_or_b32 v7, v9, 21, v7
                                        ; implicit-def: $vgpr9
	v_add_nc_u32_e32 v7, 0x38000000, v7
.LBB6_8318:                             ;   in Loop: Header=BB6_7543 Depth=2
	s_and_not1_saveexec_b32 s41, s41
; %bb.8319:                             ;   in Loop: Header=BB6_7543 Depth=2
	v_bfe_i32 v7, v51, 0, 8
	s_delay_alu instid0(VALU_DEP_1) | instskip(SKIP_2) | instid1(VALU_DEP_2)
	v_cmp_lt_i16_e32 vcc_lo, -1, v7
	v_cndmask_b32_e32 v7, 0xff800000, v75, vcc_lo
	v_cmp_eq_u32_e32 vcc_lo, 0, v9
	v_cndmask_b32_e32 v7, 0x7f800001, v7, vcc_lo
; %bb.8320:                             ;   in Loop: Header=BB6_7543 Depth=2
	s_or_b32 exec_lo, exec_lo, s41
.LBB6_8321:                             ;   in Loop: Header=BB6_7543 Depth=2
	s_delay_alu instid0(SALU_CYCLE_1)
	s_or_b32 exec_lo, exec_lo, s14
.LBB6_8322:                             ;   in Loop: Header=BB6_7543 Depth=2
	s_delay_alu instid0(SALU_CYCLE_1) | instskip(SKIP_2) | instid1(VALU_DEP_1)
	s_or_b32 exec_lo, exec_lo, s10
	v_and_b32_e32 v9, 0xff, v39
	s_mov_b32 s10, exec_lo
	v_cmpx_ne_u16_e32 0, v9
	s_cbranch_execz .LBB6_8332
; %bb.8323:                             ;   in Loop: Header=BB6_7543 Depth=2
	v_bfrev_b32_e32 v8, 1
	s_mov_b32 s14, exec_lo
	v_cmpx_ne_u16_e32 0x80, v9
	s_cbranch_execz .LBB6_8331
; %bb.8324:                             ;   in Loop: Header=BB6_7543 Depth=2
	v_and_b32_e32 v8, 0x7c, v39
	v_and_b32_e32 v9, 3, v39
	s_delay_alu instid0(VALU_DEP_2) | instskip(SKIP_1) | instid1(SALU_CYCLE_1)
	v_cmp_ne_u32_e32 vcc_lo, 0x7c, v8
                                        ; implicit-def: $vgpr8
	s_and_saveexec_b32 s41, vcc_lo
	s_xor_b32 s41, exec_lo, s41
	s_cbranch_execz .LBB6_8328
; %bb.8325:                             ;   in Loop: Header=BB6_7543 Depth=2
	v_bfe_u32 v8, v39, 2, 5
	s_mov_b32 s42, exec_lo
	s_delay_alu instid0(VALU_DEP_1)
	v_cmpx_eq_u32_e32 0, v8
; %bb.8326:                             ;   in Loop: Header=BB6_7543 Depth=2
	v_clz_i32_u32_e32 v8, v9
	s_delay_alu instid0(VALU_DEP_1) | instskip(NEXT) | instid1(VALU_DEP_1)
	v_min_u32_e32 v8, 32, v8
	v_subrev_nc_u32_e32 v9, 29, v8
	s_delay_alu instid0(VALU_DEP_1) | instskip(NEXT) | instid1(VALU_DEP_1)
	v_lshlrev_b64_e32 v[66:67], v9, v[0:1]
	v_dual_sub_nc_u32 v8, 30, v8 :: v_dual_bitop2_b32 v9, 3, v66 bitop3:0x40
; %bb.8327:                             ;   in Loop: Header=BB6_7543 Depth=2
	s_or_b32 exec_lo, exec_lo, s42
	v_lshlrev_b32_e32 v65, 24, v39
	s_delay_alu instid0(VALU_DEP_1) | instskip(NEXT) | instid1(VALU_DEP_1)
	v_and_b32_e32 v65, 0x80000000, v65
	v_lshl_add_u32 v8, v8, 23, v65
	s_delay_alu instid0(VALU_DEP_1) | instskip(NEXT) | instid1(VALU_DEP_1)
	v_lshl_or_b32 v8, v9, 21, v8
                                        ; implicit-def: $vgpr9
	v_add_nc_u32_e32 v8, 0x38000000, v8
.LBB6_8328:                             ;   in Loop: Header=BB6_7543 Depth=2
	s_and_not1_saveexec_b32 s41, s41
; %bb.8329:                             ;   in Loop: Header=BB6_7543 Depth=2
	v_bfe_i32 v8, v39, 0, 8
	s_delay_alu instid0(VALU_DEP_1) | instskip(SKIP_2) | instid1(VALU_DEP_2)
	v_cmp_lt_i16_e32 vcc_lo, -1, v8
	v_cndmask_b32_e32 v8, 0xff800000, v75, vcc_lo
	v_cmp_eq_u32_e32 vcc_lo, 0, v9
	v_cndmask_b32_e32 v8, 0x7f800001, v8, vcc_lo
; %bb.8330:                             ;   in Loop: Header=BB6_7543 Depth=2
	s_or_b32 exec_lo, exec_lo, s41
.LBB6_8331:                             ;   in Loop: Header=BB6_7543 Depth=2
	s_delay_alu instid0(SALU_CYCLE_1)
	s_or_b32 exec_lo, exec_lo, s14
.LBB6_8332:                             ;   in Loop: Header=BB6_7543 Depth=2
	s_delay_alu instid0(SALU_CYCLE_1) | instskip(NEXT) | instid1(VALU_DEP_1)
	s_or_b32 exec_lo, exec_lo, s10
	v_dual_max_num_f32 v8, v8, v8 :: v_dual_max_num_f32 v7, v7, v7
	s_mov_b32 s10, 0
	s_delay_alu instid0(VALU_DEP_1)
	v_max_num_f32_e32 v8, v7, v8
.LBB6_8333:                             ;   in Loop: Header=BB6_7543 Depth=2
	s_and_b32 vcc_lo, exec_lo, s10
	s_cbranch_vccz .LBB6_8355
; %bb.8334:                             ;   in Loop: Header=BB6_7543 Depth=2
	v_dual_mov_b32 v8, 0 :: v_dual_mov_b32 v7, 0
	s_and_saveexec_b32 s10, s7
	s_cbranch_execz .LBB6_8344
; %bb.8335:                             ;   in Loop: Header=BB6_7543 Depth=2
	v_bfrev_b32_e32 v7, 1
	s_mov_b32 s7, exec_lo
	v_cmpx_ne_u16_e32 0x80, v6
	s_cbranch_execz .LBB6_8343
; %bb.8336:                             ;   in Loop: Header=BB6_7543 Depth=2
	v_and_b32_e32 v7, 0x7c, v51
	v_and_b32_e32 v6, 3, v51
	s_delay_alu instid0(VALU_DEP_2) | instskip(SKIP_1) | instid1(SALU_CYCLE_1)
	v_cmp_ne_u32_e32 vcc_lo, 0x7c, v7
                                        ; implicit-def: $vgpr7
	s_and_saveexec_b32 s14, vcc_lo
	s_xor_b32 s14, exec_lo, s14
	s_cbranch_execz .LBB6_8340
; %bb.8337:                             ;   in Loop: Header=BB6_7543 Depth=2
	v_bfe_u32 v7, v51, 2, 5
	s_mov_b32 s41, exec_lo
	s_delay_alu instid0(VALU_DEP_1)
	v_cmpx_eq_u32_e32 0, v7
; %bb.8338:                             ;   in Loop: Header=BB6_7543 Depth=2
	v_clz_i32_u32_e32 v6, v6
	s_delay_alu instid0(VALU_DEP_1) | instskip(NEXT) | instid1(VALU_DEP_1)
	v_min_u32_e32 v9, 32, v6
	v_subrev_nc_u32_e32 v6, 29, v9
	s_delay_alu instid0(VALU_DEP_1) | instskip(NEXT) | instid1(VALU_DEP_1)
	v_lshlrev_b64_e32 v[6:7], v6, v[24:25]
	v_dual_sub_nc_u32 v7, 30, v9 :: v_dual_bitop2_b32 v6, 3, v6 bitop3:0x40
; %bb.8339:                             ;   in Loop: Header=BB6_7543 Depth=2
	s_or_b32 exec_lo, exec_lo, s41
	v_lshlrev_b32_e32 v9, 24, v51
	s_delay_alu instid0(VALU_DEP_1) | instskip(NEXT) | instid1(VALU_DEP_1)
	v_and_b32_e32 v9, 0x80000000, v9
	v_lshl_add_u32 v7, v7, 23, v9
	s_delay_alu instid0(VALU_DEP_1) | instskip(NEXT) | instid1(VALU_DEP_1)
	v_lshl_or_b32 v6, v6, 21, v7
	v_add_nc_u32_e32 v7, 0x38000000, v6
                                        ; implicit-def: $vgpr6
.LBB6_8340:                             ;   in Loop: Header=BB6_7543 Depth=2
	s_and_not1_saveexec_b32 s14, s14
; %bb.8341:                             ;   in Loop: Header=BB6_7543 Depth=2
	v_bfe_i32 v7, v51, 0, 8
	s_delay_alu instid0(VALU_DEP_1) | instskip(SKIP_2) | instid1(VALU_DEP_2)
	v_cmp_lt_i16_e32 vcc_lo, -1, v7
	v_cndmask_b32_e32 v7, 0xff800000, v75, vcc_lo
	v_cmp_eq_u32_e32 vcc_lo, 0, v6
	v_cndmask_b32_e32 v7, 0x7f800001, v7, vcc_lo
; %bb.8342:                             ;   in Loop: Header=BB6_7543 Depth=2
	s_or_b32 exec_lo, exec_lo, s14
.LBB6_8343:                             ;   in Loop: Header=BB6_7543 Depth=2
	s_delay_alu instid0(SALU_CYCLE_1)
	s_or_b32 exec_lo, exec_lo, s7
.LBB6_8344:                             ;   in Loop: Header=BB6_7543 Depth=2
	s_delay_alu instid0(SALU_CYCLE_1) | instskip(SKIP_2) | instid1(VALU_DEP_1)
	s_or_b32 exec_lo, exec_lo, s10
	v_and_b32_e32 v6, 0xff, v39
	s_mov_b32 s7, exec_lo
	v_cmpx_ne_u16_e32 0, v6
	s_cbranch_execz .LBB6_8354
; %bb.8345:                             ;   in Loop: Header=BB6_7543 Depth=2
	v_bfrev_b32_e32 v8, 1
	s_mov_b32 s10, exec_lo
	v_cmpx_ne_u16_e32 0x80, v6
	s_cbranch_execz .LBB6_8353
; %bb.8346:                             ;   in Loop: Header=BB6_7543 Depth=2
	v_and_b32_e32 v8, 0x7c, v39
	v_and_b32_e32 v6, 3, v39
	s_delay_alu instid0(VALU_DEP_2) | instskip(SKIP_1) | instid1(SALU_CYCLE_1)
	v_cmp_ne_u32_e32 vcc_lo, 0x7c, v8
                                        ; implicit-def: $vgpr8
	s_and_saveexec_b32 s14, vcc_lo
	s_xor_b32 s14, exec_lo, s14
	s_cbranch_execz .LBB6_8350
; %bb.8347:                             ;   in Loop: Header=BB6_7543 Depth=2
	v_bfe_u32 v8, v39, 2, 5
	s_mov_b32 s41, exec_lo
	s_delay_alu instid0(VALU_DEP_1)
	v_cmpx_eq_u32_e32 0, v8
; %bb.8348:                             ;   in Loop: Header=BB6_7543 Depth=2
	v_clz_i32_u32_e32 v6, v6
	s_delay_alu instid0(VALU_DEP_1) | instskip(NEXT) | instid1(VALU_DEP_1)
	v_min_u32_e32 v6, 32, v6
	v_subrev_nc_u32_e32 v8, 29, v6
	s_delay_alu instid0(VALU_DEP_1) | instskip(SKIP_1) | instid1(VALU_DEP_2)
	v_lshlrev_b64_e32 v[66:67], v8, v[0:1]
	v_sub_nc_u32_e32 v8, 30, v6
	v_and_b32_e32 v6, 3, v66
; %bb.8349:                             ;   in Loop: Header=BB6_7543 Depth=2
	s_or_b32 exec_lo, exec_lo, s41
	v_lshlrev_b32_e32 v1, 24, v39
	s_delay_alu instid0(VALU_DEP_1) | instskip(NEXT) | instid1(VALU_DEP_1)
	v_and_b32_e32 v1, 0x80000000, v1
	v_lshl_add_u32 v1, v8, 23, v1
	s_delay_alu instid0(VALU_DEP_1) | instskip(NEXT) | instid1(VALU_DEP_1)
	v_lshl_or_b32 v1, v6, 21, v1
                                        ; implicit-def: $vgpr6
	v_add_nc_u32_e32 v8, 0x38000000, v1
.LBB6_8350:                             ;   in Loop: Header=BB6_7543 Depth=2
	s_and_not1_saveexec_b32 s14, s14
; %bb.8351:                             ;   in Loop: Header=BB6_7543 Depth=2
	v_bfe_i32 v1, v39, 0, 8
	s_delay_alu instid0(VALU_DEP_1) | instskip(SKIP_2) | instid1(VALU_DEP_2)
	v_cmp_lt_i16_e32 vcc_lo, -1, v1
	v_cndmask_b32_e32 v1, 0xff800000, v75, vcc_lo
	v_cmp_eq_u32_e32 vcc_lo, 0, v6
	v_cndmask_b32_e32 v8, 0x7f800001, v1, vcc_lo
; %bb.8352:                             ;   in Loop: Header=BB6_7543 Depth=2
	s_or_b32 exec_lo, exec_lo, s14
.LBB6_8353:                             ;   in Loop: Header=BB6_7543 Depth=2
	s_delay_alu instid0(SALU_CYCLE_1)
	s_or_b32 exec_lo, exec_lo, s10
.LBB6_8354:                             ;   in Loop: Header=BB6_7543 Depth=2
	s_delay_alu instid0(SALU_CYCLE_1) | instskip(NEXT) | instid1(VALU_DEP_1)
	s_or_b32 exec_lo, exec_lo, s7
	v_dual_max_num_f32 v1, v8, v8 :: v_dual_max_num_f32 v6, v7, v7
	s_delay_alu instid0(VALU_DEP_1)
	v_min_num_f32_e32 v8, v6, v1
.LBB6_8355:                             ;   in Loop: Header=BB6_7543 Depth=2
	s_delay_alu instid0(VALU_DEP_1) | instskip(SKIP_4) | instid1(VALU_DEP_3)
	v_and_b32_e32 v66, 0x7f800000, v8
	v_dual_mov_b32 v67, v25 :: v_dual_mov_b32 v7, v25
	v_and_b32_e32 v6, 0x7fffff, v8
	v_lshrrev_b32_e32 v1, 24, v8
                                        ; implicit-def: $vgpr65
	s_mov_b32 s7, exec_lo
	v_cmpx_ne_u64_e32 0x7f800000, v[66:67]
	s_xor_b32 s10, exec_lo, s7
	s_cbranch_execz .LBB6_8369
; %bb.8356:                             ;   in Loop: Header=BB6_7543 Depth=2
	v_and_b32_e32 v66, 0x7fffffff, v8
	v_mov_b32_e32 v67, v25
	v_and_b32_e32 v1, 0x80, v1
                                        ; implicit-def: $vgpr65
	s_mov_b32 s7, exec_lo
	s_delay_alu instid0(VALU_DEP_2)
	v_cmpx_gt_u64_e32 0x47600001, v[66:67]
	s_xor_b32 s14, exec_lo, s7
	s_cbranch_execz .LBB6_8366
; %bb.8357:                             ;   in Loop: Header=BB6_7543 Depth=2
	v_mov_b32_e32 v65, 0
	s_mov_b32 s41, exec_lo
	v_cmpx_ne_u32_e32 0, v8
	s_cbranch_execz .LBB6_8365
; %bb.8358:                             ;   in Loop: Header=BB6_7543 Depth=2
	v_bfe_u32 v65, v8, 23, 8
	v_or_b32_e32 v67, 0x800000, v6
	s_delay_alu instid0(VALU_DEP_2) | instskip(SKIP_1) | instid1(VALU_DEP_2)
	v_sub_nc_u32_e32 v8, 0x71, v65
	v_cmp_gt_u32_e32 vcc_lo, 0x72, v65
	v_cndmask_b32_e32 v8, 0, v8, vcc_lo
	v_cmp_eq_u32_e32 vcc_lo, 0, v65
	s_delay_alu instid0(VALU_DEP_2) | instskip(SKIP_1) | instid1(VALU_DEP_2)
	v_cndmask_b32_e64 v66, v8, 0x70, vcc_lo
	v_cndmask_b32_e32 v6, v67, v6, vcc_lo
	v_dual_add_nc_u32 v8, 21, v66 :: v_dual_add_nc_u32 v68, 20, v66
	s_delay_alu instid0(VALU_DEP_1) | instskip(NEXT) | instid1(VALU_DEP_2)
	v_lshlrev_b64_e64 v[8:9], v8, -1
	v_lshlrev_b64_e64 v[68:69], v68, 1
	s_delay_alu instid0(VALU_DEP_2) | instskip(SKIP_1) | instid1(VALU_DEP_4)
	v_bfi_b32 v8, v8, 0, v6
	v_lshrrev_b64 v[6:7], v66, v[6:7]
	v_bfi_b32 v9, v9, 0, 0
	s_delay_alu instid0(VALU_DEP_1) | instskip(NEXT) | instid1(VALU_DEP_3)
	v_cmp_eq_u64_e64 s7, v[8:9], v[68:69]
	v_mov_b64_e32 v[8:9], v[6:7]
	s_and_saveexec_b32 s42, s7
; %bb.8359:                             ;   in Loop: Header=BB6_7543 Depth=2
	v_bfe_u32 v8, v6, 21, 1
	v_mov_b32_e32 v9, v25
	s_delay_alu instid0(VALU_DEP_1) | instskip(NEXT) | instid1(VALU_DEP_1)
	v_add_nc_u64_e32 v[8:9], v[6:7], v[8:9]
	v_add_nc_u64_e32 v[8:9], -1, v[8:9]
; %bb.8360:                             ;   in Loop: Header=BB6_7543 Depth=2
	s_or_b32 exec_lo, exec_lo, s42
	v_add_nc_u32_e32 v7, 0xffffff81, v65
	v_lshrrev_b32_e32 v9, 23, v6
	s_mov_b32 s7, exec_lo
	s_delay_alu instid0(VALU_DEP_2) | instskip(NEXT) | instid1(VALU_DEP_1)
	v_cndmask_b32_e64 v7, v7, 0xffffff82, vcc_lo
	v_add3_u32 v9, v66, v7, v9
	v_and_b32_e32 v7, 0x1fffff, v8
                                        ; implicit-def: $vgpr8
	s_delay_alu instid0(VALU_DEP_1) | instskip(SKIP_1) | instid1(VALU_DEP_2)
	v_dual_add_nc_u32 v65, 14, v9 :: v_dual_add_nc_u32 v6, v7, v6
	v_mov_b32_e32 v7, v25
	v_cmpx_ne_u32_e32 0, v65
	s_xor_b32 s7, exec_lo, s7
; %bb.8361:                             ;   in Loop: Header=BB6_7543 Depth=2
	s_delay_alu instid0(VALU_DEP_2) | instskip(SKIP_2) | instid1(VALU_DEP_2)
	v_cmp_lt_u64_e32 vcc_lo, 0xffffff, v[6:7]
	v_add_nc_u32_e32 v8, 15, v9
	v_cndmask_b32_e64 v9, 0, 1, vcc_lo
	v_cndmask_b32_e32 v8, v65, v8, vcc_lo
	s_delay_alu instid0(VALU_DEP_2)
	v_lshrrev_b64 v[6:7], v9, v[6:7]
; %bb.8362:                             ;   in Loop: Header=BB6_7543 Depth=2
	s_and_not1_saveexec_b32 s7, s7
; %bb.8363:                             ;   in Loop: Header=BB6_7543 Depth=2
	s_delay_alu instid0(VALU_DEP_1)
	v_bfe_u32 v8, v6, 23, 1
; %bb.8364:                             ;   in Loop: Header=BB6_7543 Depth=2
	s_or_b32 exec_lo, exec_lo, s7
	s_delay_alu instid0(VALU_DEP_2) | instskip(NEXT) | instid1(VALU_DEP_2)
	v_lshrrev_b64 v[6:7], 21, v[6:7]
	v_cmp_gt_i32_e32 vcc_lo, 32, v8
	v_min_i32_e32 v9, 31, v8
	v_cmp_eq_u32_e64 s7, 0, v8
	s_delay_alu instid0(VALU_DEP_2) | instskip(SKIP_1) | instid1(VALU_DEP_2)
	v_dual_cndmask_b32 v7, 0, v7, vcc_lo :: v_dual_lshlrev_b32 v9, 2, v9
	v_cndmask_b32_e32 v6, 3, v6, vcc_lo
	v_and_b32_e32 v9, 0xfc, v9
	s_delay_alu instid0(VALU_DEP_2) | instskip(NEXT) | instid1(VALU_DEP_2)
	v_cmp_eq_u64_e32 vcc_lo, 0, v[6:7]
	v_and_or_b32 v6, v6, 3, v9
	s_and_b32 s7, s7, vcc_lo
	s_delay_alu instid0(VALU_DEP_1) | instid1(SALU_CYCLE_1)
	v_cndmask_b32_e64 v6, v6, 0, s7
	s_delay_alu instid0(VALU_DEP_1)
	v_or_b32_e32 v65, v6, v1
.LBB6_8365:                             ;   in Loop: Header=BB6_7543 Depth=2
	s_or_b32 exec_lo, exec_lo, s41
                                        ; implicit-def: $vgpr1
.LBB6_8366:                             ;   in Loop: Header=BB6_7543 Depth=2
	s_and_not1_saveexec_b32 s7, s14
; %bb.8367:                             ;   in Loop: Header=BB6_7543 Depth=2
	v_or_b32_e32 v65, 0x7b, v1
; %bb.8368:                             ;   in Loop: Header=BB6_7543 Depth=2
	s_or_b32 exec_lo, exec_lo, s7
                                        ; implicit-def: $vgpr8
                                        ; implicit-def: $vgpr6_vgpr7
                                        ; implicit-def: $vgpr1
.LBB6_8369:                             ;   in Loop: Header=BB6_7543 Depth=2
	s_and_not1_saveexec_b32 s7, s10
	s_cbranch_execz .LBB6_8375
; %bb.8370:                             ;   in Loop: Header=BB6_7543 Depth=2
	s_mov_b32 s10, exec_lo
                                        ; implicit-def: $vgpr65
	v_cmpx_ne_u64_e32 0, v[6:7]
	s_xor_b32 s10, exec_lo, s10
; %bb.8371:                             ;   in Loop: Header=BB6_7543 Depth=2
	v_or_b32_e32 v65, 0x7f, v1
                                        ; implicit-def: $vgpr8
; %bb.8372:                             ;   in Loop: Header=BB6_7543 Depth=2
	s_and_not1_saveexec_b32 s10, s10
; %bb.8373:                             ;   in Loop: Header=BB6_7543 Depth=2
	v_cmp_lt_i32_e32 vcc_lo, -1, v8
	v_cndmask_b32_e32 v65, 0xfc, v41, vcc_lo
; %bb.8374:                             ;   in Loop: Header=BB6_7543 Depth=2
	s_or_b32 exec_lo, exec_lo, s10
.LBB6_8375:                             ;   in Loop: Header=BB6_7543 Depth=2
	s_delay_alu instid0(SALU_CYCLE_1) | instskip(SKIP_4) | instid1(VALU_DEP_2)
	s_or_b32 exec_lo, exec_lo, s7
	v_lshrrev_b16 v8, 8, v24
	v_lshrrev_b16 v6, 8, v0
	s_and_b32 vcc_lo, exec_lo, s13
	s_mov_b32 s10, -1
                                        ; implicit-def: $vgpr7
	v_and_b32_e32 v1, 0xffff, v8
	v_cmp_ne_u16_e64 s7, 0, v8
	s_cbranch_vccz .LBB6_8397
; %bb.8376:                             ;   in Loop: Header=BB6_7543 Depth=2
	v_dual_mov_b32 v7, 0 :: v_dual_mov_b32 v9, 0
	s_and_saveexec_b32 s10, s7
	s_cbranch_execz .LBB6_8386
; %bb.8377:                             ;   in Loop: Header=BB6_7543 Depth=2
	v_bfrev_b32_e32 v9, 1
	s_mov_b32 s14, exec_lo
	v_cmpx_ne_u16_e32 0x80, v8
	s_cbranch_execz .LBB6_8385
; %bb.8378:                             ;   in Loop: Header=BB6_7543 Depth=2
	v_and_b32_e32 v9, 0x7c, v1
	v_and_b32_e32 v66, 3, v1
	s_delay_alu instid0(VALU_DEP_2) | instskip(SKIP_1) | instid1(SALU_CYCLE_1)
	v_cmp_ne_u32_e32 vcc_lo, 0x7c, v9
                                        ; implicit-def: $vgpr9
	s_and_saveexec_b32 s41, vcc_lo
	s_xor_b32 s41, exec_lo, s41
	s_cbranch_execz .LBB6_8382
; %bb.8379:                             ;   in Loop: Header=BB6_7543 Depth=2
	v_bfe_u32 v9, v1, 2, 5
	s_mov_b32 s42, exec_lo
	s_delay_alu instid0(VALU_DEP_1)
	v_cmpx_eq_u32_e32 0, v9
; %bb.8380:                             ;   in Loop: Header=BB6_7543 Depth=2
	v_clz_i32_u32_e32 v9, v66
	s_delay_alu instid0(VALU_DEP_1) | instskip(SKIP_1) | instid1(VALU_DEP_2)
	v_min_u32_e32 v68, 32, v9
	v_mov_b32_e32 v9, v25
	v_subrev_nc_u32_e32 v66, 29, v68
	s_delay_alu instid0(VALU_DEP_1) | instskip(NEXT) | instid1(VALU_DEP_1)
	v_lshlrev_b64_e32 v[66:67], v66, v[8:9]
	v_dual_sub_nc_u32 v9, 30, v68 :: v_dual_bitop2_b32 v66, 3, v66 bitop3:0x40
; %bb.8381:                             ;   in Loop: Header=BB6_7543 Depth=2
	s_or_b32 exec_lo, exec_lo, s42
	v_lshlrev_b32_e32 v67, 16, v24
	s_delay_alu instid0(VALU_DEP_1) | instskip(NEXT) | instid1(VALU_DEP_1)
	v_and_b32_e32 v67, 0x80000000, v67
	v_lshl_add_u32 v9, v9, 23, v67
	s_delay_alu instid0(VALU_DEP_1) | instskip(NEXT) | instid1(VALU_DEP_1)
	v_lshl_or_b32 v9, v66, 21, v9
                                        ; implicit-def: $vgpr66
	v_add_nc_u32_e32 v9, 0x38000000, v9
.LBB6_8382:                             ;   in Loop: Header=BB6_7543 Depth=2
	s_and_not1_saveexec_b32 s41, s41
; %bb.8383:                             ;   in Loop: Header=BB6_7543 Depth=2
	v_cmp_lt_i16_e32 vcc_lo, -1, v24
	v_cndmask_b32_e32 v9, 0xff800000, v75, vcc_lo
	v_cmp_eq_u32_e32 vcc_lo, 0, v66
	s_delay_alu instid0(VALU_DEP_2)
	v_cndmask_b32_e32 v9, 0x7f800001, v9, vcc_lo
; %bb.8384:                             ;   in Loop: Header=BB6_7543 Depth=2
	s_or_b32 exec_lo, exec_lo, s41
.LBB6_8385:                             ;   in Loop: Header=BB6_7543 Depth=2
	s_delay_alu instid0(SALU_CYCLE_1)
	s_or_b32 exec_lo, exec_lo, s14
.LBB6_8386:                             ;   in Loop: Header=BB6_7543 Depth=2
	s_delay_alu instid0(SALU_CYCLE_1) | instskip(NEXT) | instid1(SALU_CYCLE_1)
	s_or_b32 exec_lo, exec_lo, s10
	s_mov_b32 s10, exec_lo
	v_cmpx_ne_u16_e32 0, v6
	s_cbranch_execz .LBB6_8396
; %bb.8387:                             ;   in Loop: Header=BB6_7543 Depth=2
	v_bfrev_b32_e32 v7, 1
	s_mov_b32 s14, exec_lo
	v_cmpx_ne_u16_e32 0x80, v6
	s_cbranch_execz .LBB6_8395
; %bb.8388:                             ;   in Loop: Header=BB6_7543 Depth=2
	v_and_b32_e32 v67, 0xffff, v6
	s_delay_alu instid0(VALU_DEP_1) | instskip(SKIP_1) | instid1(VALU_DEP_2)
	v_and_b32_e32 v7, 0x7c, v67
	v_and_b32_e32 v66, 3, v67
	v_cmp_ne_u32_e32 vcc_lo, 0x7c, v7
                                        ; implicit-def: $vgpr7
	s_and_saveexec_b32 s41, vcc_lo
	s_delay_alu instid0(SALU_CYCLE_1)
	s_xor_b32 s41, exec_lo, s41
	s_cbranch_execz .LBB6_8392
; %bb.8389:                             ;   in Loop: Header=BB6_7543 Depth=2
	v_bfe_u32 v7, v67, 2, 5
	s_mov_b32 s42, exec_lo
	s_delay_alu instid0(VALU_DEP_1)
	v_cmpx_eq_u32_e32 0, v7
; %bb.8390:                             ;   in Loop: Header=BB6_7543 Depth=2
	v_clz_i32_u32_e32 v7, v66
	s_delay_alu instid0(VALU_DEP_1) | instskip(SKIP_1) | instid1(VALU_DEP_2)
	v_min_u32_e32 v68, 32, v7
	v_mov_b32_e32 v7, v25
	v_subrev_nc_u32_e32 v66, 29, v68
	s_delay_alu instid0(VALU_DEP_1) | instskip(NEXT) | instid1(VALU_DEP_1)
	v_lshlrev_b64_e32 v[66:67], v66, v[6:7]
	v_dual_sub_nc_u32 v7, 30, v68 :: v_dual_bitop2_b32 v66, 3, v66 bitop3:0x40
; %bb.8391:                             ;   in Loop: Header=BB6_7543 Depth=2
	s_or_b32 exec_lo, exec_lo, s42
	v_lshlrev_b32_e32 v67, 16, v0
	s_delay_alu instid0(VALU_DEP_1) | instskip(NEXT) | instid1(VALU_DEP_1)
	v_and_b32_e32 v67, 0x80000000, v67
	v_lshl_add_u32 v7, v7, 23, v67
	s_delay_alu instid0(VALU_DEP_1) | instskip(NEXT) | instid1(VALU_DEP_1)
	v_lshl_or_b32 v7, v66, 21, v7
                                        ; implicit-def: $vgpr66
	v_add_nc_u32_e32 v7, 0x38000000, v7
.LBB6_8392:                             ;   in Loop: Header=BB6_7543 Depth=2
	s_and_not1_saveexec_b32 s41, s41
; %bb.8393:                             ;   in Loop: Header=BB6_7543 Depth=2
	v_cmp_lt_i16_e32 vcc_lo, -1, v0
	v_cndmask_b32_e32 v7, 0xff800000, v75, vcc_lo
	v_cmp_eq_u32_e32 vcc_lo, 0, v66
	s_delay_alu instid0(VALU_DEP_2)
	v_cndmask_b32_e32 v7, 0x7f800001, v7, vcc_lo
; %bb.8394:                             ;   in Loop: Header=BB6_7543 Depth=2
	s_or_b32 exec_lo, exec_lo, s41
.LBB6_8395:                             ;   in Loop: Header=BB6_7543 Depth=2
	s_delay_alu instid0(SALU_CYCLE_1)
	s_or_b32 exec_lo, exec_lo, s14
.LBB6_8396:                             ;   in Loop: Header=BB6_7543 Depth=2
	s_delay_alu instid0(SALU_CYCLE_1) | instskip(NEXT) | instid1(VALU_DEP_1)
	s_or_b32 exec_lo, exec_lo, s10
	v_dual_max_num_f32 v7, v7, v7 :: v_dual_max_num_f32 v9, v9, v9
	s_mov_b32 s10, 0
	s_delay_alu instid0(VALU_DEP_1)
	v_max_num_f32_e32 v7, v9, v7
.LBB6_8397:                             ;   in Loop: Header=BB6_7543 Depth=2
	s_and_b32 vcc_lo, exec_lo, s10
	s_cbranch_vccz .LBB6_8419
; %bb.8398:                             ;   in Loop: Header=BB6_7543 Depth=2
	v_dual_mov_b32 v7, 0 :: v_dual_mov_b32 v9, 0
	s_and_saveexec_b32 s10, s7
	s_cbranch_execz .LBB6_8408
; %bb.8399:                             ;   in Loop: Header=BB6_7543 Depth=2
	v_bfrev_b32_e32 v9, 1
	s_mov_b32 s7, exec_lo
	v_cmpx_ne_u16_e32 0x80, v8
	s_cbranch_execz .LBB6_8407
; %bb.8400:                             ;   in Loop: Header=BB6_7543 Depth=2
	v_and_b32_e32 v9, 0x7c, v1
	v_and_b32_e32 v66, 3, v1
	s_delay_alu instid0(VALU_DEP_2) | instskip(SKIP_1) | instid1(SALU_CYCLE_1)
	v_cmp_ne_u32_e32 vcc_lo, 0x7c, v9
                                        ; implicit-def: $vgpr9
	s_and_saveexec_b32 s14, vcc_lo
	s_xor_b32 s14, exec_lo, s14
	s_cbranch_execz .LBB6_8404
; %bb.8401:                             ;   in Loop: Header=BB6_7543 Depth=2
	v_bfe_u32 v1, v1, 2, 5
	s_mov_b32 s41, exec_lo
	s_delay_alu instid0(VALU_DEP_1)
	v_cmpx_eq_u32_e32 0, v1
	s_cbranch_execz .LBB6_8403
; %bb.8402:                             ;   in Loop: Header=BB6_7543 Depth=2
	v_clz_i32_u32_e32 v1, v66
	s_delay_alu instid0(VALU_DEP_1) | instskip(SKIP_1) | instid1(VALU_DEP_2)
	v_min_u32_e32 v1, 32, v1
	v_mov_b32_e32 v9, v25
	v_subrev_nc_u32_e32 v66, 29, v1
	v_sub_nc_u32_e32 v1, 30, v1
	s_delay_alu instid0(VALU_DEP_2) | instskip(NEXT) | instid1(VALU_DEP_1)
	v_lshlrev_b64_e32 v[8:9], v66, v[8:9]
	v_and_b32_e32 v66, 3, v8
.LBB6_8403:                             ;   in Loop: Header=BB6_7543 Depth=2
	s_or_b32 exec_lo, exec_lo, s41
	v_lshlrev_b32_e32 v8, 16, v24
	s_delay_alu instid0(VALU_DEP_1) | instskip(NEXT) | instid1(VALU_DEP_1)
	v_and_b32_e32 v8, 0x80000000, v8
	v_lshl_add_u32 v1, v1, 23, v8
	s_delay_alu instid0(VALU_DEP_1) | instskip(NEXT) | instid1(VALU_DEP_1)
	v_lshl_or_b32 v1, v66, 21, v1
                                        ; implicit-def: $vgpr66
	v_add_nc_u32_e32 v9, 0x38000000, v1
.LBB6_8404:                             ;   in Loop: Header=BB6_7543 Depth=2
	s_and_not1_saveexec_b32 s14, s14
; %bb.8405:                             ;   in Loop: Header=BB6_7543 Depth=2
	v_cmp_lt_i16_e32 vcc_lo, -1, v24
	v_cndmask_b32_e32 v1, 0xff800000, v75, vcc_lo
	v_cmp_eq_u32_e32 vcc_lo, 0, v66
	s_delay_alu instid0(VALU_DEP_2)
	v_cndmask_b32_e32 v9, 0x7f800001, v1, vcc_lo
; %bb.8406:                             ;   in Loop: Header=BB6_7543 Depth=2
	s_or_b32 exec_lo, exec_lo, s14
.LBB6_8407:                             ;   in Loop: Header=BB6_7543 Depth=2
	s_delay_alu instid0(SALU_CYCLE_1)
	s_or_b32 exec_lo, exec_lo, s7
.LBB6_8408:                             ;   in Loop: Header=BB6_7543 Depth=2
	s_delay_alu instid0(SALU_CYCLE_1) | instskip(NEXT) | instid1(SALU_CYCLE_1)
	s_or_b32 exec_lo, exec_lo, s10
	s_mov_b32 s7, exec_lo
	v_cmpx_ne_u16_e32 0, v6
	s_cbranch_execz .LBB6_8418
; %bb.8409:                             ;   in Loop: Header=BB6_7543 Depth=2
	v_bfrev_b32_e32 v7, 1
	s_mov_b32 s10, exec_lo
	v_cmpx_ne_u16_e32 0x80, v6
	s_cbranch_execz .LBB6_8417
; %bb.8410:                             ;   in Loop: Header=BB6_7543 Depth=2
	v_and_b32_e32 v1, 0xffff, v6
	s_delay_alu instid0(VALU_DEP_1) | instskip(SKIP_1) | instid1(VALU_DEP_2)
	v_and_b32_e32 v7, 0x7c, v1
	v_and_b32_e32 v8, 3, v1
	v_cmp_ne_u32_e32 vcc_lo, 0x7c, v7
                                        ; implicit-def: $vgpr7
	s_and_saveexec_b32 s14, vcc_lo
	s_delay_alu instid0(SALU_CYCLE_1)
	s_xor_b32 s14, exec_lo, s14
	s_cbranch_execz .LBB6_8414
; %bb.8411:                             ;   in Loop: Header=BB6_7543 Depth=2
	v_bfe_u32 v1, v1, 2, 5
	s_mov_b32 s41, exec_lo
	s_delay_alu instid0(VALU_DEP_1)
	v_cmpx_eq_u32_e32 0, v1
	s_cbranch_execz .LBB6_8413
; %bb.8412:                             ;   in Loop: Header=BB6_7543 Depth=2
	v_clz_i32_u32_e32 v1, v8
	s_delay_alu instid0(VALU_DEP_1) | instskip(SKIP_1) | instid1(VALU_DEP_2)
	v_min_u32_e32 v1, 32, v1
	v_mov_b32_e32 v7, v25
	v_subrev_nc_u32_e32 v8, 29, v1
	v_sub_nc_u32_e32 v1, 30, v1
	s_delay_alu instid0(VALU_DEP_2) | instskip(NEXT) | instid1(VALU_DEP_1)
	v_lshlrev_b64_e32 v[6:7], v8, v[6:7]
	v_and_b32_e32 v8, 3, v6
.LBB6_8413:                             ;   in Loop: Header=BB6_7543 Depth=2
	s_or_b32 exec_lo, exec_lo, s41
	v_lshlrev_b32_e32 v0, 16, v0
	s_delay_alu instid0(VALU_DEP_1) | instskip(NEXT) | instid1(VALU_DEP_1)
	v_and_b32_e32 v0, 0x80000000, v0
	v_lshl_add_u32 v0, v1, 23, v0
	s_delay_alu instid0(VALU_DEP_1) | instskip(NEXT) | instid1(VALU_DEP_1)
	v_lshl_or_b32 v0, v8, 21, v0
                                        ; implicit-def: $vgpr8
	v_add_nc_u32_e32 v7, 0x38000000, v0
                                        ; implicit-def: $vgpr0_vgpr1
.LBB6_8414:                             ;   in Loop: Header=BB6_7543 Depth=2
	s_and_not1_saveexec_b32 s14, s14
; %bb.8415:                             ;   in Loop: Header=BB6_7543 Depth=2
	v_cmp_lt_i16_e32 vcc_lo, -1, v0
	v_cndmask_b32_e32 v0, 0xff800000, v75, vcc_lo
	v_cmp_eq_u32_e32 vcc_lo, 0, v8
	s_delay_alu instid0(VALU_DEP_2)
	v_cndmask_b32_e32 v7, 0x7f800001, v0, vcc_lo
; %bb.8416:                             ;   in Loop: Header=BB6_7543 Depth=2
	s_or_b32 exec_lo, exec_lo, s14
.LBB6_8417:                             ;   in Loop: Header=BB6_7543 Depth=2
	s_delay_alu instid0(SALU_CYCLE_1)
	s_or_b32 exec_lo, exec_lo, s10
.LBB6_8418:                             ;   in Loop: Header=BB6_7543 Depth=2
	s_delay_alu instid0(SALU_CYCLE_1) | instskip(NEXT) | instid1(VALU_DEP_1)
	s_or_b32 exec_lo, exec_lo, s7
	v_dual_max_num_f32 v0, v7, v7 :: v_dual_max_num_f32 v1, v9, v9
	s_delay_alu instid0(VALU_DEP_1)
	v_min_num_f32_e32 v7, v1, v0
.LBB6_8419:                             ;   in Loop: Header=BB6_7543 Depth=2
	s_delay_alu instid0(VALU_DEP_1) | instskip(SKIP_2) | instid1(VALU_DEP_2)
	v_and_b32_e32 v0, 0x7f800000, v7
	v_mov_b32_e32 v1, v25
	v_and_b32_e32 v24, 0x7fffff, v7
                                        ; implicit-def: $vgpr66
	v_cmp_ne_u64_e32 vcc_lo, 0x7f800000, v[0:1]
	v_lshrrev_b32_e32 v0, 24, v7
	s_and_saveexec_b32 s7, vcc_lo
	s_delay_alu instid0(SALU_CYCLE_1)
	s_xor_b32 s10, exec_lo, s7
	s_cbranch_execz .LBB6_8433
; %bb.8420:                             ;   in Loop: Header=BB6_7543 Depth=2
	v_and_b32_e32 v8, 0x7fffffff, v7
	v_mov_b32_e32 v9, v25
                                        ; implicit-def: $vgpr66
	s_delay_alu instid0(VALU_DEP_1) | instskip(SKIP_2) | instid1(SALU_CYCLE_1)
	v_cmp_gt_u64_e32 vcc_lo, 0x47600001, v[8:9]
	v_and_b32_e32 v8, 0x80, v0
	s_and_saveexec_b32 s7, vcc_lo
	s_xor_b32 s14, exec_lo, s7
	s_cbranch_execz .LBB6_8430
; %bb.8421:                             ;   in Loop: Header=BB6_7543 Depth=2
	v_mov_b32_e32 v66, 0
	s_mov_b32 s41, exec_lo
	v_cmpx_ne_u32_e32 0, v7
	s_cbranch_execz .LBB6_8429
; %bb.8422:                             ;   in Loop: Header=BB6_7543 Depth=2
	v_bfe_u32 v9, v7, 23, 8
	v_or_b32_e32 v6, 0x800000, v24
	s_delay_alu instid0(VALU_DEP_2) | instskip(SKIP_1) | instid1(VALU_DEP_2)
	v_sub_nc_u32_e32 v0, 0x71, v9
	v_cmp_gt_u32_e32 vcc_lo, 0x72, v9
	v_cndmask_b32_e32 v0, 0, v0, vcc_lo
	v_cmp_eq_u32_e32 vcc_lo, 0, v9
	s_delay_alu instid0(VALU_DEP_2) | instskip(NEXT) | instid1(VALU_DEP_1)
	v_cndmask_b32_e64 v66, v0, 0x70, vcc_lo
	v_dual_cndmask_b32 v24, v6, v24, vcc_lo :: v_dual_add_nc_u32 v0, 21, v66
	v_add_nc_u32_e32 v7, 20, v66
	s_delay_alu instid0(VALU_DEP_2) | instskip(NEXT) | instid1(VALU_DEP_2)
	v_lshlrev_b64_e64 v[0:1], v0, -1
	v_lshlrev_b64_e64 v[6:7], v7, 1
	s_delay_alu instid0(VALU_DEP_2) | instskip(NEXT) | instid1(VALU_DEP_3)
	v_bfi_b32 v69, v1, 0, 0
	v_bfi_b32 v68, v0, 0, v24
	v_lshrrev_b64 v[0:1], v66, v[24:25]
	s_delay_alu instid0(VALU_DEP_2) | instskip(NEXT) | instid1(VALU_DEP_2)
	v_cmp_eq_u64_e64 s7, v[68:69], v[6:7]
	v_mov_b64_e32 v[6:7], v[0:1]
	s_and_saveexec_b32 s42, s7
; %bb.8423:                             ;   in Loop: Header=BB6_7543 Depth=2
	v_bfe_u32 v24, v0, 21, 1
	s_delay_alu instid0(VALU_DEP_1) | instskip(NEXT) | instid1(VALU_DEP_1)
	v_add_nc_u64_e32 v[6:7], v[0:1], v[24:25]
	v_add_nc_u64_e32 v[6:7], -1, v[6:7]
; %bb.8424:                             ;   in Loop: Header=BB6_7543 Depth=2
	s_or_b32 exec_lo, exec_lo, s42
	v_add_nc_u32_e32 v1, 0xffffff81, v9
	v_lshrrev_b32_e32 v7, 23, v0
	s_mov_b32 s7, exec_lo
	s_delay_alu instid0(VALU_DEP_2) | instskip(NEXT) | instid1(VALU_DEP_1)
	v_cndmask_b32_e64 v1, v1, 0xffffff82, vcc_lo
	v_add3_u32 v7, v66, v1, v7
	v_and_b32_e32 v1, 0x1fffff, v6
                                        ; implicit-def: $vgpr6
	s_delay_alu instid0(VALU_DEP_1) | instskip(NEXT) | instid1(VALU_DEP_1)
	v_dual_add_nc_u32 v9, 14, v7 :: v_dual_add_nc_u32 v24, v1, v0
                                        ; implicit-def: $vgpr0_vgpr1
	v_cmpx_ne_u32_e32 0, v9
	s_xor_b32 s7, exec_lo, s7
; %bb.8425:                             ;   in Loop: Header=BB6_7543 Depth=2
	s_delay_alu instid0(VALU_DEP_2) | instskip(SKIP_1) | instid1(VALU_DEP_1)
	v_cmp_lt_u64_e32 vcc_lo, 0xffffff, v[24:25]
	v_add_nc_u32_e32 v0, 15, v7
	v_cndmask_b32_e32 v6, v9, v0, vcc_lo
	v_cndmask_b32_e64 v0, 0, 1, vcc_lo
	s_delay_alu instid0(VALU_DEP_1)
	v_lshrrev_b64 v[0:1], v0, v[24:25]
; %bb.8426:                             ;   in Loop: Header=BB6_7543 Depth=2
	s_and_not1_saveexec_b32 s7, s7
; %bb.8427:                             ;   in Loop: Header=BB6_7543 Depth=2
	v_mov_b64_e32 v[0:1], v[24:25]
	v_bfe_u32 v6, v24, 23, 1
; %bb.8428:                             ;   in Loop: Header=BB6_7543 Depth=2
	s_or_b32 exec_lo, exec_lo, s7
	s_delay_alu instid0(VALU_DEP_2) | instskip(NEXT) | instid1(VALU_DEP_2)
	v_lshrrev_b64 v[0:1], 21, v[0:1]
	v_cmp_gt_i32_e32 vcc_lo, 32, v6
	v_min_i32_e32 v7, 31, v6
	v_cmp_eq_u32_e64 s7, 0, v6
	s_delay_alu instid0(VALU_DEP_2) | instskip(SKIP_1) | instid1(VALU_DEP_2)
	v_dual_cndmask_b32 v1, 0, v1, vcc_lo :: v_dual_lshlrev_b32 v7, 2, v7
	v_cndmask_b32_e32 v0, 3, v0, vcc_lo
	v_and_b32_e32 v7, 0xfc, v7
	s_delay_alu instid0(VALU_DEP_2) | instskip(NEXT) | instid1(VALU_DEP_2)
	v_cmp_eq_u64_e32 vcc_lo, 0, v[0:1]
	v_and_or_b32 v0, v0, 3, v7
	s_and_b32 s7, s7, vcc_lo
	s_delay_alu instid0(VALU_DEP_1) | instid1(SALU_CYCLE_1)
	v_cndmask_b32_e64 v0, v0, 0, s7
	s_delay_alu instid0(VALU_DEP_1)
	v_or_b32_e32 v66, v0, v8
.LBB6_8429:                             ;   in Loop: Header=BB6_7543 Depth=2
	s_or_b32 exec_lo, exec_lo, s41
                                        ; implicit-def: $vgpr8
.LBB6_8430:                             ;   in Loop: Header=BB6_7543 Depth=2
	s_and_not1_saveexec_b32 s7, s14
; %bb.8431:                             ;   in Loop: Header=BB6_7543 Depth=2
	v_or_b32_e32 v66, 0x7b, v8
; %bb.8432:                             ;   in Loop: Header=BB6_7543 Depth=2
	s_or_b32 exec_lo, exec_lo, s7
                                        ; implicit-def: $vgpr7
                                        ; implicit-def: $vgpr0
.LBB6_8433:                             ;   in Loop: Header=BB6_7543 Depth=2
	s_and_not1_saveexec_b32 s7, s10
	s_cbranch_execz .LBB6_8439
; %bb.8434:                             ;   in Loop: Header=BB6_7543 Depth=2
	s_mov_b32 s10, exec_lo
                                        ; implicit-def: $vgpr66
	v_cmpx_ne_u64_e32 0, v[24:25]
	s_xor_b32 s10, exec_lo, s10
; %bb.8435:                             ;   in Loop: Header=BB6_7543 Depth=2
	v_or_b32_e32 v66, 0x7f, v0
                                        ; implicit-def: $vgpr7
; %bb.8436:                             ;   in Loop: Header=BB6_7543 Depth=2
	s_and_not1_saveexec_b32 s10, s10
; %bb.8437:                             ;   in Loop: Header=BB6_7543 Depth=2
	v_cmp_lt_i32_e32 vcc_lo, -1, v7
	v_cndmask_b32_e32 v66, 0xfc, v41, vcc_lo
; %bb.8438:                             ;   in Loop: Header=BB6_7543 Depth=2
	s_or_b32 exec_lo, exec_lo, s10
.LBB6_8439:                             ;   in Loop: Header=BB6_7543 Depth=2
	s_delay_alu instid0(SALU_CYCLE_1) | instskip(SKIP_4) | instid1(VALU_DEP_2)
	s_or_b32 exec_lo, exec_lo, s7
	v_lshrrev_b32_e32 v6, 16, v51
	v_lshrrev_b32_e32 v0, 16, v39
	s_and_b32 vcc_lo, exec_lo, s13
	s_mov_b32 s10, -1
                                        ; implicit-def: $vgpr7
	v_and_b32_e32 v1, 0xff, v6
	s_delay_alu instid0(VALU_DEP_1)
	v_cmp_ne_u16_e64 s7, 0, v1
	s_cbranch_vccz .LBB6_8461
; %bb.8440:                             ;   in Loop: Header=BB6_7543 Depth=2
	v_dual_mov_b32 v8, 0 :: v_dual_mov_b32 v7, 0
	s_and_saveexec_b32 s10, s7
	s_cbranch_execz .LBB6_8450
; %bb.8441:                             ;   in Loop: Header=BB6_7543 Depth=2
	v_bfrev_b32_e32 v7, 1
	s_mov_b32 s14, exec_lo
	v_cmpx_ne_u16_e32 0x80, v1
	s_cbranch_execz .LBB6_8449
; %bb.8442:                             ;   in Loop: Header=BB6_7543 Depth=2
	v_and_b32_e32 v7, 0x7c0000, v51
	v_bfe_u32 v9, v51, 16, 2
	s_delay_alu instid0(VALU_DEP_2) | instskip(SKIP_1) | instid1(SALU_CYCLE_1)
	v_cmp_ne_u32_e32 vcc_lo, 0x7c0000, v7
                                        ; implicit-def: $vgpr7
	s_and_saveexec_b32 s41, vcc_lo
	s_xor_b32 s41, exec_lo, s41
	s_cbranch_execz .LBB6_8446
; %bb.8443:                             ;   in Loop: Header=BB6_7543 Depth=2
	v_bfe_u32 v7, v51, 18, 5
	s_mov_b32 s42, exec_lo
	s_delay_alu instid0(VALU_DEP_1)
	v_cmpx_eq_u32_e32 0, v7
; %bb.8444:                             ;   in Loop: Header=BB6_7543 Depth=2
	v_clz_i32_u32_e32 v7, v9
	s_delay_alu instid0(VALU_DEP_1) | instskip(NEXT) | instid1(VALU_DEP_1)
	v_min_u32_e32 v7, 32, v7
	v_subrev_nc_u32_e32 v9, 29, v7
	s_delay_alu instid0(VALU_DEP_1) | instskip(NEXT) | instid1(VALU_DEP_1)
	v_lshlrev_b64_e32 v[68:69], v9, v[6:7]
	v_dual_sub_nc_u32 v7, 30, v7 :: v_dual_bitop2_b32 v9, 3, v68 bitop3:0x40
; %bb.8445:                             ;   in Loop: Header=BB6_7543 Depth=2
	s_or_b32 exec_lo, exec_lo, s42
	v_lshlrev_b32_e32 v24, 24, v6
	s_delay_alu instid0(VALU_DEP_1) | instskip(NEXT) | instid1(VALU_DEP_1)
	v_and_b32_e32 v24, 0x80000000, v24
	v_lshl_add_u32 v7, v7, 23, v24
	s_delay_alu instid0(VALU_DEP_1) | instskip(NEXT) | instid1(VALU_DEP_1)
	v_lshl_or_b32 v7, v9, 21, v7
                                        ; implicit-def: $vgpr9
	v_add_nc_u32_e32 v7, 0x38000000, v7
.LBB6_8446:                             ;   in Loop: Header=BB6_7543 Depth=2
	s_and_not1_saveexec_b32 s41, s41
; %bb.8447:                             ;   in Loop: Header=BB6_7543 Depth=2
	v_bfe_i32 v7, v6, 0, 8
	s_delay_alu instid0(VALU_DEP_1) | instskip(SKIP_2) | instid1(VALU_DEP_2)
	v_cmp_lt_i16_e32 vcc_lo, -1, v7
	v_cndmask_b32_e32 v7, 0xff800000, v75, vcc_lo
	v_cmp_eq_u32_e32 vcc_lo, 0, v9
	v_cndmask_b32_e32 v7, 0x7f800001, v7, vcc_lo
; %bb.8448:                             ;   in Loop: Header=BB6_7543 Depth=2
	s_or_b32 exec_lo, exec_lo, s41
.LBB6_8449:                             ;   in Loop: Header=BB6_7543 Depth=2
	s_delay_alu instid0(SALU_CYCLE_1)
	s_or_b32 exec_lo, exec_lo, s14
.LBB6_8450:                             ;   in Loop: Header=BB6_7543 Depth=2
	s_delay_alu instid0(SALU_CYCLE_1) | instskip(SKIP_2) | instid1(VALU_DEP_1)
	s_or_b32 exec_lo, exec_lo, s10
	v_and_b32_e32 v9, 0xff, v0
	s_mov_b32 s10, exec_lo
	v_cmpx_ne_u16_e32 0, v9
	s_cbranch_execz .LBB6_8460
; %bb.8451:                             ;   in Loop: Header=BB6_7543 Depth=2
	v_bfrev_b32_e32 v8, 1
	s_mov_b32 s14, exec_lo
	v_cmpx_ne_u16_e32 0x80, v9
	s_cbranch_execz .LBB6_8459
; %bb.8452:                             ;   in Loop: Header=BB6_7543 Depth=2
	v_and_b32_e32 v8, 0x7c0000, v39
	v_bfe_u32 v9, v39, 16, 2
	s_delay_alu instid0(VALU_DEP_2) | instskip(SKIP_1) | instid1(SALU_CYCLE_1)
	v_cmp_ne_u32_e32 vcc_lo, 0x7c0000, v8
                                        ; implicit-def: $vgpr8
	s_and_saveexec_b32 s41, vcc_lo
	s_xor_b32 s41, exec_lo, s41
	s_cbranch_execz .LBB6_8456
; %bb.8453:                             ;   in Loop: Header=BB6_7543 Depth=2
	v_bfe_u32 v8, v39, 18, 5
	s_mov_b32 s42, exec_lo
	s_delay_alu instid0(VALU_DEP_1)
	v_cmpx_eq_u32_e32 0, v8
; %bb.8454:                             ;   in Loop: Header=BB6_7543 Depth=2
	v_clz_i32_u32_e32 v8, v9
	s_delay_alu instid0(VALU_DEP_1) | instskip(NEXT) | instid1(VALU_DEP_1)
	v_min_u32_e32 v8, 32, v8
	v_subrev_nc_u32_e32 v9, 29, v8
	v_sub_nc_u32_e32 v8, 30, v8
	s_delay_alu instid0(VALU_DEP_2) | instskip(NEXT) | instid1(VALU_DEP_1)
	v_lshlrev_b64_e32 v[68:69], v9, v[0:1]
	v_and_b32_e32 v9, 3, v68
; %bb.8455:                             ;   in Loop: Header=BB6_7543 Depth=2
	s_or_b32 exec_lo, exec_lo, s42
	v_lshlrev_b32_e32 v24, 24, v0
	s_delay_alu instid0(VALU_DEP_1) | instskip(NEXT) | instid1(VALU_DEP_1)
	v_and_b32_e32 v24, 0x80000000, v24
	v_lshl_add_u32 v8, v8, 23, v24
	s_delay_alu instid0(VALU_DEP_1) | instskip(NEXT) | instid1(VALU_DEP_1)
	v_lshl_or_b32 v8, v9, 21, v8
                                        ; implicit-def: $vgpr9
	v_add_nc_u32_e32 v8, 0x38000000, v8
.LBB6_8456:                             ;   in Loop: Header=BB6_7543 Depth=2
	s_and_not1_saveexec_b32 s41, s41
; %bb.8457:                             ;   in Loop: Header=BB6_7543 Depth=2
	v_bfe_i32 v8, v0, 0, 8
	s_delay_alu instid0(VALU_DEP_1) | instskip(SKIP_2) | instid1(VALU_DEP_2)
	v_cmp_lt_i16_e32 vcc_lo, -1, v8
	v_cndmask_b32_e32 v8, 0xff800000, v75, vcc_lo
	v_cmp_eq_u32_e32 vcc_lo, 0, v9
	v_cndmask_b32_e32 v8, 0x7f800001, v8, vcc_lo
; %bb.8458:                             ;   in Loop: Header=BB6_7543 Depth=2
	s_or_b32 exec_lo, exec_lo, s41
.LBB6_8459:                             ;   in Loop: Header=BB6_7543 Depth=2
	s_delay_alu instid0(SALU_CYCLE_1)
	s_or_b32 exec_lo, exec_lo, s14
.LBB6_8460:                             ;   in Loop: Header=BB6_7543 Depth=2
	s_delay_alu instid0(SALU_CYCLE_1) | instskip(NEXT) | instid1(VALU_DEP_1)
	s_or_b32 exec_lo, exec_lo, s10
	v_dual_max_num_f32 v8, v8, v8 :: v_dual_max_num_f32 v7, v7, v7
	s_mov_b32 s10, 0
	s_delay_alu instid0(VALU_DEP_1)
	v_max_num_f32_e32 v7, v7, v8
.LBB6_8461:                             ;   in Loop: Header=BB6_7543 Depth=2
	s_and_b32 vcc_lo, exec_lo, s10
	s_cbranch_vccz .LBB6_8483
; %bb.8462:                             ;   in Loop: Header=BB6_7543 Depth=2
	v_dual_mov_b32 v8, 0 :: v_dual_mov_b32 v7, 0
	s_and_saveexec_b32 s10, s7
	s_cbranch_execz .LBB6_8472
; %bb.8463:                             ;   in Loop: Header=BB6_7543 Depth=2
	v_bfrev_b32_e32 v7, 1
	s_mov_b32 s7, exec_lo
	v_cmpx_ne_u16_e32 0x80, v1
	s_cbranch_execz .LBB6_8471
; %bb.8464:                             ;   in Loop: Header=BB6_7543 Depth=2
	v_and_b32_e32 v7, 0x7c0000, v51
	v_bfe_u32 v1, v51, 16, 2
	s_delay_alu instid0(VALU_DEP_2) | instskip(SKIP_1) | instid1(SALU_CYCLE_1)
	v_cmp_ne_u32_e32 vcc_lo, 0x7c0000, v7
                                        ; implicit-def: $vgpr7
	s_and_saveexec_b32 s14, vcc_lo
	s_xor_b32 s14, exec_lo, s14
	s_cbranch_execz .LBB6_8468
; %bb.8465:                             ;   in Loop: Header=BB6_7543 Depth=2
	v_bfe_u32 v7, v51, 18, 5
	s_mov_b32 s41, exec_lo
	s_delay_alu instid0(VALU_DEP_1)
	v_cmpx_eq_u32_e32 0, v7
; %bb.8466:                             ;   in Loop: Header=BB6_7543 Depth=2
	v_clz_i32_u32_e32 v1, v1
	s_delay_alu instid0(VALU_DEP_1) | instskip(NEXT) | instid1(VALU_DEP_1)
	v_min_u32_e32 v1, 32, v1
	v_subrev_nc_u32_e32 v7, 29, v1
	s_delay_alu instid0(VALU_DEP_1) | instskip(NEXT) | instid1(VALU_DEP_1)
	v_lshlrev_b64_e32 v[68:69], v7, v[6:7]
	v_dual_sub_nc_u32 v7, 30, v1 :: v_dual_bitop2_b32 v1, 3, v68 bitop3:0x40
; %bb.8467:                             ;   in Loop: Header=BB6_7543 Depth=2
	s_or_b32 exec_lo, exec_lo, s41
	v_lshlrev_b32_e32 v6, 24, v6
	s_delay_alu instid0(VALU_DEP_1) | instskip(NEXT) | instid1(VALU_DEP_1)
	v_and_b32_e32 v6, 0x80000000, v6
	v_lshl_add_u32 v6, v7, 23, v6
	s_delay_alu instid0(VALU_DEP_1) | instskip(NEXT) | instid1(VALU_DEP_1)
	v_lshl_or_b32 v1, v1, 21, v6
                                        ; implicit-def: $vgpr6
	v_add_nc_u32_e32 v7, 0x38000000, v1
                                        ; implicit-def: $vgpr1
.LBB6_8468:                             ;   in Loop: Header=BB6_7543 Depth=2
	s_and_not1_saveexec_b32 s14, s14
; %bb.8469:                             ;   in Loop: Header=BB6_7543 Depth=2
	v_bfe_i32 v6, v6, 0, 8
	s_delay_alu instid0(VALU_DEP_1) | instskip(SKIP_2) | instid1(VALU_DEP_2)
	v_cmp_lt_i16_e32 vcc_lo, -1, v6
	v_cndmask_b32_e32 v6, 0xff800000, v75, vcc_lo
	v_cmp_eq_u32_e32 vcc_lo, 0, v1
	v_cndmask_b32_e32 v7, 0x7f800001, v6, vcc_lo
; %bb.8470:                             ;   in Loop: Header=BB6_7543 Depth=2
	s_or_b32 exec_lo, exec_lo, s14
.LBB6_8471:                             ;   in Loop: Header=BB6_7543 Depth=2
	s_delay_alu instid0(SALU_CYCLE_1)
	s_or_b32 exec_lo, exec_lo, s7
.LBB6_8472:                             ;   in Loop: Header=BB6_7543 Depth=2
	s_delay_alu instid0(SALU_CYCLE_1) | instskip(SKIP_2) | instid1(VALU_DEP_1)
	s_or_b32 exec_lo, exec_lo, s10
	v_and_b32_e32 v1, 0xff, v0
	s_mov_b32 s7, exec_lo
	v_cmpx_ne_u16_e32 0, v1
	s_cbranch_execz .LBB6_8482
; %bb.8473:                             ;   in Loop: Header=BB6_7543 Depth=2
	v_bfrev_b32_e32 v8, 1
	s_mov_b32 s10, exec_lo
	v_cmpx_ne_u16_e32 0x80, v1
	s_cbranch_execz .LBB6_8481
; %bb.8474:                             ;   in Loop: Header=BB6_7543 Depth=2
	v_and_b32_e32 v6, 0x7c0000, v39
	v_bfe_u32 v1, v39, 16, 2
	s_mov_b32 s14, exec_lo
                                        ; implicit-def: $vgpr8
	s_delay_alu instid0(VALU_DEP_2)
	v_cmpx_ne_u32_e32 0x7c0000, v6
	s_xor_b32 s14, exec_lo, s14
	s_cbranch_execz .LBB6_8478
; %bb.8475:                             ;   in Loop: Header=BB6_7543 Depth=2
	v_bfe_u32 v6, v39, 18, 5
	s_mov_b32 s41, exec_lo
	s_delay_alu instid0(VALU_DEP_1)
	v_cmpx_eq_u32_e32 0, v6
; %bb.8476:                             ;   in Loop: Header=BB6_7543 Depth=2
	v_clz_i32_u32_e32 v1, v1
	s_delay_alu instid0(VALU_DEP_1) | instskip(NEXT) | instid1(VALU_DEP_1)
	v_min_u32_e32 v1, 32, v1
	v_subrev_nc_u32_e32 v6, 29, v1
	s_delay_alu instid0(VALU_DEP_1) | instskip(NEXT) | instid1(VALU_DEP_1)
	v_lshlrev_b64_e32 v[8:9], v6, v[0:1]
	v_dual_sub_nc_u32 v6, 30, v1 :: v_dual_bitop2_b32 v1, 3, v8 bitop3:0x40
; %bb.8477:                             ;   in Loop: Header=BB6_7543 Depth=2
	s_or_b32 exec_lo, exec_lo, s41
	v_lshlrev_b32_e32 v0, 24, v0
	s_delay_alu instid0(VALU_DEP_1) | instskip(NEXT) | instid1(VALU_DEP_1)
	v_and_b32_e32 v0, 0x80000000, v0
	v_lshl_add_u32 v0, v6, 23, v0
	s_delay_alu instid0(VALU_DEP_1) | instskip(NEXT) | instid1(VALU_DEP_1)
	v_lshl_or_b32 v0, v1, 21, v0
                                        ; implicit-def: $vgpr1
	v_add_nc_u32_e32 v8, 0x38000000, v0
                                        ; implicit-def: $vgpr0
.LBB6_8478:                             ;   in Loop: Header=BB6_7543 Depth=2
	s_and_not1_saveexec_b32 s14, s14
; %bb.8479:                             ;   in Loop: Header=BB6_7543 Depth=2
	v_bfe_i32 v0, v0, 0, 8
	s_delay_alu instid0(VALU_DEP_1) | instskip(SKIP_2) | instid1(VALU_DEP_2)
	v_cmp_lt_i16_e32 vcc_lo, -1, v0
	v_cndmask_b32_e32 v0, 0xff800000, v75, vcc_lo
	v_cmp_eq_u32_e32 vcc_lo, 0, v1
	v_cndmask_b32_e32 v8, 0x7f800001, v0, vcc_lo
; %bb.8480:                             ;   in Loop: Header=BB6_7543 Depth=2
	s_or_b32 exec_lo, exec_lo, s14
.LBB6_8481:                             ;   in Loop: Header=BB6_7543 Depth=2
	s_delay_alu instid0(SALU_CYCLE_1)
	s_or_b32 exec_lo, exec_lo, s10
.LBB6_8482:                             ;   in Loop: Header=BB6_7543 Depth=2
	s_delay_alu instid0(SALU_CYCLE_1) | instskip(NEXT) | instid1(VALU_DEP_1)
	s_or_b32 exec_lo, exec_lo, s7
	v_dual_max_num_f32 v0, v8, v8 :: v_dual_max_num_f32 v1, v7, v7
	s_delay_alu instid0(VALU_DEP_1)
	v_min_num_f32_e32 v7, v1, v0
.LBB6_8483:                             ;   in Loop: Header=BB6_7543 Depth=2
	s_delay_alu instid0(VALU_DEP_1) | instskip(SKIP_2) | instid1(VALU_DEP_2)
	v_and_b32_e32 v0, 0x7f800000, v7
	v_mov_b32_e32 v1, v25
	v_and_b32_e32 v24, 0x7fffff, v7
                                        ; implicit-def: $vgpr67
	v_cmp_ne_u64_e32 vcc_lo, 0x7f800000, v[0:1]
	v_lshrrev_b32_e32 v0, 24, v7
	s_and_saveexec_b32 s7, vcc_lo
	s_delay_alu instid0(SALU_CYCLE_1)
	s_xor_b32 s10, exec_lo, s7
	s_cbranch_execz .LBB6_8497
; %bb.8484:                             ;   in Loop: Header=BB6_7543 Depth=2
	v_and_b32_e32 v8, 0x7fffffff, v7
	v_mov_b32_e32 v9, v25
                                        ; implicit-def: $vgpr67
	s_delay_alu instid0(VALU_DEP_1) | instskip(SKIP_2) | instid1(SALU_CYCLE_1)
	v_cmp_gt_u64_e32 vcc_lo, 0x47600001, v[8:9]
	v_and_b32_e32 v8, 0x80, v0
	s_and_saveexec_b32 s7, vcc_lo
	s_xor_b32 s14, exec_lo, s7
	s_cbranch_execz .LBB6_8494
; %bb.8485:                             ;   in Loop: Header=BB6_7543 Depth=2
	v_mov_b32_e32 v67, 0
	s_mov_b32 s41, exec_lo
	v_cmpx_ne_u32_e32 0, v7
	s_cbranch_execz .LBB6_8493
; %bb.8486:                             ;   in Loop: Header=BB6_7543 Depth=2
	v_bfe_u32 v9, v7, 23, 8
	v_or_b32_e32 v6, 0x800000, v24
	s_delay_alu instid0(VALU_DEP_2) | instskip(SKIP_1) | instid1(VALU_DEP_2)
	v_sub_nc_u32_e32 v0, 0x71, v9
	v_cmp_gt_u32_e32 vcc_lo, 0x72, v9
	v_cndmask_b32_e32 v0, 0, v0, vcc_lo
	v_cmp_eq_u32_e32 vcc_lo, 0, v9
	s_delay_alu instid0(VALU_DEP_2) | instskip(NEXT) | instid1(VALU_DEP_1)
	v_cndmask_b32_e64 v67, v0, 0x70, vcc_lo
	v_dual_cndmask_b32 v24, v6, v24, vcc_lo :: v_dual_add_nc_u32 v0, 21, v67
	v_add_nc_u32_e32 v7, 20, v67
	s_delay_alu instid0(VALU_DEP_2) | instskip(NEXT) | instid1(VALU_DEP_2)
	v_lshlrev_b64_e64 v[0:1], v0, -1
	v_lshlrev_b64_e64 v[6:7], v7, 1
	s_delay_alu instid0(VALU_DEP_2) | instskip(NEXT) | instid1(VALU_DEP_3)
	v_bfi_b32 v69, v1, 0, 0
	v_bfi_b32 v68, v0, 0, v24
	v_lshrrev_b64 v[0:1], v67, v[24:25]
	s_delay_alu instid0(VALU_DEP_2) | instskip(NEXT) | instid1(VALU_DEP_2)
	v_cmp_eq_u64_e64 s7, v[68:69], v[6:7]
	v_mov_b64_e32 v[6:7], v[0:1]
	s_and_saveexec_b32 s42, s7
; %bb.8487:                             ;   in Loop: Header=BB6_7543 Depth=2
	v_bfe_u32 v24, v0, 21, 1
	s_delay_alu instid0(VALU_DEP_1) | instskip(NEXT) | instid1(VALU_DEP_1)
	v_add_nc_u64_e32 v[6:7], v[0:1], v[24:25]
	v_add_nc_u64_e32 v[6:7], -1, v[6:7]
; %bb.8488:                             ;   in Loop: Header=BB6_7543 Depth=2
	s_or_b32 exec_lo, exec_lo, s42
	v_add_nc_u32_e32 v1, 0xffffff81, v9
	v_lshrrev_b32_e32 v7, 23, v0
	s_mov_b32 s7, exec_lo
	s_delay_alu instid0(VALU_DEP_2) | instskip(NEXT) | instid1(VALU_DEP_1)
	v_cndmask_b32_e64 v1, v1, 0xffffff82, vcc_lo
	v_add3_u32 v7, v67, v1, v7
	v_and_b32_e32 v1, 0x1fffff, v6
                                        ; implicit-def: $vgpr6
	s_delay_alu instid0(VALU_DEP_1) | instskip(NEXT) | instid1(VALU_DEP_1)
	v_dual_add_nc_u32 v9, 14, v7 :: v_dual_add_nc_u32 v24, v1, v0
                                        ; implicit-def: $vgpr0_vgpr1
	v_cmpx_ne_u32_e32 0, v9
	s_xor_b32 s7, exec_lo, s7
; %bb.8489:                             ;   in Loop: Header=BB6_7543 Depth=2
	s_delay_alu instid0(VALU_DEP_2) | instskip(SKIP_1) | instid1(VALU_DEP_1)
	v_cmp_lt_u64_e32 vcc_lo, 0xffffff, v[24:25]
	v_add_nc_u32_e32 v0, 15, v7
	v_cndmask_b32_e32 v6, v9, v0, vcc_lo
	v_cndmask_b32_e64 v0, 0, 1, vcc_lo
	s_delay_alu instid0(VALU_DEP_1)
	v_lshrrev_b64 v[0:1], v0, v[24:25]
; %bb.8490:                             ;   in Loop: Header=BB6_7543 Depth=2
	s_and_not1_saveexec_b32 s7, s7
; %bb.8491:                             ;   in Loop: Header=BB6_7543 Depth=2
	v_mov_b64_e32 v[0:1], v[24:25]
	v_bfe_u32 v6, v24, 23, 1
; %bb.8492:                             ;   in Loop: Header=BB6_7543 Depth=2
	s_or_b32 exec_lo, exec_lo, s7
	s_delay_alu instid0(VALU_DEP_2) | instskip(NEXT) | instid1(VALU_DEP_2)
	v_lshrrev_b64 v[0:1], 21, v[0:1]
	v_cmp_gt_i32_e32 vcc_lo, 32, v6
	v_min_i32_e32 v7, 31, v6
	v_cmp_eq_u32_e64 s7, 0, v6
	s_delay_alu instid0(VALU_DEP_2) | instskip(SKIP_1) | instid1(VALU_DEP_2)
	v_dual_cndmask_b32 v1, 0, v1, vcc_lo :: v_dual_lshlrev_b32 v7, 2, v7
	v_cndmask_b32_e32 v0, 3, v0, vcc_lo
	v_and_b32_e32 v7, 0xfc, v7
	s_delay_alu instid0(VALU_DEP_2) | instskip(NEXT) | instid1(VALU_DEP_2)
	v_cmp_eq_u64_e32 vcc_lo, 0, v[0:1]
	v_and_or_b32 v0, v0, 3, v7
	s_and_b32 s7, s7, vcc_lo
	s_delay_alu instid0(VALU_DEP_1) | instid1(SALU_CYCLE_1)
	v_cndmask_b32_e64 v0, v0, 0, s7
	s_delay_alu instid0(VALU_DEP_1)
	v_or_b32_e32 v67, v0, v8
.LBB6_8493:                             ;   in Loop: Header=BB6_7543 Depth=2
	s_or_b32 exec_lo, exec_lo, s41
                                        ; implicit-def: $vgpr8
.LBB6_8494:                             ;   in Loop: Header=BB6_7543 Depth=2
	s_and_not1_saveexec_b32 s7, s14
; %bb.8495:                             ;   in Loop: Header=BB6_7543 Depth=2
	v_or_b32_e32 v67, 0x7b, v8
; %bb.8496:                             ;   in Loop: Header=BB6_7543 Depth=2
	s_or_b32 exec_lo, exec_lo, s7
                                        ; implicit-def: $vgpr7
                                        ; implicit-def: $vgpr0
.LBB6_8497:                             ;   in Loop: Header=BB6_7543 Depth=2
	s_and_not1_saveexec_b32 s7, s10
	s_cbranch_execz .LBB6_8503
; %bb.8498:                             ;   in Loop: Header=BB6_7543 Depth=2
	s_mov_b32 s10, exec_lo
                                        ; implicit-def: $vgpr67
	v_cmpx_ne_u64_e32 0, v[24:25]
	s_xor_b32 s10, exec_lo, s10
; %bb.8499:                             ;   in Loop: Header=BB6_7543 Depth=2
	v_or_b32_e32 v67, 0x7f, v0
                                        ; implicit-def: $vgpr7
; %bb.8500:                             ;   in Loop: Header=BB6_7543 Depth=2
	s_and_not1_saveexec_b32 s10, s10
; %bb.8501:                             ;   in Loop: Header=BB6_7543 Depth=2
	v_cmp_lt_i32_e32 vcc_lo, -1, v7
	v_cndmask_b32_e32 v67, 0xfc, v41, vcc_lo
; %bb.8502:                             ;   in Loop: Header=BB6_7543 Depth=2
	s_or_b32 exec_lo, exec_lo, s10
.LBB6_8503:                             ;   in Loop: Header=BB6_7543 Depth=2
	s_delay_alu instid0(SALU_CYCLE_1)
	s_or_b32 exec_lo, exec_lo, s7
	v_cmp_lt_u64_e64 s7, s[16:17], v[50:51]
	v_lshrrev_b32_e32 v6, 24, v51
	v_lshrrev_b32_e32 v0, 24, v39
	s_and_b32 vcc_lo, exec_lo, s13
	s_mov_b32 s10, -1
                                        ; implicit-def: $vgpr1
	s_cbranch_vccz .LBB6_8525
; %bb.8504:                             ;   in Loop: Header=BB6_7543 Depth=2
	v_dual_mov_b32 v7, 0 :: v_dual_mov_b32 v1, 0
	s_and_saveexec_b32 s10, s7
	s_cbranch_execz .LBB6_8514
; %bb.8505:                             ;   in Loop: Header=BB6_7543 Depth=2
	v_bfrev_b32_e32 v1, 1
	s_mov_b32 s14, exec_lo
	v_cmpx_ne_u32_e32 0x80, v6
	s_cbranch_execz .LBB6_8513
; %bb.8506:                             ;   in Loop: Header=BB6_7543 Depth=2
	v_and_b32_e32 v1, 0x7c000000, v51
	v_bfe_u32 v8, v51, 24, 2
	s_delay_alu instid0(VALU_DEP_2) | instskip(SKIP_1) | instid1(SALU_CYCLE_1)
	v_cmp_ne_u32_e32 vcc_lo, 0x7c000000, v1
                                        ; implicit-def: $vgpr1
	s_and_saveexec_b32 s41, vcc_lo
	s_xor_b32 s41, exec_lo, s41
	s_cbranch_execz .LBB6_8510
; %bb.8507:                             ;   in Loop: Header=BB6_7543 Depth=2
	v_bfe_u32 v1, v51, 26, 5
	s_mov_b32 s42, exec_lo
	s_delay_alu instid0(VALU_DEP_1)
	v_cmpx_eq_u32_e32 0, v1
; %bb.8508:                             ;   in Loop: Header=BB6_7543 Depth=2
	v_clz_i32_u32_e32 v1, v8
	s_delay_alu instid0(VALU_DEP_1) | instskip(NEXT) | instid1(VALU_DEP_1)
	v_min_u32_e32 v1, 32, v1
	v_subrev_nc_u32_e32 v8, 29, v1
	s_delay_alu instid0(VALU_DEP_1) | instskip(NEXT) | instid1(VALU_DEP_1)
	v_lshlrev_b64_e32 v[8:9], v8, v[6:7]
	v_dual_sub_nc_u32 v1, 30, v1 :: v_dual_bitop2_b32 v8, 3, v8 bitop3:0x40
; %bb.8509:                             ;   in Loop: Header=BB6_7543 Depth=2
	s_or_b32 exec_lo, exec_lo, s42
	v_and_b32_e32 v9, 0x80000000, v51
	s_delay_alu instid0(VALU_DEP_1) | instskip(NEXT) | instid1(VALU_DEP_1)
	v_lshl_add_u32 v1, v1, 23, v9
	v_lshl_or_b32 v1, v8, 21, v1
                                        ; implicit-def: $vgpr8
	s_delay_alu instid0(VALU_DEP_1)
	v_add_nc_u32_e32 v1, 0x38000000, v1
.LBB6_8510:                             ;   in Loop: Header=BB6_7543 Depth=2
	s_and_not1_saveexec_b32 s41, s41
; %bb.8511:                             ;   in Loop: Header=BB6_7543 Depth=2
	v_cmp_lt_i64_e32 vcc_lo, -1, v[50:51]
	v_cndmask_b32_e32 v1, 0xff800000, v75, vcc_lo
	v_cmp_eq_u32_e32 vcc_lo, 0, v8
	s_delay_alu instid0(VALU_DEP_2)
	v_cndmask_b32_e32 v1, 0x7f800001, v1, vcc_lo
; %bb.8512:                             ;   in Loop: Header=BB6_7543 Depth=2
	s_or_b32 exec_lo, exec_lo, s41
.LBB6_8513:                             ;   in Loop: Header=BB6_7543 Depth=2
	s_delay_alu instid0(SALU_CYCLE_1)
	s_or_b32 exec_lo, exec_lo, s14
.LBB6_8514:                             ;   in Loop: Header=BB6_7543 Depth=2
	s_delay_alu instid0(SALU_CYCLE_1) | instskip(NEXT) | instid1(SALU_CYCLE_1)
	s_or_b32 exec_lo, exec_lo, s10
	s_mov_b32 s10, exec_lo
	v_cmpx_lt_u64_e64 s[16:17], v[38:39]
	s_cbranch_execz .LBB6_8524
; %bb.8515:                             ;   in Loop: Header=BB6_7543 Depth=2
	v_bfrev_b32_e32 v7, 1
	s_mov_b32 s14, exec_lo
	v_cmpx_ne_u32_e32 0x80, v0
	s_cbranch_execz .LBB6_8523
; %bb.8516:                             ;   in Loop: Header=BB6_7543 Depth=2
	v_and_b32_e32 v7, 0x7c000000, v39
	v_bfe_u32 v8, v39, 24, 2
	s_delay_alu instid0(VALU_DEP_2) | instskip(SKIP_1) | instid1(SALU_CYCLE_1)
	v_cmp_ne_u32_e32 vcc_lo, 0x7c000000, v7
                                        ; implicit-def: $vgpr7
	s_and_saveexec_b32 s41, vcc_lo
	s_xor_b32 s41, exec_lo, s41
	s_cbranch_execz .LBB6_8520
; %bb.8517:                             ;   in Loop: Header=BB6_7543 Depth=2
	v_bfe_u32 v7, v39, 26, 5
	s_mov_b32 s42, exec_lo
	s_delay_alu instid0(VALU_DEP_1)
	v_cmpx_eq_u32_e32 0, v7
; %bb.8518:                             ;   in Loop: Header=BB6_7543 Depth=2
	v_clz_i32_u32_e32 v7, v8
	s_delay_alu instid0(VALU_DEP_1) | instskip(NEXT) | instid1(VALU_DEP_1)
	v_min_u32_e32 v7, 32, v7
	v_subrev_nc_u32_e32 v8, 29, v7
	s_delay_alu instid0(VALU_DEP_1) | instskip(NEXT) | instid1(VALU_DEP_1)
	v_lshlrev_b64_e32 v[8:9], v8, v[0:1]
	v_dual_sub_nc_u32 v7, 30, v7 :: v_dual_bitop2_b32 v8, 3, v8 bitop3:0x40
; %bb.8519:                             ;   in Loop: Header=BB6_7543 Depth=2
	s_or_b32 exec_lo, exec_lo, s42
	v_and_b32_e32 v9, 0x80000000, v39
	s_delay_alu instid0(VALU_DEP_1) | instskip(NEXT) | instid1(VALU_DEP_1)
	v_lshl_add_u32 v7, v7, 23, v9
	v_lshl_or_b32 v7, v8, 21, v7
                                        ; implicit-def: $vgpr8
	s_delay_alu instid0(VALU_DEP_1)
	v_add_nc_u32_e32 v7, 0x38000000, v7
.LBB6_8520:                             ;   in Loop: Header=BB6_7543 Depth=2
	s_and_not1_saveexec_b32 s41, s41
; %bb.8521:                             ;   in Loop: Header=BB6_7543 Depth=2
	v_cmp_lt_i64_e32 vcc_lo, -1, v[38:39]
	v_cndmask_b32_e32 v7, 0xff800000, v75, vcc_lo
	v_cmp_eq_u32_e32 vcc_lo, 0, v8
	s_delay_alu instid0(VALU_DEP_2)
	v_cndmask_b32_e32 v7, 0x7f800001, v7, vcc_lo
; %bb.8522:                             ;   in Loop: Header=BB6_7543 Depth=2
	s_or_b32 exec_lo, exec_lo, s41
.LBB6_8523:                             ;   in Loop: Header=BB6_7543 Depth=2
	s_delay_alu instid0(SALU_CYCLE_1)
	s_or_b32 exec_lo, exec_lo, s14
.LBB6_8524:                             ;   in Loop: Header=BB6_7543 Depth=2
	s_delay_alu instid0(SALU_CYCLE_1) | instskip(NEXT) | instid1(VALU_DEP_1)
	s_or_b32 exec_lo, exec_lo, s10
	v_dual_max_num_f32 v7, v7, v7 :: v_dual_max_num_f32 v1, v1, v1
	s_mov_b32 s10, 0
	s_delay_alu instid0(VALU_DEP_1)
	v_max_num_f32_e32 v1, v1, v7
.LBB6_8525:                             ;   in Loop: Header=BB6_7543 Depth=2
	s_and_b32 vcc_lo, exec_lo, s10
	s_cbranch_vccz .LBB6_8547
; %bb.8526:                             ;   in Loop: Header=BB6_7543 Depth=2
	v_dual_mov_b32 v7, 0 :: v_dual_mov_b32 v1, 0
	s_and_saveexec_b32 s10, s7
	s_cbranch_execz .LBB6_8536
; %bb.8527:                             ;   in Loop: Header=BB6_7543 Depth=2
	v_bfrev_b32_e32 v1, 1
	s_mov_b32 s7, exec_lo
	v_cmpx_ne_u32_e32 0x80, v6
	s_cbranch_execz .LBB6_8535
; %bb.8528:                             ;   in Loop: Header=BB6_7543 Depth=2
	v_and_b32_e32 v1, 0x7c000000, v51
	v_bfe_u32 v8, v51, 24, 2
	s_delay_alu instid0(VALU_DEP_2) | instskip(SKIP_1) | instid1(SALU_CYCLE_1)
	v_cmp_ne_u32_e32 vcc_lo, 0x7c000000, v1
                                        ; implicit-def: $vgpr1
	s_and_saveexec_b32 s14, vcc_lo
	s_xor_b32 s14, exec_lo, s14
	s_cbranch_execz .LBB6_8532
; %bb.8529:                             ;   in Loop: Header=BB6_7543 Depth=2
	v_bfe_u32 v1, v51, 26, 5
	s_mov_b32 s41, exec_lo
	s_delay_alu instid0(VALU_DEP_1)
	v_cmpx_eq_u32_e32 0, v1
; %bb.8530:                             ;   in Loop: Header=BB6_7543 Depth=2
	v_clz_i32_u32_e32 v1, v8
	s_delay_alu instid0(VALU_DEP_1) | instskip(NEXT) | instid1(VALU_DEP_1)
	v_min_u32_e32 v1, 32, v1
	v_subrev_nc_u32_e32 v8, 29, v1
	s_delay_alu instid0(VALU_DEP_1) | instskip(NEXT) | instid1(VALU_DEP_1)
	v_lshlrev_b64_e32 v[8:9], v8, v[6:7]
	v_dual_sub_nc_u32 v1, 30, v1 :: v_dual_bitop2_b32 v8, 3, v8 bitop3:0x40
; %bb.8531:                             ;   in Loop: Header=BB6_7543 Depth=2
	s_or_b32 exec_lo, exec_lo, s41
	v_and_b32_e32 v6, 0x80000000, v51
                                        ; implicit-def: $vgpr50_vgpr51
	s_delay_alu instid0(VALU_DEP_1) | instskip(NEXT) | instid1(VALU_DEP_1)
	v_lshl_add_u32 v1, v1, 23, v6
	v_lshl_or_b32 v1, v8, 21, v1
                                        ; implicit-def: $vgpr8
	s_delay_alu instid0(VALU_DEP_1)
	v_add_nc_u32_e32 v1, 0x38000000, v1
.LBB6_8532:                             ;   in Loop: Header=BB6_7543 Depth=2
	s_and_not1_saveexec_b32 s14, s14
; %bb.8533:                             ;   in Loop: Header=BB6_7543 Depth=2
	v_cmp_lt_i64_e32 vcc_lo, -1, v[50:51]
	v_cndmask_b32_e32 v1, 0xff800000, v75, vcc_lo
	v_cmp_eq_u32_e32 vcc_lo, 0, v8
	s_delay_alu instid0(VALU_DEP_2)
	v_cndmask_b32_e32 v1, 0x7f800001, v1, vcc_lo
; %bb.8534:                             ;   in Loop: Header=BB6_7543 Depth=2
	s_or_b32 exec_lo, exec_lo, s14
.LBB6_8535:                             ;   in Loop: Header=BB6_7543 Depth=2
	s_delay_alu instid0(SALU_CYCLE_1)
	s_or_b32 exec_lo, exec_lo, s7
.LBB6_8536:                             ;   in Loop: Header=BB6_7543 Depth=2
	s_delay_alu instid0(SALU_CYCLE_1) | instskip(NEXT) | instid1(SALU_CYCLE_1)
	s_or_b32 exec_lo, exec_lo, s10
	s_mov_b32 s7, exec_lo
	v_cmpx_lt_u64_e64 s[16:17], v[38:39]
	s_cbranch_execz .LBB6_8546
; %bb.8537:                             ;   in Loop: Header=BB6_7543 Depth=2
	v_bfrev_b32_e32 v7, 1
	s_mov_b32 s10, exec_lo
	v_cmpx_ne_u32_e32 0x80, v0
	s_cbranch_execz .LBB6_8545
; %bb.8538:                             ;   in Loop: Header=BB6_7543 Depth=2
	v_and_b32_e32 v7, 0x7c000000, v39
	v_bfe_u32 v6, v39, 24, 2
	s_delay_alu instid0(VALU_DEP_2) | instskip(SKIP_1) | instid1(SALU_CYCLE_1)
	v_cmp_ne_u32_e32 vcc_lo, 0x7c000000, v7
                                        ; implicit-def: $vgpr7
	s_and_saveexec_b32 s14, vcc_lo
	s_xor_b32 s14, exec_lo, s14
	s_cbranch_execz .LBB6_8542
; %bb.8539:                             ;   in Loop: Header=BB6_7543 Depth=2
	v_bfe_u32 v7, v39, 26, 5
	s_mov_b32 s41, exec_lo
	s_delay_alu instid0(VALU_DEP_1)
	v_cmpx_eq_u32_e32 0, v7
; %bb.8540:                             ;   in Loop: Header=BB6_7543 Depth=2
	v_clz_i32_u32_e32 v6, v6
	s_delay_alu instid0(VALU_DEP_1) | instskip(NEXT) | instid1(VALU_DEP_1)
	v_min_u32_e32 v8, 32, v6
	v_subrev_nc_u32_e32 v6, 29, v8
	s_delay_alu instid0(VALU_DEP_1) | instskip(NEXT) | instid1(VALU_DEP_1)
	v_lshlrev_b64_e32 v[6:7], v6, v[0:1]
	v_dual_sub_nc_u32 v7, 30, v8 :: v_dual_bitop2_b32 v6, 3, v6 bitop3:0x40
; %bb.8541:                             ;   in Loop: Header=BB6_7543 Depth=2
	s_or_b32 exec_lo, exec_lo, s41
	v_and_b32_e32 v0, 0x80000000, v39
                                        ; implicit-def: $vgpr38_vgpr39
	s_delay_alu instid0(VALU_DEP_1) | instskip(NEXT) | instid1(VALU_DEP_1)
	v_lshl_add_u32 v0, v7, 23, v0
	v_lshl_or_b32 v0, v6, 21, v0
                                        ; implicit-def: $vgpr6
	s_delay_alu instid0(VALU_DEP_1)
	v_add_nc_u32_e32 v7, 0x38000000, v0
.LBB6_8542:                             ;   in Loop: Header=BB6_7543 Depth=2
	s_and_not1_saveexec_b32 s14, s14
; %bb.8543:                             ;   in Loop: Header=BB6_7543 Depth=2
	v_cmp_lt_i64_e32 vcc_lo, -1, v[38:39]
	v_cndmask_b32_e32 v0, 0xff800000, v75, vcc_lo
	v_cmp_eq_u32_e32 vcc_lo, 0, v6
	s_delay_alu instid0(VALU_DEP_2)
	v_cndmask_b32_e32 v7, 0x7f800001, v0, vcc_lo
; %bb.8544:                             ;   in Loop: Header=BB6_7543 Depth=2
	s_or_b32 exec_lo, exec_lo, s14
.LBB6_8545:                             ;   in Loop: Header=BB6_7543 Depth=2
	s_delay_alu instid0(SALU_CYCLE_1)
	s_or_b32 exec_lo, exec_lo, s10
.LBB6_8546:                             ;   in Loop: Header=BB6_7543 Depth=2
	s_delay_alu instid0(SALU_CYCLE_1) | instskip(NEXT) | instid1(VALU_DEP_1)
	s_or_b32 exec_lo, exec_lo, s7
	v_dual_max_num_f32 v0, v7, v7 :: v_dual_max_num_f32 v1, v1, v1
	s_delay_alu instid0(VALU_DEP_1)
	v_min_num_f32_e32 v1, v1, v0
.LBB6_8547:                             ;   in Loop: Header=BB6_7543 Depth=2
	s_delay_alu instid0(VALU_DEP_1) | instskip(SKIP_3) | instid1(VALU_DEP_2)
	v_and_b32_e32 v6, 0x7f800000, v1
	v_dual_mov_b32 v7, v25 :: v_dual_lshrrev_b32 v0, 24, v1
	v_and_b32_e32 v24, 0x7fffff, v1
                                        ; implicit-def: $vgpr38
	s_mov_b32 s7, exec_lo
	v_cmpx_ne_u64_e32 0x7f800000, v[6:7]
	s_xor_b32 s10, exec_lo, s7
	s_cbranch_execz .LBB6_8561
; %bb.8548:                             ;   in Loop: Header=BB6_7543 Depth=2
	v_and_b32_e32 v6, 0x7fffffff, v1
	v_mov_b32_e32 v7, v25
	v_and_b32_e32 v8, 0x80, v0
                                        ; implicit-def: $vgpr38
	s_mov_b32 s7, exec_lo
	s_delay_alu instid0(VALU_DEP_2)
	v_cmpx_gt_u64_e32 0x47600001, v[6:7]
	s_xor_b32 s14, exec_lo, s7
	s_cbranch_execz .LBB6_8558
; %bb.8549:                             ;   in Loop: Header=BB6_7543 Depth=2
	v_mov_b32_e32 v38, 0
	s_mov_b32 s41, exec_lo
	v_cmpx_ne_u32_e32 0, v1
	s_cbranch_execz .LBB6_8557
; %bb.8550:                             ;   in Loop: Header=BB6_7543 Depth=2
	v_bfe_u32 v9, v1, 23, 8
	v_or_b32_e32 v6, 0x800000, v24
	s_delay_alu instid0(VALU_DEP_2) | instskip(SKIP_1) | instid1(VALU_DEP_2)
	v_sub_nc_u32_e32 v0, 0x71, v9
	v_cmp_gt_u32_e32 vcc_lo, 0x72, v9
	v_cndmask_b32_e32 v0, 0, v0, vcc_lo
	v_cmp_eq_u32_e32 vcc_lo, 0, v9
	s_delay_alu instid0(VALU_DEP_2) | instskip(NEXT) | instid1(VALU_DEP_1)
	v_cndmask_b32_e64 v38, v0, 0x70, vcc_lo
	v_dual_cndmask_b32 v24, v6, v24, vcc_lo :: v_dual_add_nc_u32 v0, 21, v38
	v_add_nc_u32_e32 v7, 20, v38
	s_delay_alu instid0(VALU_DEP_2) | instskip(NEXT) | instid1(VALU_DEP_2)
	v_lshlrev_b64_e64 v[0:1], v0, -1
	v_lshlrev_b64_e64 v[6:7], v7, 1
	s_delay_alu instid0(VALU_DEP_2) | instskip(NEXT) | instid1(VALU_DEP_3)
	v_bfi_b32 v51, v1, 0, 0
	v_bfi_b32 v50, v0, 0, v24
	v_lshrrev_b64 v[0:1], v38, v[24:25]
	s_delay_alu instid0(VALU_DEP_2) | instskip(NEXT) | instid1(VALU_DEP_2)
	v_cmp_eq_u64_e64 s7, v[50:51], v[6:7]
	v_mov_b64_e32 v[6:7], v[0:1]
	s_and_saveexec_b32 s42, s7
; %bb.8551:                             ;   in Loop: Header=BB6_7543 Depth=2
	v_bfe_u32 v24, v0, 21, 1
	s_delay_alu instid0(VALU_DEP_1) | instskip(NEXT) | instid1(VALU_DEP_1)
	v_add_nc_u64_e32 v[6:7], v[0:1], v[24:25]
	v_add_nc_u64_e32 v[6:7], -1, v[6:7]
; %bb.8552:                             ;   in Loop: Header=BB6_7543 Depth=2
	s_or_b32 exec_lo, exec_lo, s42
	v_add_nc_u32_e32 v1, 0xffffff81, v9
	v_lshrrev_b32_e32 v7, 23, v0
	s_mov_b32 s7, exec_lo
	s_delay_alu instid0(VALU_DEP_2) | instskip(NEXT) | instid1(VALU_DEP_1)
	v_cndmask_b32_e64 v1, v1, 0xffffff82, vcc_lo
	v_add3_u32 v7, v38, v1, v7
	v_and_b32_e32 v1, 0x1fffff, v6
                                        ; implicit-def: $vgpr6
	s_delay_alu instid0(VALU_DEP_1) | instskip(NEXT) | instid1(VALU_DEP_1)
	v_dual_add_nc_u32 v9, 14, v7 :: v_dual_add_nc_u32 v24, v1, v0
                                        ; implicit-def: $vgpr0_vgpr1
	v_cmpx_ne_u32_e32 0, v9
	s_xor_b32 s7, exec_lo, s7
; %bb.8553:                             ;   in Loop: Header=BB6_7543 Depth=2
	s_delay_alu instid0(VALU_DEP_2) | instskip(SKIP_1) | instid1(VALU_DEP_1)
	v_cmp_lt_u64_e32 vcc_lo, 0xffffff, v[24:25]
	v_add_nc_u32_e32 v0, 15, v7
	v_cndmask_b32_e32 v6, v9, v0, vcc_lo
	v_cndmask_b32_e64 v0, 0, 1, vcc_lo
	s_delay_alu instid0(VALU_DEP_1)
	v_lshrrev_b64 v[0:1], v0, v[24:25]
; %bb.8554:                             ;   in Loop: Header=BB6_7543 Depth=2
	s_and_not1_saveexec_b32 s7, s7
; %bb.8555:                             ;   in Loop: Header=BB6_7543 Depth=2
	v_mov_b64_e32 v[0:1], v[24:25]
	v_bfe_u32 v6, v24, 23, 1
; %bb.8556:                             ;   in Loop: Header=BB6_7543 Depth=2
	s_or_b32 exec_lo, exec_lo, s7
	s_delay_alu instid0(VALU_DEP_2) | instskip(NEXT) | instid1(VALU_DEP_2)
	v_lshrrev_b64 v[0:1], 21, v[0:1]
	v_cmp_gt_i32_e32 vcc_lo, 32, v6
	v_min_i32_e32 v7, 31, v6
	v_cmp_eq_u32_e64 s7, 0, v6
	s_delay_alu instid0(VALU_DEP_2) | instskip(SKIP_1) | instid1(VALU_DEP_2)
	v_dual_cndmask_b32 v1, 0, v1, vcc_lo :: v_dual_lshlrev_b32 v7, 2, v7
	v_cndmask_b32_e32 v0, 3, v0, vcc_lo
	v_and_b32_e32 v7, 0xfc, v7
	s_delay_alu instid0(VALU_DEP_2) | instskip(NEXT) | instid1(VALU_DEP_2)
	v_cmp_eq_u64_e32 vcc_lo, 0, v[0:1]
	v_and_or_b32 v0, v0, 3, v7
	s_and_b32 s7, s7, vcc_lo
	s_delay_alu instid0(VALU_DEP_1) | instid1(SALU_CYCLE_1)
	v_cndmask_b32_e64 v0, v0, 0, s7
	s_delay_alu instid0(VALU_DEP_1)
	v_or_b32_e32 v38, v0, v8
.LBB6_8557:                             ;   in Loop: Header=BB6_7543 Depth=2
	s_or_b32 exec_lo, exec_lo, s41
                                        ; implicit-def: $vgpr8
.LBB6_8558:                             ;   in Loop: Header=BB6_7543 Depth=2
	s_and_not1_saveexec_b32 s7, s14
; %bb.8559:                             ;   in Loop: Header=BB6_7543 Depth=2
	v_or_b32_e32 v38, 0x7b, v8
; %bb.8560:                             ;   in Loop: Header=BB6_7543 Depth=2
	s_or_b32 exec_lo, exec_lo, s7
                                        ; implicit-def: $vgpr1
                                        ; implicit-def: $vgpr0
.LBB6_8561:                             ;   in Loop: Header=BB6_7543 Depth=2
	s_and_not1_saveexec_b32 s7, s10
	s_cbranch_execz .LBB6_8567
; %bb.8562:                             ;   in Loop: Header=BB6_7543 Depth=2
	s_mov_b32 s10, exec_lo
                                        ; implicit-def: $vgpr38
	v_cmpx_ne_u64_e32 0, v[24:25]
	s_xor_b32 s10, exec_lo, s10
; %bb.8563:                             ;   in Loop: Header=BB6_7543 Depth=2
	v_or_b32_e32 v38, 0x7f, v0
                                        ; implicit-def: $vgpr1
; %bb.8564:                             ;   in Loop: Header=BB6_7543 Depth=2
	s_and_not1_saveexec_b32 s10, s10
; %bb.8565:                             ;   in Loop: Header=BB6_7543 Depth=2
	v_cmp_lt_i32_e32 vcc_lo, -1, v1
	v_cndmask_b32_e32 v38, 0xfc, v41, vcc_lo
; %bb.8566:                             ;   in Loop: Header=BB6_7543 Depth=2
	s_or_b32 exec_lo, exec_lo, s10
.LBB6_8567:                             ;   in Loop: Header=BB6_7543 Depth=2
	s_delay_alu instid0(SALU_CYCLE_1)
	s_or_b32 exec_lo, exec_lo, s7
	s_wait_loadcnt 0x5
	v_and_b32_e32 v6, 0xff, v32
	v_bfe_i32 v1, v32, 0, 8
	s_wait_loadcnt 0x2
	v_bfe_i32 v0, v26, 0, 8
	s_and_not1_b32 vcc_lo, exec_lo, s13
	s_mov_b32 s10, -1
	v_cmp_ne_u16_e64 s7, 0, v6
                                        ; implicit-def: $vgpr6
	s_cbranch_vccnz .LBB6_8589
; %bb.8568:                             ;   in Loop: Header=BB6_7543 Depth=2
	v_dual_mov_b32 v7, 0 :: v_dual_mov_b32 v6, 0
	s_and_saveexec_b32 s10, s7
	s_cbranch_execz .LBB6_8578
; %bb.8569:                             ;   in Loop: Header=BB6_7543 Depth=2
	v_bfrev_b32_e32 v6, 1
	s_mov_b32 s14, exec_lo
	v_cmpx_ne_u16_e32 0xff80, v1
	s_cbranch_execz .LBB6_8577
; %bb.8570:                             ;   in Loop: Header=BB6_7543 Depth=2
	v_and_b32_e32 v6, 0x7c, v32
	v_and_b32_e32 v8, 3, v32
	s_delay_alu instid0(VALU_DEP_2) | instskip(SKIP_1) | instid1(SALU_CYCLE_1)
	v_cmp_ne_u32_e32 vcc_lo, 0x7c, v6
                                        ; implicit-def: $vgpr6
	s_and_saveexec_b32 s41, vcc_lo
	s_xor_b32 s41, exec_lo, s41
	s_cbranch_execz .LBB6_8574
; %bb.8571:                             ;   in Loop: Header=BB6_7543 Depth=2
	v_bfe_u32 v6, v32, 2, 5
	s_mov_b32 s42, exec_lo
	s_delay_alu instid0(VALU_DEP_1)
	v_cmpx_eq_u32_e32 0, v6
; %bb.8572:                             ;   in Loop: Header=BB6_7543 Depth=2
	v_clz_i32_u32_e32 v6, v8
	s_delay_alu instid0(VALU_DEP_1) | instskip(NEXT) | instid1(VALU_DEP_1)
	v_min_u32_e32 v6, 32, v6
	v_subrev_nc_u32_e32 v8, 29, v6
	s_delay_alu instid0(VALU_DEP_1) | instskip(NEXT) | instid1(VALU_DEP_1)
	v_lshlrev_b64_e32 v[8:9], v8, v[32:33]
	v_dual_sub_nc_u32 v6, 30, v6 :: v_dual_bitop2_b32 v8, 3, v8 bitop3:0x40
; %bb.8573:                             ;   in Loop: Header=BB6_7543 Depth=2
	s_or_b32 exec_lo, exec_lo, s42
	v_lshlrev_b32_e32 v9, 24, v32
	s_delay_alu instid0(VALU_DEP_1) | instskip(NEXT) | instid1(VALU_DEP_1)
	v_and_b32_e32 v9, 0x80000000, v9
	v_lshl_add_u32 v6, v6, 23, v9
	s_delay_alu instid0(VALU_DEP_1) | instskip(NEXT) | instid1(VALU_DEP_1)
	v_lshl_or_b32 v6, v8, 21, v6
                                        ; implicit-def: $vgpr8
	v_add_nc_u32_e32 v6, 0x38000000, v6
.LBB6_8574:                             ;   in Loop: Header=BB6_7543 Depth=2
	s_and_not1_saveexec_b32 s41, s41
; %bb.8575:                             ;   in Loop: Header=BB6_7543 Depth=2
	v_cmp_lt_i16_e32 vcc_lo, -1, v1
	v_cndmask_b32_e32 v6, 0xff800000, v75, vcc_lo
	v_cmp_eq_u32_e32 vcc_lo, 0, v8
	s_delay_alu instid0(VALU_DEP_2)
	v_cndmask_b32_e32 v6, 0x7f800001, v6, vcc_lo
; %bb.8576:                             ;   in Loop: Header=BB6_7543 Depth=2
	s_or_b32 exec_lo, exec_lo, s41
.LBB6_8577:                             ;   in Loop: Header=BB6_7543 Depth=2
	s_delay_alu instid0(SALU_CYCLE_1)
	s_or_b32 exec_lo, exec_lo, s14
.LBB6_8578:                             ;   in Loop: Header=BB6_7543 Depth=2
	s_delay_alu instid0(SALU_CYCLE_1) | instskip(NEXT) | instid1(SALU_CYCLE_1)
	s_or_b32 exec_lo, exec_lo, s10
	s_mov_b32 s10, exec_lo
	v_cmpx_ne_u16_e32 0, v0
	s_cbranch_execz .LBB6_8588
; %bb.8579:                             ;   in Loop: Header=BB6_7543 Depth=2
	v_bfrev_b32_e32 v7, 1
	s_mov_b32 s14, exec_lo
	v_cmpx_ne_u16_e32 0xff80, v0
	s_cbranch_execz .LBB6_8587
; %bb.8580:                             ;   in Loop: Header=BB6_7543 Depth=2
	v_and_b32_e32 v7, 0x7c, v26
	v_and_b32_e32 v8, 3, v26
	s_delay_alu instid0(VALU_DEP_2) | instskip(SKIP_1) | instid1(SALU_CYCLE_1)
	v_cmp_ne_u32_e32 vcc_lo, 0x7c, v7
                                        ; implicit-def: $vgpr7
	s_and_saveexec_b32 s41, vcc_lo
	s_xor_b32 s41, exec_lo, s41
	s_cbranch_execz .LBB6_8584
; %bb.8581:                             ;   in Loop: Header=BB6_7543 Depth=2
	v_bfe_u32 v7, v26, 2, 5
	s_mov_b32 s42, exec_lo
	s_delay_alu instid0(VALU_DEP_1)
	v_cmpx_eq_u32_e32 0, v7
; %bb.8582:                             ;   in Loop: Header=BB6_7543 Depth=2
	v_clz_i32_u32_e32 v7, v8
	s_delay_alu instid0(VALU_DEP_1) | instskip(NEXT) | instid1(VALU_DEP_1)
	v_min_u32_e32 v7, 32, v7
	v_subrev_nc_u32_e32 v8, 29, v7
	s_delay_alu instid0(VALU_DEP_1) | instskip(NEXT) | instid1(VALU_DEP_1)
	v_lshlrev_b64_e32 v[8:9], v8, v[26:27]
	v_dual_sub_nc_u32 v7, 30, v7 :: v_dual_bitop2_b32 v8, 3, v8 bitop3:0x40
; %bb.8583:                             ;   in Loop: Header=BB6_7543 Depth=2
	s_or_b32 exec_lo, exec_lo, s42
	v_lshlrev_b32_e32 v9, 24, v26
	s_delay_alu instid0(VALU_DEP_1) | instskip(NEXT) | instid1(VALU_DEP_1)
	v_and_b32_e32 v9, 0x80000000, v9
	v_lshl_add_u32 v7, v7, 23, v9
	s_delay_alu instid0(VALU_DEP_1) | instskip(NEXT) | instid1(VALU_DEP_1)
	v_lshl_or_b32 v7, v8, 21, v7
                                        ; implicit-def: $vgpr8
	v_add_nc_u32_e32 v7, 0x38000000, v7
.LBB6_8584:                             ;   in Loop: Header=BB6_7543 Depth=2
	s_and_not1_saveexec_b32 s41, s41
; %bb.8585:                             ;   in Loop: Header=BB6_7543 Depth=2
	v_cmp_lt_i16_e32 vcc_lo, -1, v0
	v_cndmask_b32_e32 v7, 0xff800000, v75, vcc_lo
	v_cmp_eq_u32_e32 vcc_lo, 0, v8
	s_delay_alu instid0(VALU_DEP_2)
	v_cndmask_b32_e32 v7, 0x7f800001, v7, vcc_lo
; %bb.8586:                             ;   in Loop: Header=BB6_7543 Depth=2
	s_or_b32 exec_lo, exec_lo, s41
.LBB6_8587:                             ;   in Loop: Header=BB6_7543 Depth=2
	s_delay_alu instid0(SALU_CYCLE_1)
	s_or_b32 exec_lo, exec_lo, s14
.LBB6_8588:                             ;   in Loop: Header=BB6_7543 Depth=2
	s_delay_alu instid0(SALU_CYCLE_1) | instskip(NEXT) | instid1(VALU_DEP_1)
	s_or_b32 exec_lo, exec_lo, s10
	v_dual_max_num_f32 v7, v7, v7 :: v_dual_max_num_f32 v6, v6, v6
	s_mov_b32 s10, 0
	s_delay_alu instid0(VALU_DEP_1)
	v_max_num_f32_e32 v6, v6, v7
.LBB6_8589:                             ;   in Loop: Header=BB6_7543 Depth=2
	s_and_b32 vcc_lo, exec_lo, s10
	s_cbranch_vccz .LBB6_8611
; %bb.8590:                             ;   in Loop: Header=BB6_7543 Depth=2
	v_dual_mov_b32 v7, 0 :: v_dual_mov_b32 v6, 0
	s_and_saveexec_b32 s10, s7
	s_cbranch_execz .LBB6_8600
; %bb.8591:                             ;   in Loop: Header=BB6_7543 Depth=2
	v_bfrev_b32_e32 v6, 1
	s_mov_b32 s7, exec_lo
	v_cmpx_ne_u16_e32 0xff80, v1
	s_cbranch_execz .LBB6_8599
; %bb.8592:                             ;   in Loop: Header=BB6_7543 Depth=2
	v_and_b32_e32 v6, 0x7c, v32
	v_and_b32_e32 v8, 3, v32
	s_delay_alu instid0(VALU_DEP_2) | instskip(SKIP_1) | instid1(SALU_CYCLE_1)
	v_cmp_ne_u32_e32 vcc_lo, 0x7c, v6
                                        ; implicit-def: $vgpr6
	s_and_saveexec_b32 s14, vcc_lo
	s_xor_b32 s14, exec_lo, s14
	s_cbranch_execz .LBB6_8596
; %bb.8593:                             ;   in Loop: Header=BB6_7543 Depth=2
	v_bfe_u32 v1, v32, 2, 5
	s_mov_b32 s41, exec_lo
	s_delay_alu instid0(VALU_DEP_1)
	v_cmpx_eq_u32_e32 0, v1
; %bb.8594:                             ;   in Loop: Header=BB6_7543 Depth=2
	v_clz_i32_u32_e32 v1, v8
	s_delay_alu instid0(VALU_DEP_1) | instskip(NEXT) | instid1(VALU_DEP_1)
	v_min_u32_e32 v1, 32, v1
	v_subrev_nc_u32_e32 v6, 29, v1
	s_delay_alu instid0(VALU_DEP_1) | instskip(NEXT) | instid1(VALU_DEP_1)
	v_lshlrev_b64_e32 v[8:9], v6, v[32:33]
	v_dual_sub_nc_u32 v1, 30, v1 :: v_dual_bitop2_b32 v8, 3, v8 bitop3:0x40
; %bb.8595:                             ;   in Loop: Header=BB6_7543 Depth=2
	s_or_b32 exec_lo, exec_lo, s41
	v_lshlrev_b32_e32 v6, 24, v32
	s_delay_alu instid0(VALU_DEP_1) | instskip(NEXT) | instid1(VALU_DEP_1)
	v_and_b32_e32 v6, 0x80000000, v6
	v_lshl_add_u32 v1, v1, 23, v6
	s_delay_alu instid0(VALU_DEP_1) | instskip(NEXT) | instid1(VALU_DEP_1)
	v_lshl_or_b32 v1, v8, 21, v1
                                        ; implicit-def: $vgpr8
	v_add_nc_u32_e32 v6, 0x38000000, v1
                                        ; implicit-def: $vgpr1
.LBB6_8596:                             ;   in Loop: Header=BB6_7543 Depth=2
	s_and_not1_saveexec_b32 s14, s14
; %bb.8597:                             ;   in Loop: Header=BB6_7543 Depth=2
	v_cmp_lt_i16_e32 vcc_lo, -1, v1
	v_cndmask_b32_e32 v1, 0xff800000, v75, vcc_lo
	v_cmp_eq_u32_e32 vcc_lo, 0, v8
	s_delay_alu instid0(VALU_DEP_2)
	v_cndmask_b32_e32 v6, 0x7f800001, v1, vcc_lo
; %bb.8598:                             ;   in Loop: Header=BB6_7543 Depth=2
	s_or_b32 exec_lo, exec_lo, s14
.LBB6_8599:                             ;   in Loop: Header=BB6_7543 Depth=2
	s_delay_alu instid0(SALU_CYCLE_1)
	s_or_b32 exec_lo, exec_lo, s7
.LBB6_8600:                             ;   in Loop: Header=BB6_7543 Depth=2
	s_delay_alu instid0(SALU_CYCLE_1) | instskip(NEXT) | instid1(SALU_CYCLE_1)
	s_or_b32 exec_lo, exec_lo, s10
	s_mov_b32 s7, exec_lo
	v_cmpx_ne_u16_e32 0, v0
	s_cbranch_execz .LBB6_8610
; %bb.8601:                             ;   in Loop: Header=BB6_7543 Depth=2
	v_bfrev_b32_e32 v7, 1
	s_mov_b32 s10, exec_lo
	v_cmpx_ne_u16_e32 0xff80, v0
	s_cbranch_execz .LBB6_8609
; %bb.8602:                             ;   in Loop: Header=BB6_7543 Depth=2
	v_and_b32_e32 v7, 0x7c, v26
	v_and_b32_e32 v1, 3, v26
	s_delay_alu instid0(VALU_DEP_2) | instskip(SKIP_1) | instid1(SALU_CYCLE_1)
	v_cmp_ne_u32_e32 vcc_lo, 0x7c, v7
                                        ; implicit-def: $vgpr7
	s_and_saveexec_b32 s14, vcc_lo
	s_xor_b32 s14, exec_lo, s14
	s_cbranch_execz .LBB6_8606
; %bb.8603:                             ;   in Loop: Header=BB6_7543 Depth=2
	v_bfe_u32 v0, v26, 2, 5
	s_mov_b32 s41, exec_lo
	s_delay_alu instid0(VALU_DEP_1)
	v_cmpx_eq_u32_e32 0, v0
; %bb.8604:                             ;   in Loop: Header=BB6_7543 Depth=2
	v_clz_i32_u32_e32 v0, v1
	s_delay_alu instid0(VALU_DEP_1) | instskip(NEXT) | instid1(VALU_DEP_1)
	v_min_u32_e32 v0, 32, v0
	v_subrev_nc_u32_e32 v1, 29, v0
	v_sub_nc_u32_e32 v0, 30, v0
	s_delay_alu instid0(VALU_DEP_2) | instskip(NEXT) | instid1(VALU_DEP_1)
	v_lshlrev_b64_e32 v[8:9], v1, v[26:27]
	v_and_b32_e32 v1, 3, v8
; %bb.8605:                             ;   in Loop: Header=BB6_7543 Depth=2
	s_or_b32 exec_lo, exec_lo, s41
	v_lshlrev_b32_e32 v7, 24, v26
	s_delay_alu instid0(VALU_DEP_1) | instskip(NEXT) | instid1(VALU_DEP_1)
	v_and_b32_e32 v7, 0x80000000, v7
	v_lshl_add_u32 v0, v0, 23, v7
	s_delay_alu instid0(VALU_DEP_1) | instskip(NEXT) | instid1(VALU_DEP_1)
	v_lshl_or_b32 v0, v1, 21, v0
                                        ; implicit-def: $vgpr1
	v_add_nc_u32_e32 v7, 0x38000000, v0
                                        ; implicit-def: $vgpr0
.LBB6_8606:                             ;   in Loop: Header=BB6_7543 Depth=2
	s_and_not1_saveexec_b32 s14, s14
; %bb.8607:                             ;   in Loop: Header=BB6_7543 Depth=2
	v_cmp_lt_i16_e32 vcc_lo, -1, v0
	v_cndmask_b32_e32 v0, 0xff800000, v75, vcc_lo
	v_cmp_eq_u32_e32 vcc_lo, 0, v1
	s_delay_alu instid0(VALU_DEP_2)
	v_cndmask_b32_e32 v7, 0x7f800001, v0, vcc_lo
; %bb.8608:                             ;   in Loop: Header=BB6_7543 Depth=2
	s_or_b32 exec_lo, exec_lo, s14
.LBB6_8609:                             ;   in Loop: Header=BB6_7543 Depth=2
	s_delay_alu instid0(SALU_CYCLE_1)
	s_or_b32 exec_lo, exec_lo, s10
.LBB6_8610:                             ;   in Loop: Header=BB6_7543 Depth=2
	s_delay_alu instid0(SALU_CYCLE_1) | instskip(NEXT) | instid1(VALU_DEP_1)
	s_or_b32 exec_lo, exec_lo, s7
	v_dual_max_num_f32 v0, v7, v7 :: v_dual_max_num_f32 v1, v6, v6
	s_delay_alu instid0(VALU_DEP_1)
	v_min_num_f32_e32 v6, v1, v0
.LBB6_8611:                             ;   in Loop: Header=BB6_7543 Depth=2
	s_delay_alu instid0(VALU_DEP_1) | instskip(SKIP_2) | instid1(VALU_DEP_2)
	v_and_b32_e32 v0, 0x7f800000, v6
	v_mov_b32_e32 v1, v25
	v_and_b32_e32 v24, 0x7fffff, v6
                                        ; implicit-def: $vgpr39
	v_cmp_ne_u64_e32 vcc_lo, 0x7f800000, v[0:1]
	v_lshrrev_b32_e32 v0, 24, v6
	s_and_saveexec_b32 s7, vcc_lo
	s_delay_alu instid0(SALU_CYCLE_1)
	s_xor_b32 s10, exec_lo, s7
	s_cbranch_execz .LBB6_8625
; %bb.8612:                             ;   in Loop: Header=BB6_7543 Depth=2
	v_and_b32_e32 v8, 0x7fffffff, v6
	v_mov_b32_e32 v9, v25
                                        ; implicit-def: $vgpr39
	s_delay_alu instid0(VALU_DEP_1) | instskip(SKIP_2) | instid1(SALU_CYCLE_1)
	v_cmp_gt_u64_e32 vcc_lo, 0x47600001, v[8:9]
	v_and_b32_e32 v8, 0x80, v0
	s_and_saveexec_b32 s7, vcc_lo
	s_xor_b32 s14, exec_lo, s7
	s_cbranch_execz .LBB6_8622
; %bb.8613:                             ;   in Loop: Header=BB6_7543 Depth=2
	v_mov_b32_e32 v39, 0
	s_mov_b32 s41, exec_lo
	v_cmpx_ne_u32_e32 0, v6
	s_cbranch_execz .LBB6_8621
; %bb.8614:                             ;   in Loop: Header=BB6_7543 Depth=2
	v_bfe_u32 v9, v6, 23, 8
	v_or_b32_e32 v6, 0x800000, v24
	s_delay_alu instid0(VALU_DEP_2) | instskip(SKIP_1) | instid1(VALU_DEP_2)
	v_sub_nc_u32_e32 v0, 0x71, v9
	v_cmp_gt_u32_e32 vcc_lo, 0x72, v9
	v_cndmask_b32_e32 v0, 0, v0, vcc_lo
	v_cmp_eq_u32_e32 vcc_lo, 0, v9
	s_delay_alu instid0(VALU_DEP_2) | instskip(NEXT) | instid1(VALU_DEP_1)
	v_cndmask_b32_e64 v39, v0, 0x70, vcc_lo
	v_dual_cndmask_b32 v24, v6, v24, vcc_lo :: v_dual_add_nc_u32 v0, 21, v39
	v_add_nc_u32_e32 v7, 20, v39
	s_delay_alu instid0(VALU_DEP_2) | instskip(NEXT) | instid1(VALU_DEP_2)
	v_lshlrev_b64_e64 v[0:1], v0, -1
	v_lshlrev_b64_e64 v[6:7], v7, 1
	s_delay_alu instid0(VALU_DEP_2) | instskip(NEXT) | instid1(VALU_DEP_3)
	v_bfi_b32 v51, v1, 0, 0
	v_bfi_b32 v50, v0, 0, v24
	v_lshrrev_b64 v[0:1], v39, v[24:25]
	s_delay_alu instid0(VALU_DEP_2) | instskip(NEXT) | instid1(VALU_DEP_2)
	v_cmp_eq_u64_e64 s7, v[50:51], v[6:7]
	v_mov_b64_e32 v[6:7], v[0:1]
	s_and_saveexec_b32 s42, s7
; %bb.8615:                             ;   in Loop: Header=BB6_7543 Depth=2
	v_bfe_u32 v24, v0, 21, 1
	s_delay_alu instid0(VALU_DEP_1) | instskip(NEXT) | instid1(VALU_DEP_1)
	v_add_nc_u64_e32 v[6:7], v[0:1], v[24:25]
	v_add_nc_u64_e32 v[6:7], -1, v[6:7]
; %bb.8616:                             ;   in Loop: Header=BB6_7543 Depth=2
	s_or_b32 exec_lo, exec_lo, s42
	v_add_nc_u32_e32 v1, 0xffffff81, v9
	v_lshrrev_b32_e32 v7, 23, v0
	s_mov_b32 s7, exec_lo
	s_delay_alu instid0(VALU_DEP_2) | instskip(NEXT) | instid1(VALU_DEP_1)
	v_cndmask_b32_e64 v1, v1, 0xffffff82, vcc_lo
	v_add3_u32 v7, v39, v1, v7
	v_and_b32_e32 v1, 0x1fffff, v6
                                        ; implicit-def: $vgpr6
	s_delay_alu instid0(VALU_DEP_1) | instskip(NEXT) | instid1(VALU_DEP_1)
	v_dual_add_nc_u32 v9, 14, v7 :: v_dual_add_nc_u32 v24, v1, v0
                                        ; implicit-def: $vgpr0_vgpr1
	v_cmpx_ne_u32_e32 0, v9
	s_xor_b32 s7, exec_lo, s7
; %bb.8617:                             ;   in Loop: Header=BB6_7543 Depth=2
	s_delay_alu instid0(VALU_DEP_2) | instskip(SKIP_1) | instid1(VALU_DEP_1)
	v_cmp_lt_u64_e32 vcc_lo, 0xffffff, v[24:25]
	v_add_nc_u32_e32 v0, 15, v7
	v_cndmask_b32_e32 v6, v9, v0, vcc_lo
	v_cndmask_b32_e64 v0, 0, 1, vcc_lo
	s_delay_alu instid0(VALU_DEP_1)
	v_lshrrev_b64 v[0:1], v0, v[24:25]
; %bb.8618:                             ;   in Loop: Header=BB6_7543 Depth=2
	s_and_not1_saveexec_b32 s7, s7
; %bb.8619:                             ;   in Loop: Header=BB6_7543 Depth=2
	v_mov_b64_e32 v[0:1], v[24:25]
	v_bfe_u32 v6, v24, 23, 1
; %bb.8620:                             ;   in Loop: Header=BB6_7543 Depth=2
	s_or_b32 exec_lo, exec_lo, s7
	s_delay_alu instid0(VALU_DEP_2) | instskip(NEXT) | instid1(VALU_DEP_2)
	v_lshrrev_b64 v[0:1], 21, v[0:1]
	v_cmp_gt_i32_e32 vcc_lo, 32, v6
	v_min_i32_e32 v7, 31, v6
	v_cmp_eq_u32_e64 s7, 0, v6
	s_delay_alu instid0(VALU_DEP_2) | instskip(SKIP_1) | instid1(VALU_DEP_2)
	v_dual_cndmask_b32 v1, 0, v1, vcc_lo :: v_dual_lshlrev_b32 v7, 2, v7
	v_cndmask_b32_e32 v0, 3, v0, vcc_lo
	v_and_b32_e32 v7, 0xfc, v7
	s_delay_alu instid0(VALU_DEP_2) | instskip(NEXT) | instid1(VALU_DEP_2)
	v_cmp_eq_u64_e32 vcc_lo, 0, v[0:1]
	v_and_or_b32 v0, v0, 3, v7
	s_and_b32 s7, s7, vcc_lo
	s_delay_alu instid0(VALU_DEP_1) | instid1(SALU_CYCLE_1)
	v_cndmask_b32_e64 v0, v0, 0, s7
	s_delay_alu instid0(VALU_DEP_1)
	v_or_b32_e32 v39, v0, v8
.LBB6_8621:                             ;   in Loop: Header=BB6_7543 Depth=2
	s_or_b32 exec_lo, exec_lo, s41
                                        ; implicit-def: $vgpr8
.LBB6_8622:                             ;   in Loop: Header=BB6_7543 Depth=2
	s_and_not1_saveexec_b32 s7, s14
; %bb.8623:                             ;   in Loop: Header=BB6_7543 Depth=2
	v_or_b32_e32 v39, 0x7b, v8
; %bb.8624:                             ;   in Loop: Header=BB6_7543 Depth=2
	s_or_b32 exec_lo, exec_lo, s7
                                        ; implicit-def: $vgpr6
                                        ; implicit-def: $vgpr0
.LBB6_8625:                             ;   in Loop: Header=BB6_7543 Depth=2
	s_and_not1_saveexec_b32 s7, s10
	s_cbranch_execz .LBB6_8631
; %bb.8626:                             ;   in Loop: Header=BB6_7543 Depth=2
	s_mov_b32 s10, exec_lo
                                        ; implicit-def: $vgpr39
	v_cmpx_ne_u64_e32 0, v[24:25]
	s_xor_b32 s10, exec_lo, s10
; %bb.8627:                             ;   in Loop: Header=BB6_7543 Depth=2
	v_or_b32_e32 v39, 0x7f, v0
                                        ; implicit-def: $vgpr6
; %bb.8628:                             ;   in Loop: Header=BB6_7543 Depth=2
	s_and_not1_saveexec_b32 s10, s10
; %bb.8629:                             ;   in Loop: Header=BB6_7543 Depth=2
	v_cmp_lt_i32_e32 vcc_lo, -1, v6
	v_cndmask_b32_e32 v39, 0xfc, v41, vcc_lo
; %bb.8630:                             ;   in Loop: Header=BB6_7543 Depth=2
	s_or_b32 exec_lo, exec_lo, s10
.LBB6_8631:                             ;   in Loop: Header=BB6_7543 Depth=2
	s_delay_alu instid0(SALU_CYCLE_1) | instskip(SKIP_4) | instid1(VALU_DEP_2)
	s_or_b32 exec_lo, exec_lo, s7
	v_lshrrev_b16 v24, 8, v32
	v_lshrrev_b16 v0, 8, v26
	s_and_not1_b32 vcc_lo, exec_lo, s13
	s_mov_b32 s10, -1
                                        ; implicit-def: $vgpr1
	v_and_b32_e32 v6, 0xffff, v24
	v_cmp_ne_u16_e64 s7, 0, v24
	s_cbranch_vccnz .LBB6_8653
; %bb.8632:                             ;   in Loop: Header=BB6_7543 Depth=2
	v_dual_mov_b32 v1, 0 :: v_dual_mov_b32 v7, 0
	s_and_saveexec_b32 s10, s7
	s_cbranch_execz .LBB6_8642
; %bb.8633:                             ;   in Loop: Header=BB6_7543 Depth=2
	v_bfrev_b32_e32 v7, 1
	s_mov_b32 s14, exec_lo
	v_cmpx_ne_u16_e32 0x80, v24
	s_cbranch_execz .LBB6_8641
; %bb.8634:                             ;   in Loop: Header=BB6_7543 Depth=2
	v_and_b32_e32 v7, 0x7c, v6
	v_and_b32_e32 v8, 3, v6
	s_delay_alu instid0(VALU_DEP_2) | instskip(SKIP_1) | instid1(SALU_CYCLE_1)
	v_cmp_ne_u32_e32 vcc_lo, 0x7c, v7
                                        ; implicit-def: $vgpr7
	s_and_saveexec_b32 s41, vcc_lo
	s_xor_b32 s41, exec_lo, s41
	s_cbranch_execz .LBB6_8638
; %bb.8635:                             ;   in Loop: Header=BB6_7543 Depth=2
	v_bfe_u32 v7, v6, 2, 5
	s_mov_b32 s42, exec_lo
	s_delay_alu instid0(VALU_DEP_1)
	v_cmpx_eq_u32_e32 0, v7
; %bb.8636:                             ;   in Loop: Header=BB6_7543 Depth=2
	v_clz_i32_u32_e32 v7, v8
	s_delay_alu instid0(VALU_DEP_1) | instskip(NEXT) | instid1(VALU_DEP_1)
	v_min_u32_e32 v7, 32, v7
	v_subrev_nc_u32_e32 v8, 29, v7
	s_delay_alu instid0(VALU_DEP_1) | instskip(NEXT) | instid1(VALU_DEP_1)
	v_lshlrev_b64_e32 v[8:9], v8, v[24:25]
	v_dual_sub_nc_u32 v7, 30, v7 :: v_dual_bitop2_b32 v8, 3, v8 bitop3:0x40
; %bb.8637:                             ;   in Loop: Header=BB6_7543 Depth=2
	s_or_b32 exec_lo, exec_lo, s42
	v_lshlrev_b32_e32 v9, 16, v32
	s_delay_alu instid0(VALU_DEP_1) | instskip(NEXT) | instid1(VALU_DEP_1)
	v_and_b32_e32 v9, 0x80000000, v9
	v_lshl_add_u32 v7, v7, 23, v9
	s_delay_alu instid0(VALU_DEP_1) | instskip(NEXT) | instid1(VALU_DEP_1)
	v_lshl_or_b32 v7, v8, 21, v7
                                        ; implicit-def: $vgpr8
	v_add_nc_u32_e32 v7, 0x38000000, v7
.LBB6_8638:                             ;   in Loop: Header=BB6_7543 Depth=2
	s_and_not1_saveexec_b32 s41, s41
; %bb.8639:                             ;   in Loop: Header=BB6_7543 Depth=2
	v_cmp_lt_i16_e32 vcc_lo, -1, v32
	v_cndmask_b32_e32 v7, 0xff800000, v75, vcc_lo
	v_cmp_eq_u32_e32 vcc_lo, 0, v8
	s_delay_alu instid0(VALU_DEP_2)
	v_cndmask_b32_e32 v7, 0x7f800001, v7, vcc_lo
; %bb.8640:                             ;   in Loop: Header=BB6_7543 Depth=2
	s_or_b32 exec_lo, exec_lo, s41
.LBB6_8641:                             ;   in Loop: Header=BB6_7543 Depth=2
	s_delay_alu instid0(SALU_CYCLE_1)
	s_or_b32 exec_lo, exec_lo, s14
.LBB6_8642:                             ;   in Loop: Header=BB6_7543 Depth=2
	s_delay_alu instid0(SALU_CYCLE_1) | instskip(NEXT) | instid1(SALU_CYCLE_1)
	s_or_b32 exec_lo, exec_lo, s10
	s_mov_b32 s10, exec_lo
	v_cmpx_ne_u16_e32 0, v0
	s_cbranch_execz .LBB6_8652
; %bb.8643:                             ;   in Loop: Header=BB6_7543 Depth=2
	v_bfrev_b32_e32 v1, 1
	s_mov_b32 s14, exec_lo
	v_cmpx_ne_u16_e32 0x80, v0
	s_cbranch_execz .LBB6_8651
; %bb.8644:                             ;   in Loop: Header=BB6_7543 Depth=2
	v_and_b32_e32 v9, 0xffff, v0
	s_delay_alu instid0(VALU_DEP_1) | instskip(SKIP_1) | instid1(VALU_DEP_2)
	v_and_b32_e32 v1, 0x7c, v9
	v_and_b32_e32 v8, 3, v9
	v_cmp_ne_u32_e32 vcc_lo, 0x7c, v1
                                        ; implicit-def: $vgpr1
	s_and_saveexec_b32 s41, vcc_lo
	s_delay_alu instid0(SALU_CYCLE_1)
	s_xor_b32 s41, exec_lo, s41
	s_cbranch_execz .LBB6_8648
; %bb.8645:                             ;   in Loop: Header=BB6_7543 Depth=2
	v_bfe_u32 v1, v9, 2, 5
	s_mov_b32 s42, exec_lo
	s_delay_alu instid0(VALU_DEP_1)
	v_cmpx_eq_u32_e32 0, v1
; %bb.8646:                             ;   in Loop: Header=BB6_7543 Depth=2
	v_clz_i32_u32_e32 v1, v8
	s_delay_alu instid0(VALU_DEP_1) | instskip(SKIP_1) | instid1(VALU_DEP_2)
	v_min_u32_e32 v50, 32, v1
	v_mov_b32_e32 v1, v25
	v_subrev_nc_u32_e32 v8, 29, v50
	s_delay_alu instid0(VALU_DEP_1) | instskip(NEXT) | instid1(VALU_DEP_1)
	v_lshlrev_b64_e32 v[8:9], v8, v[0:1]
	v_dual_sub_nc_u32 v1, 30, v50 :: v_dual_bitop2_b32 v8, 3, v8 bitop3:0x40
; %bb.8647:                             ;   in Loop: Header=BB6_7543 Depth=2
	s_or_b32 exec_lo, exec_lo, s42
	v_lshlrev_b32_e32 v9, 16, v26
	s_delay_alu instid0(VALU_DEP_1) | instskip(NEXT) | instid1(VALU_DEP_1)
	v_and_b32_e32 v9, 0x80000000, v9
	v_lshl_add_u32 v1, v1, 23, v9
	s_delay_alu instid0(VALU_DEP_1) | instskip(NEXT) | instid1(VALU_DEP_1)
	v_lshl_or_b32 v1, v8, 21, v1
                                        ; implicit-def: $vgpr8
	v_add_nc_u32_e32 v1, 0x38000000, v1
.LBB6_8648:                             ;   in Loop: Header=BB6_7543 Depth=2
	s_and_not1_saveexec_b32 s41, s41
; %bb.8649:                             ;   in Loop: Header=BB6_7543 Depth=2
	v_cmp_lt_i16_e32 vcc_lo, -1, v26
	v_cndmask_b32_e32 v1, 0xff800000, v75, vcc_lo
	v_cmp_eq_u32_e32 vcc_lo, 0, v8
	s_delay_alu instid0(VALU_DEP_2)
	v_cndmask_b32_e32 v1, 0x7f800001, v1, vcc_lo
; %bb.8650:                             ;   in Loop: Header=BB6_7543 Depth=2
	s_or_b32 exec_lo, exec_lo, s41
.LBB6_8651:                             ;   in Loop: Header=BB6_7543 Depth=2
	s_delay_alu instid0(SALU_CYCLE_1)
	s_or_b32 exec_lo, exec_lo, s14
.LBB6_8652:                             ;   in Loop: Header=BB6_7543 Depth=2
	s_delay_alu instid0(SALU_CYCLE_1) | instskip(NEXT) | instid1(VALU_DEP_1)
	s_or_b32 exec_lo, exec_lo, s10
	v_dual_max_num_f32 v1, v1, v1 :: v_dual_max_num_f32 v7, v7, v7
	s_mov_b32 s10, 0
	s_delay_alu instid0(VALU_DEP_1)
	v_max_num_f32_e32 v1, v7, v1
.LBB6_8653:                             ;   in Loop: Header=BB6_7543 Depth=2
	s_and_b32 vcc_lo, exec_lo, s10
	s_cbranch_vccz .LBB6_8675
; %bb.8654:                             ;   in Loop: Header=BB6_7543 Depth=2
	v_dual_mov_b32 v1, 0 :: v_dual_mov_b32 v7, 0
	s_and_saveexec_b32 s10, s7
	s_cbranch_execz .LBB6_8664
; %bb.8655:                             ;   in Loop: Header=BB6_7543 Depth=2
	v_bfrev_b32_e32 v7, 1
	s_mov_b32 s7, exec_lo
	v_cmpx_ne_u16_e32 0x80, v24
	s_cbranch_execz .LBB6_8663
; %bb.8656:                             ;   in Loop: Header=BB6_7543 Depth=2
	v_and_b32_e32 v7, 0x7c, v6
	v_and_b32_e32 v8, 3, v6
	s_delay_alu instid0(VALU_DEP_2) | instskip(SKIP_1) | instid1(SALU_CYCLE_1)
	v_cmp_ne_u32_e32 vcc_lo, 0x7c, v7
                                        ; implicit-def: $vgpr7
	s_and_saveexec_b32 s14, vcc_lo
	s_xor_b32 s14, exec_lo, s14
	s_cbranch_execz .LBB6_8660
; %bb.8657:                             ;   in Loop: Header=BB6_7543 Depth=2
	v_bfe_u32 v6, v6, 2, 5
	s_mov_b32 s41, exec_lo
	s_delay_alu instid0(VALU_DEP_1)
	v_cmpx_eq_u32_e32 0, v6
; %bb.8658:                             ;   in Loop: Header=BB6_7543 Depth=2
	v_clz_i32_u32_e32 v6, v8
	s_delay_alu instid0(VALU_DEP_1) | instskip(NEXT) | instid1(VALU_DEP_1)
	v_min_u32_e32 v6, 32, v6
	v_subrev_nc_u32_e32 v7, 29, v6
	s_delay_alu instid0(VALU_DEP_1) | instskip(NEXT) | instid1(VALU_DEP_1)
	v_lshlrev_b64_e32 v[8:9], v7, v[24:25]
	v_dual_sub_nc_u32 v6, 30, v6 :: v_dual_bitop2_b32 v8, 3, v8 bitop3:0x40
; %bb.8659:                             ;   in Loop: Header=BB6_7543 Depth=2
	s_or_b32 exec_lo, exec_lo, s41
	v_lshlrev_b32_e32 v7, 16, v32
	s_delay_alu instid0(VALU_DEP_1) | instskip(NEXT) | instid1(VALU_DEP_1)
	v_and_b32_e32 v7, 0x80000000, v7
	v_lshl_add_u32 v6, v6, 23, v7
	s_delay_alu instid0(VALU_DEP_1) | instskip(NEXT) | instid1(VALU_DEP_1)
	v_lshl_or_b32 v6, v8, 21, v6
                                        ; implicit-def: $vgpr8
	v_add_nc_u32_e32 v7, 0x38000000, v6
.LBB6_8660:                             ;   in Loop: Header=BB6_7543 Depth=2
	s_and_not1_saveexec_b32 s14, s14
; %bb.8661:                             ;   in Loop: Header=BB6_7543 Depth=2
	v_cmp_lt_i16_e32 vcc_lo, -1, v32
	v_cndmask_b32_e32 v6, 0xff800000, v75, vcc_lo
	v_cmp_eq_u32_e32 vcc_lo, 0, v8
	s_delay_alu instid0(VALU_DEP_2)
	v_cndmask_b32_e32 v7, 0x7f800001, v6, vcc_lo
; %bb.8662:                             ;   in Loop: Header=BB6_7543 Depth=2
	s_or_b32 exec_lo, exec_lo, s14
.LBB6_8663:                             ;   in Loop: Header=BB6_7543 Depth=2
	s_delay_alu instid0(SALU_CYCLE_1)
	s_or_b32 exec_lo, exec_lo, s7
.LBB6_8664:                             ;   in Loop: Header=BB6_7543 Depth=2
	s_delay_alu instid0(SALU_CYCLE_1) | instskip(NEXT) | instid1(SALU_CYCLE_1)
	s_or_b32 exec_lo, exec_lo, s10
	s_mov_b32 s7, exec_lo
	v_cmpx_ne_u16_e32 0, v0
	s_cbranch_execz .LBB6_8674
; %bb.8665:                             ;   in Loop: Header=BB6_7543 Depth=2
	v_bfrev_b32_e32 v1, 1
	s_mov_b32 s10, exec_lo
	v_cmpx_ne_u16_e32 0x80, v0
	s_cbranch_execz .LBB6_8673
; %bb.8666:                             ;   in Loop: Header=BB6_7543 Depth=2
	v_and_b32_e32 v8, 0xffff, v0
	s_delay_alu instid0(VALU_DEP_1) | instskip(SKIP_1) | instid1(VALU_DEP_2)
	v_and_b32_e32 v1, 0x7c, v8
	v_and_b32_e32 v6, 3, v8
	v_cmp_ne_u32_e32 vcc_lo, 0x7c, v1
                                        ; implicit-def: $vgpr1
	s_and_saveexec_b32 s14, vcc_lo
	s_delay_alu instid0(SALU_CYCLE_1)
	s_xor_b32 s14, exec_lo, s14
	s_cbranch_execz .LBB6_8670
; %bb.8667:                             ;   in Loop: Header=BB6_7543 Depth=2
	v_bfe_u32 v1, v8, 2, 5
	s_mov_b32 s41, exec_lo
	s_delay_alu instid0(VALU_DEP_1)
	v_cmpx_eq_u32_e32 0, v1
; %bb.8668:                             ;   in Loop: Header=BB6_7543 Depth=2
	v_clz_i32_u32_e32 v1, v6
	s_delay_alu instid0(VALU_DEP_1) | instskip(SKIP_1) | instid1(VALU_DEP_2)
	v_min_u32_e32 v6, 32, v1
	v_mov_b32_e32 v1, v25
	v_subrev_nc_u32_e32 v8, 29, v6
	s_delay_alu instid0(VALU_DEP_1) | instskip(NEXT) | instid1(VALU_DEP_1)
	v_lshlrev_b64_e32 v[0:1], v8, v[0:1]
	v_dual_sub_nc_u32 v1, 30, v6 :: v_dual_bitop2_b32 v6, 3, v0 bitop3:0x40
; %bb.8669:                             ;   in Loop: Header=BB6_7543 Depth=2
	s_or_b32 exec_lo, exec_lo, s41
	v_lshlrev_b32_e32 v0, 16, v26
	s_delay_alu instid0(VALU_DEP_1) | instskip(NEXT) | instid1(VALU_DEP_1)
	v_and_b32_e32 v0, 0x80000000, v0
	v_lshl_add_u32 v0, v1, 23, v0
	s_delay_alu instid0(VALU_DEP_1) | instskip(NEXT) | instid1(VALU_DEP_1)
	v_lshl_or_b32 v0, v6, 21, v0
                                        ; implicit-def: $vgpr6
	v_add_nc_u32_e32 v1, 0x38000000, v0
.LBB6_8670:                             ;   in Loop: Header=BB6_7543 Depth=2
	s_and_not1_saveexec_b32 s14, s14
; %bb.8671:                             ;   in Loop: Header=BB6_7543 Depth=2
	v_cmp_lt_i16_e32 vcc_lo, -1, v26
	v_cndmask_b32_e32 v0, 0xff800000, v75, vcc_lo
	v_cmp_eq_u32_e32 vcc_lo, 0, v6
	s_delay_alu instid0(VALU_DEP_2)
	v_cndmask_b32_e32 v1, 0x7f800001, v0, vcc_lo
; %bb.8672:                             ;   in Loop: Header=BB6_7543 Depth=2
	s_or_b32 exec_lo, exec_lo, s14
.LBB6_8673:                             ;   in Loop: Header=BB6_7543 Depth=2
	s_delay_alu instid0(SALU_CYCLE_1)
	s_or_b32 exec_lo, exec_lo, s10
.LBB6_8674:                             ;   in Loop: Header=BB6_7543 Depth=2
	s_delay_alu instid0(SALU_CYCLE_1) | instskip(NEXT) | instid1(VALU_DEP_1)
	s_or_b32 exec_lo, exec_lo, s7
	v_dual_max_num_f32 v0, v1, v1 :: v_dual_max_num_f32 v1, v7, v7
	s_delay_alu instid0(VALU_DEP_1)
	v_min_num_f32_e32 v1, v1, v0
.LBB6_8675:                             ;   in Loop: Header=BB6_7543 Depth=2
	s_delay_alu instid0(VALU_DEP_1) | instskip(SKIP_3) | instid1(VALU_DEP_2)
	v_and_b32_e32 v6, 0x7f800000, v1
	v_dual_mov_b32 v7, v25 :: v_dual_lshrrev_b32 v0, 24, v1
	v_and_b32_e32 v24, 0x7fffff, v1
                                        ; implicit-def: $vgpr50
	s_mov_b32 s7, exec_lo
	v_cmpx_ne_u64_e32 0x7f800000, v[6:7]
	s_xor_b32 s10, exec_lo, s7
	s_cbranch_execz .LBB6_8689
; %bb.8676:                             ;   in Loop: Header=BB6_7543 Depth=2
	v_and_b32_e32 v6, 0x7fffffff, v1
	v_mov_b32_e32 v7, v25
	v_and_b32_e32 v8, 0x80, v0
                                        ; implicit-def: $vgpr50
	s_mov_b32 s7, exec_lo
	s_delay_alu instid0(VALU_DEP_2)
	v_cmpx_gt_u64_e32 0x47600001, v[6:7]
	s_xor_b32 s14, exec_lo, s7
	s_cbranch_execz .LBB6_8686
; %bb.8677:                             ;   in Loop: Header=BB6_7543 Depth=2
	v_mov_b32_e32 v50, 0
	s_mov_b32 s41, exec_lo
	v_cmpx_ne_u32_e32 0, v1
	s_cbranch_execz .LBB6_8685
; %bb.8678:                             ;   in Loop: Header=BB6_7543 Depth=2
	v_bfe_u32 v9, v1, 23, 8
	v_or_b32_e32 v6, 0x800000, v24
	s_delay_alu instid0(VALU_DEP_2) | instskip(SKIP_1) | instid1(VALU_DEP_2)
	v_sub_nc_u32_e32 v0, 0x71, v9
	v_cmp_gt_u32_e32 vcc_lo, 0x72, v9
	v_cndmask_b32_e32 v0, 0, v0, vcc_lo
	v_cmp_eq_u32_e32 vcc_lo, 0, v9
	s_delay_alu instid0(VALU_DEP_2) | instskip(NEXT) | instid1(VALU_DEP_1)
	v_cndmask_b32_e64 v50, v0, 0x70, vcc_lo
	v_dual_cndmask_b32 v24, v6, v24, vcc_lo :: v_dual_add_nc_u32 v0, 21, v50
	v_add_nc_u32_e32 v7, 20, v50
	s_delay_alu instid0(VALU_DEP_2) | instskip(NEXT) | instid1(VALU_DEP_2)
	v_lshlrev_b64_e64 v[0:1], v0, -1
	v_lshlrev_b64_e64 v[6:7], v7, 1
	s_delay_alu instid0(VALU_DEP_2) | instskip(NEXT) | instid1(VALU_DEP_3)
	v_bfi_b32 v69, v1, 0, 0
	v_bfi_b32 v68, v0, 0, v24
	v_lshrrev_b64 v[0:1], v50, v[24:25]
	s_delay_alu instid0(VALU_DEP_2) | instskip(NEXT) | instid1(VALU_DEP_2)
	v_cmp_eq_u64_e64 s7, v[68:69], v[6:7]
	v_mov_b64_e32 v[6:7], v[0:1]
	s_and_saveexec_b32 s42, s7
; %bb.8679:                             ;   in Loop: Header=BB6_7543 Depth=2
	v_bfe_u32 v24, v0, 21, 1
	s_delay_alu instid0(VALU_DEP_1) | instskip(NEXT) | instid1(VALU_DEP_1)
	v_add_nc_u64_e32 v[6:7], v[0:1], v[24:25]
	v_add_nc_u64_e32 v[6:7], -1, v[6:7]
; %bb.8680:                             ;   in Loop: Header=BB6_7543 Depth=2
	s_or_b32 exec_lo, exec_lo, s42
	v_add_nc_u32_e32 v1, 0xffffff81, v9
	v_lshrrev_b32_e32 v7, 23, v0
	s_mov_b32 s7, exec_lo
	s_delay_alu instid0(VALU_DEP_2) | instskip(NEXT) | instid1(VALU_DEP_1)
	v_cndmask_b32_e64 v1, v1, 0xffffff82, vcc_lo
	v_add3_u32 v7, v50, v1, v7
	v_and_b32_e32 v1, 0x1fffff, v6
                                        ; implicit-def: $vgpr6
	s_delay_alu instid0(VALU_DEP_1) | instskip(NEXT) | instid1(VALU_DEP_1)
	v_dual_add_nc_u32 v9, 14, v7 :: v_dual_add_nc_u32 v24, v1, v0
                                        ; implicit-def: $vgpr0_vgpr1
	v_cmpx_ne_u32_e32 0, v9
	s_xor_b32 s7, exec_lo, s7
; %bb.8681:                             ;   in Loop: Header=BB6_7543 Depth=2
	s_delay_alu instid0(VALU_DEP_2) | instskip(SKIP_1) | instid1(VALU_DEP_1)
	v_cmp_lt_u64_e32 vcc_lo, 0xffffff, v[24:25]
	v_add_nc_u32_e32 v0, 15, v7
	v_cndmask_b32_e32 v6, v9, v0, vcc_lo
	v_cndmask_b32_e64 v0, 0, 1, vcc_lo
	s_delay_alu instid0(VALU_DEP_1)
	v_lshrrev_b64 v[0:1], v0, v[24:25]
; %bb.8682:                             ;   in Loop: Header=BB6_7543 Depth=2
	s_and_not1_saveexec_b32 s7, s7
; %bb.8683:                             ;   in Loop: Header=BB6_7543 Depth=2
	v_mov_b64_e32 v[0:1], v[24:25]
	v_bfe_u32 v6, v24, 23, 1
; %bb.8684:                             ;   in Loop: Header=BB6_7543 Depth=2
	s_or_b32 exec_lo, exec_lo, s7
	s_delay_alu instid0(VALU_DEP_2) | instskip(NEXT) | instid1(VALU_DEP_2)
	v_lshrrev_b64 v[0:1], 21, v[0:1]
	v_cmp_gt_i32_e32 vcc_lo, 32, v6
	v_min_i32_e32 v7, 31, v6
	v_cmp_eq_u32_e64 s7, 0, v6
	s_delay_alu instid0(VALU_DEP_2) | instskip(SKIP_1) | instid1(VALU_DEP_2)
	v_dual_cndmask_b32 v1, 0, v1, vcc_lo :: v_dual_lshlrev_b32 v7, 2, v7
	v_cndmask_b32_e32 v0, 3, v0, vcc_lo
	v_and_b32_e32 v7, 0xfc, v7
	s_delay_alu instid0(VALU_DEP_2) | instskip(NEXT) | instid1(VALU_DEP_2)
	v_cmp_eq_u64_e32 vcc_lo, 0, v[0:1]
	v_and_or_b32 v0, v0, 3, v7
	s_and_b32 s7, s7, vcc_lo
	s_delay_alu instid0(VALU_DEP_1) | instid1(SALU_CYCLE_1)
	v_cndmask_b32_e64 v0, v0, 0, s7
	s_delay_alu instid0(VALU_DEP_1)
	v_or_b32_e32 v50, v0, v8
.LBB6_8685:                             ;   in Loop: Header=BB6_7543 Depth=2
	s_or_b32 exec_lo, exec_lo, s41
                                        ; implicit-def: $vgpr8
.LBB6_8686:                             ;   in Loop: Header=BB6_7543 Depth=2
	s_and_not1_saveexec_b32 s7, s14
; %bb.8687:                             ;   in Loop: Header=BB6_7543 Depth=2
	v_or_b32_e32 v50, 0x7b, v8
; %bb.8688:                             ;   in Loop: Header=BB6_7543 Depth=2
	s_or_b32 exec_lo, exec_lo, s7
                                        ; implicit-def: $vgpr1
                                        ; implicit-def: $vgpr0
.LBB6_8689:                             ;   in Loop: Header=BB6_7543 Depth=2
	s_and_not1_saveexec_b32 s7, s10
	s_cbranch_execz .LBB6_8695
; %bb.8690:                             ;   in Loop: Header=BB6_7543 Depth=2
	s_mov_b32 s10, exec_lo
                                        ; implicit-def: $vgpr50
	v_cmpx_ne_u64_e32 0, v[24:25]
	s_xor_b32 s10, exec_lo, s10
; %bb.8691:                             ;   in Loop: Header=BB6_7543 Depth=2
	v_or_b32_e32 v50, 0x7f, v0
                                        ; implicit-def: $vgpr1
; %bb.8692:                             ;   in Loop: Header=BB6_7543 Depth=2
	s_and_not1_saveexec_b32 s10, s10
; %bb.8693:                             ;   in Loop: Header=BB6_7543 Depth=2
	v_cmp_lt_i32_e32 vcc_lo, -1, v1
	v_cndmask_b32_e32 v50, 0xfc, v41, vcc_lo
; %bb.8694:                             ;   in Loop: Header=BB6_7543 Depth=2
	s_or_b32 exec_lo, exec_lo, s10
.LBB6_8695:                             ;   in Loop: Header=BB6_7543 Depth=2
	s_delay_alu instid0(SALU_CYCLE_1) | instskip(SKIP_3) | instid1(VALU_DEP_1)
	s_or_b32 exec_lo, exec_lo, s7
	v_dual_lshrrev_b32 v6, 16, v32 :: v_dual_lshrrev_b32 v0, 16, v26
	s_and_not1_b32 vcc_lo, exec_lo, s13
	s_mov_b32 s10, -1
                                        ; implicit-def: $vgpr7
	v_and_b32_e32 v1, 0xff, v6
	s_delay_alu instid0(VALU_DEP_1)
	v_cmp_ne_u16_e64 s7, 0, v1
	s_cbranch_vccnz .LBB6_8717
; %bb.8696:                             ;   in Loop: Header=BB6_7543 Depth=2
	v_dual_mov_b32 v8, 0 :: v_dual_mov_b32 v7, 0
	s_and_saveexec_b32 s10, s7
	s_cbranch_execz .LBB6_8706
; %bb.8697:                             ;   in Loop: Header=BB6_7543 Depth=2
	v_bfrev_b32_e32 v7, 1
	s_mov_b32 s14, exec_lo
	v_cmpx_ne_u16_e32 0x80, v1
	s_cbranch_execz .LBB6_8705
; %bb.8698:                             ;   in Loop: Header=BB6_7543 Depth=2
	v_and_b32_e32 v7, 0x7c0000, v32
	v_bfe_u32 v9, v32, 16, 2
	s_delay_alu instid0(VALU_DEP_2) | instskip(SKIP_1) | instid1(SALU_CYCLE_1)
	v_cmp_ne_u32_e32 vcc_lo, 0x7c0000, v7
                                        ; implicit-def: $vgpr7
	s_and_saveexec_b32 s41, vcc_lo
	s_xor_b32 s41, exec_lo, s41
	s_cbranch_execz .LBB6_8702
; %bb.8699:                             ;   in Loop: Header=BB6_7543 Depth=2
	v_bfe_u32 v7, v32, 18, 5
	s_mov_b32 s42, exec_lo
	s_delay_alu instid0(VALU_DEP_1)
	v_cmpx_eq_u32_e32 0, v7
; %bb.8700:                             ;   in Loop: Header=BB6_7543 Depth=2
	v_clz_i32_u32_e32 v7, v9
	s_delay_alu instid0(VALU_DEP_1) | instskip(NEXT) | instid1(VALU_DEP_1)
	v_min_u32_e32 v7, 32, v7
	v_subrev_nc_u32_e32 v9, 29, v7
	s_delay_alu instid0(VALU_DEP_1) | instskip(NEXT) | instid1(VALU_DEP_1)
	v_lshlrev_b64_e32 v[68:69], v9, v[6:7]
	v_dual_sub_nc_u32 v7, 30, v7 :: v_dual_bitop2_b32 v9, 3, v68 bitop3:0x40
; %bb.8701:                             ;   in Loop: Header=BB6_7543 Depth=2
	s_or_b32 exec_lo, exec_lo, s42
	v_lshlrev_b32_e32 v24, 24, v6
	s_delay_alu instid0(VALU_DEP_1) | instskip(NEXT) | instid1(VALU_DEP_1)
	v_and_b32_e32 v24, 0x80000000, v24
	v_lshl_add_u32 v7, v7, 23, v24
	s_delay_alu instid0(VALU_DEP_1) | instskip(NEXT) | instid1(VALU_DEP_1)
	v_lshl_or_b32 v7, v9, 21, v7
                                        ; implicit-def: $vgpr9
	v_add_nc_u32_e32 v7, 0x38000000, v7
.LBB6_8702:                             ;   in Loop: Header=BB6_7543 Depth=2
	s_and_not1_saveexec_b32 s41, s41
; %bb.8703:                             ;   in Loop: Header=BB6_7543 Depth=2
	v_bfe_i32 v7, v6, 0, 8
	s_delay_alu instid0(VALU_DEP_1) | instskip(SKIP_2) | instid1(VALU_DEP_2)
	v_cmp_lt_i16_e32 vcc_lo, -1, v7
	v_cndmask_b32_e32 v7, 0xff800000, v75, vcc_lo
	v_cmp_eq_u32_e32 vcc_lo, 0, v9
	v_cndmask_b32_e32 v7, 0x7f800001, v7, vcc_lo
; %bb.8704:                             ;   in Loop: Header=BB6_7543 Depth=2
	s_or_b32 exec_lo, exec_lo, s41
.LBB6_8705:                             ;   in Loop: Header=BB6_7543 Depth=2
	s_delay_alu instid0(SALU_CYCLE_1)
	s_or_b32 exec_lo, exec_lo, s14
.LBB6_8706:                             ;   in Loop: Header=BB6_7543 Depth=2
	s_delay_alu instid0(SALU_CYCLE_1) | instskip(SKIP_2) | instid1(VALU_DEP_1)
	s_or_b32 exec_lo, exec_lo, s10
	v_and_b32_e32 v9, 0xff, v0
	s_mov_b32 s10, exec_lo
	v_cmpx_ne_u16_e32 0, v9
	s_cbranch_execz .LBB6_8716
; %bb.8707:                             ;   in Loop: Header=BB6_7543 Depth=2
	v_bfrev_b32_e32 v8, 1
	s_mov_b32 s14, exec_lo
	v_cmpx_ne_u16_e32 0x80, v9
	s_cbranch_execz .LBB6_8715
; %bb.8708:                             ;   in Loop: Header=BB6_7543 Depth=2
	v_and_b32_e32 v8, 0x7c0000, v26
	v_bfe_u32 v9, v26, 16, 2
	s_delay_alu instid0(VALU_DEP_2) | instskip(SKIP_1) | instid1(SALU_CYCLE_1)
	v_cmp_ne_u32_e32 vcc_lo, 0x7c0000, v8
                                        ; implicit-def: $vgpr8
	s_and_saveexec_b32 s41, vcc_lo
	s_xor_b32 s41, exec_lo, s41
	s_cbranch_execz .LBB6_8712
; %bb.8709:                             ;   in Loop: Header=BB6_7543 Depth=2
	v_bfe_u32 v8, v26, 18, 5
	s_mov_b32 s42, exec_lo
	s_delay_alu instid0(VALU_DEP_1)
	v_cmpx_eq_u32_e32 0, v8
; %bb.8710:                             ;   in Loop: Header=BB6_7543 Depth=2
	v_clz_i32_u32_e32 v8, v9
	s_delay_alu instid0(VALU_DEP_1) | instskip(NEXT) | instid1(VALU_DEP_1)
	v_min_u32_e32 v8, 32, v8
	v_subrev_nc_u32_e32 v9, 29, v8
	v_sub_nc_u32_e32 v8, 30, v8
	s_delay_alu instid0(VALU_DEP_2) | instskip(NEXT) | instid1(VALU_DEP_1)
	v_lshlrev_b64_e32 v[68:69], v9, v[0:1]
	v_and_b32_e32 v9, 3, v68
; %bb.8711:                             ;   in Loop: Header=BB6_7543 Depth=2
	s_or_b32 exec_lo, exec_lo, s42
	v_lshlrev_b32_e32 v24, 24, v0
	s_delay_alu instid0(VALU_DEP_1) | instskip(NEXT) | instid1(VALU_DEP_1)
	v_and_b32_e32 v24, 0x80000000, v24
	v_lshl_add_u32 v8, v8, 23, v24
	s_delay_alu instid0(VALU_DEP_1) | instskip(NEXT) | instid1(VALU_DEP_1)
	v_lshl_or_b32 v8, v9, 21, v8
                                        ; implicit-def: $vgpr9
	v_add_nc_u32_e32 v8, 0x38000000, v8
.LBB6_8712:                             ;   in Loop: Header=BB6_7543 Depth=2
	s_and_not1_saveexec_b32 s41, s41
; %bb.8713:                             ;   in Loop: Header=BB6_7543 Depth=2
	v_bfe_i32 v8, v0, 0, 8
	s_delay_alu instid0(VALU_DEP_1) | instskip(SKIP_2) | instid1(VALU_DEP_2)
	v_cmp_lt_i16_e32 vcc_lo, -1, v8
	v_cndmask_b32_e32 v8, 0xff800000, v75, vcc_lo
	v_cmp_eq_u32_e32 vcc_lo, 0, v9
	v_cndmask_b32_e32 v8, 0x7f800001, v8, vcc_lo
; %bb.8714:                             ;   in Loop: Header=BB6_7543 Depth=2
	s_or_b32 exec_lo, exec_lo, s41
.LBB6_8715:                             ;   in Loop: Header=BB6_7543 Depth=2
	s_delay_alu instid0(SALU_CYCLE_1)
	s_or_b32 exec_lo, exec_lo, s14
.LBB6_8716:                             ;   in Loop: Header=BB6_7543 Depth=2
	s_delay_alu instid0(SALU_CYCLE_1) | instskip(NEXT) | instid1(VALU_DEP_1)
	s_or_b32 exec_lo, exec_lo, s10
	v_dual_max_num_f32 v8, v8, v8 :: v_dual_max_num_f32 v7, v7, v7
	s_mov_b32 s10, 0
	s_delay_alu instid0(VALU_DEP_1)
	v_max_num_f32_e32 v7, v7, v8
.LBB6_8717:                             ;   in Loop: Header=BB6_7543 Depth=2
	s_and_b32 vcc_lo, exec_lo, s10
	s_cbranch_vccz .LBB6_8739
; %bb.8718:                             ;   in Loop: Header=BB6_7543 Depth=2
	v_dual_mov_b32 v8, 0 :: v_dual_mov_b32 v7, 0
	s_and_saveexec_b32 s10, s7
	s_cbranch_execz .LBB6_8728
; %bb.8719:                             ;   in Loop: Header=BB6_7543 Depth=2
	v_bfrev_b32_e32 v7, 1
	s_mov_b32 s7, exec_lo
	v_cmpx_ne_u16_e32 0x80, v1
	s_cbranch_execz .LBB6_8727
; %bb.8720:                             ;   in Loop: Header=BB6_7543 Depth=2
	v_and_b32_e32 v7, 0x7c0000, v32
	v_bfe_u32 v1, v32, 16, 2
	s_delay_alu instid0(VALU_DEP_2) | instskip(SKIP_1) | instid1(SALU_CYCLE_1)
	v_cmp_ne_u32_e32 vcc_lo, 0x7c0000, v7
                                        ; implicit-def: $vgpr7
	s_and_saveexec_b32 s14, vcc_lo
	s_xor_b32 s14, exec_lo, s14
	s_cbranch_execz .LBB6_8724
; %bb.8721:                             ;   in Loop: Header=BB6_7543 Depth=2
	v_bfe_u32 v7, v32, 18, 5
	s_mov_b32 s41, exec_lo
	s_delay_alu instid0(VALU_DEP_1)
	v_cmpx_eq_u32_e32 0, v7
; %bb.8722:                             ;   in Loop: Header=BB6_7543 Depth=2
	v_clz_i32_u32_e32 v1, v1
	s_delay_alu instid0(VALU_DEP_1) | instskip(NEXT) | instid1(VALU_DEP_1)
	v_min_u32_e32 v1, 32, v1
	v_subrev_nc_u32_e32 v7, 29, v1
	s_delay_alu instid0(VALU_DEP_1) | instskip(NEXT) | instid1(VALU_DEP_1)
	v_lshlrev_b64_e32 v[68:69], v7, v[6:7]
	v_dual_sub_nc_u32 v7, 30, v1 :: v_dual_bitop2_b32 v1, 3, v68 bitop3:0x40
; %bb.8723:                             ;   in Loop: Header=BB6_7543 Depth=2
	s_or_b32 exec_lo, exec_lo, s41
	v_lshlrev_b32_e32 v6, 24, v6
	s_delay_alu instid0(VALU_DEP_1) | instskip(NEXT) | instid1(VALU_DEP_1)
	v_and_b32_e32 v6, 0x80000000, v6
	v_lshl_add_u32 v6, v7, 23, v6
	s_delay_alu instid0(VALU_DEP_1) | instskip(NEXT) | instid1(VALU_DEP_1)
	v_lshl_or_b32 v1, v1, 21, v6
                                        ; implicit-def: $vgpr6
	v_add_nc_u32_e32 v7, 0x38000000, v1
                                        ; implicit-def: $vgpr1
.LBB6_8724:                             ;   in Loop: Header=BB6_7543 Depth=2
	s_and_not1_saveexec_b32 s14, s14
; %bb.8725:                             ;   in Loop: Header=BB6_7543 Depth=2
	v_bfe_i32 v6, v6, 0, 8
	s_delay_alu instid0(VALU_DEP_1) | instskip(SKIP_2) | instid1(VALU_DEP_2)
	v_cmp_lt_i16_e32 vcc_lo, -1, v6
	v_cndmask_b32_e32 v6, 0xff800000, v75, vcc_lo
	v_cmp_eq_u32_e32 vcc_lo, 0, v1
	v_cndmask_b32_e32 v7, 0x7f800001, v6, vcc_lo
; %bb.8726:                             ;   in Loop: Header=BB6_7543 Depth=2
	s_or_b32 exec_lo, exec_lo, s14
.LBB6_8727:                             ;   in Loop: Header=BB6_7543 Depth=2
	s_delay_alu instid0(SALU_CYCLE_1)
	s_or_b32 exec_lo, exec_lo, s7
.LBB6_8728:                             ;   in Loop: Header=BB6_7543 Depth=2
	s_delay_alu instid0(SALU_CYCLE_1) | instskip(SKIP_2) | instid1(VALU_DEP_1)
	s_or_b32 exec_lo, exec_lo, s10
	v_and_b32_e32 v1, 0xff, v0
	s_mov_b32 s7, exec_lo
	v_cmpx_ne_u16_e32 0, v1
	s_cbranch_execz .LBB6_8738
; %bb.8729:                             ;   in Loop: Header=BB6_7543 Depth=2
	v_bfrev_b32_e32 v8, 1
	s_mov_b32 s10, exec_lo
	v_cmpx_ne_u16_e32 0x80, v1
	s_cbranch_execz .LBB6_8737
; %bb.8730:                             ;   in Loop: Header=BB6_7543 Depth=2
	v_and_b32_e32 v6, 0x7c0000, v26
	v_bfe_u32 v1, v26, 16, 2
	s_mov_b32 s14, exec_lo
                                        ; implicit-def: $vgpr8
	s_delay_alu instid0(VALU_DEP_2)
	v_cmpx_ne_u32_e32 0x7c0000, v6
	s_xor_b32 s14, exec_lo, s14
	s_cbranch_execz .LBB6_8734
; %bb.8731:                             ;   in Loop: Header=BB6_7543 Depth=2
	v_bfe_u32 v6, v26, 18, 5
	s_mov_b32 s41, exec_lo
	s_delay_alu instid0(VALU_DEP_1)
	v_cmpx_eq_u32_e32 0, v6
; %bb.8732:                             ;   in Loop: Header=BB6_7543 Depth=2
	v_clz_i32_u32_e32 v1, v1
	s_delay_alu instid0(VALU_DEP_1) | instskip(NEXT) | instid1(VALU_DEP_1)
	v_min_u32_e32 v1, 32, v1
	v_subrev_nc_u32_e32 v6, 29, v1
	s_delay_alu instid0(VALU_DEP_1) | instskip(NEXT) | instid1(VALU_DEP_1)
	v_lshlrev_b64_e32 v[8:9], v6, v[0:1]
	v_dual_sub_nc_u32 v6, 30, v1 :: v_dual_bitop2_b32 v1, 3, v8 bitop3:0x40
; %bb.8733:                             ;   in Loop: Header=BB6_7543 Depth=2
	s_or_b32 exec_lo, exec_lo, s41
	v_lshlrev_b32_e32 v0, 24, v0
	s_delay_alu instid0(VALU_DEP_1) | instskip(NEXT) | instid1(VALU_DEP_1)
	v_and_b32_e32 v0, 0x80000000, v0
	v_lshl_add_u32 v0, v6, 23, v0
	s_delay_alu instid0(VALU_DEP_1) | instskip(NEXT) | instid1(VALU_DEP_1)
	v_lshl_or_b32 v0, v1, 21, v0
                                        ; implicit-def: $vgpr1
	v_add_nc_u32_e32 v8, 0x38000000, v0
                                        ; implicit-def: $vgpr0
.LBB6_8734:                             ;   in Loop: Header=BB6_7543 Depth=2
	s_and_not1_saveexec_b32 s14, s14
; %bb.8735:                             ;   in Loop: Header=BB6_7543 Depth=2
	v_bfe_i32 v0, v0, 0, 8
	s_delay_alu instid0(VALU_DEP_1) | instskip(SKIP_2) | instid1(VALU_DEP_2)
	v_cmp_lt_i16_e32 vcc_lo, -1, v0
	v_cndmask_b32_e32 v0, 0xff800000, v75, vcc_lo
	v_cmp_eq_u32_e32 vcc_lo, 0, v1
	v_cndmask_b32_e32 v8, 0x7f800001, v0, vcc_lo
; %bb.8736:                             ;   in Loop: Header=BB6_7543 Depth=2
	s_or_b32 exec_lo, exec_lo, s14
.LBB6_8737:                             ;   in Loop: Header=BB6_7543 Depth=2
	s_delay_alu instid0(SALU_CYCLE_1)
	s_or_b32 exec_lo, exec_lo, s10
.LBB6_8738:                             ;   in Loop: Header=BB6_7543 Depth=2
	s_delay_alu instid0(SALU_CYCLE_1) | instskip(NEXT) | instid1(VALU_DEP_1)
	s_or_b32 exec_lo, exec_lo, s7
	v_dual_max_num_f32 v0, v8, v8 :: v_dual_max_num_f32 v1, v7, v7
	s_delay_alu instid0(VALU_DEP_1)
	v_min_num_f32_e32 v7, v1, v0
.LBB6_8739:                             ;   in Loop: Header=BB6_7543 Depth=2
	s_delay_alu instid0(VALU_DEP_1) | instskip(SKIP_2) | instid1(VALU_DEP_2)
	v_and_b32_e32 v0, 0x7f800000, v7
	v_mov_b32_e32 v1, v25
	v_and_b32_e32 v24, 0x7fffff, v7
                                        ; implicit-def: $vgpr51
	v_cmp_ne_u64_e32 vcc_lo, 0x7f800000, v[0:1]
	v_lshrrev_b32_e32 v0, 24, v7
	s_and_saveexec_b32 s7, vcc_lo
	s_delay_alu instid0(SALU_CYCLE_1)
	s_xor_b32 s10, exec_lo, s7
	s_cbranch_execz .LBB6_8753
; %bb.8740:                             ;   in Loop: Header=BB6_7543 Depth=2
	v_and_b32_e32 v8, 0x7fffffff, v7
	v_mov_b32_e32 v9, v25
                                        ; implicit-def: $vgpr51
	s_delay_alu instid0(VALU_DEP_1) | instskip(SKIP_2) | instid1(SALU_CYCLE_1)
	v_cmp_gt_u64_e32 vcc_lo, 0x47600001, v[8:9]
	v_and_b32_e32 v8, 0x80, v0
	s_and_saveexec_b32 s7, vcc_lo
	s_xor_b32 s14, exec_lo, s7
	s_cbranch_execz .LBB6_8750
; %bb.8741:                             ;   in Loop: Header=BB6_7543 Depth=2
	v_mov_b32_e32 v51, 0
	s_mov_b32 s41, exec_lo
	v_cmpx_ne_u32_e32 0, v7
	s_cbranch_execz .LBB6_8749
; %bb.8742:                             ;   in Loop: Header=BB6_7543 Depth=2
	v_bfe_u32 v9, v7, 23, 8
	v_or_b32_e32 v6, 0x800000, v24
	s_delay_alu instid0(VALU_DEP_2) | instskip(SKIP_1) | instid1(VALU_DEP_2)
	v_sub_nc_u32_e32 v0, 0x71, v9
	v_cmp_gt_u32_e32 vcc_lo, 0x72, v9
	v_cndmask_b32_e32 v0, 0, v0, vcc_lo
	v_cmp_eq_u32_e32 vcc_lo, 0, v9
	s_delay_alu instid0(VALU_DEP_2) | instskip(NEXT) | instid1(VALU_DEP_1)
	v_cndmask_b32_e64 v51, v0, 0x70, vcc_lo
	v_dual_cndmask_b32 v24, v6, v24, vcc_lo :: v_dual_add_nc_u32 v0, 21, v51
	v_add_nc_u32_e32 v7, 20, v51
	s_delay_alu instid0(VALU_DEP_2) | instskip(NEXT) | instid1(VALU_DEP_2)
	v_lshlrev_b64_e64 v[0:1], v0, -1
	v_lshlrev_b64_e64 v[6:7], v7, 1
	s_delay_alu instid0(VALU_DEP_2) | instskip(NEXT) | instid1(VALU_DEP_3)
	v_bfi_b32 v69, v1, 0, 0
	v_bfi_b32 v68, v0, 0, v24
	v_lshrrev_b64 v[0:1], v51, v[24:25]
	s_delay_alu instid0(VALU_DEP_2) | instskip(NEXT) | instid1(VALU_DEP_2)
	v_cmp_eq_u64_e64 s7, v[68:69], v[6:7]
	v_mov_b64_e32 v[6:7], v[0:1]
	s_and_saveexec_b32 s42, s7
; %bb.8743:                             ;   in Loop: Header=BB6_7543 Depth=2
	v_bfe_u32 v24, v0, 21, 1
	s_delay_alu instid0(VALU_DEP_1) | instskip(NEXT) | instid1(VALU_DEP_1)
	v_add_nc_u64_e32 v[6:7], v[0:1], v[24:25]
	v_add_nc_u64_e32 v[6:7], -1, v[6:7]
; %bb.8744:                             ;   in Loop: Header=BB6_7543 Depth=2
	s_or_b32 exec_lo, exec_lo, s42
	v_add_nc_u32_e32 v1, 0xffffff81, v9
	v_lshrrev_b32_e32 v7, 23, v0
	s_mov_b32 s7, exec_lo
	s_delay_alu instid0(VALU_DEP_2) | instskip(NEXT) | instid1(VALU_DEP_1)
	v_cndmask_b32_e64 v1, v1, 0xffffff82, vcc_lo
	v_add3_u32 v7, v51, v1, v7
	v_and_b32_e32 v1, 0x1fffff, v6
                                        ; implicit-def: $vgpr6
	s_delay_alu instid0(VALU_DEP_1) | instskip(NEXT) | instid1(VALU_DEP_1)
	v_dual_add_nc_u32 v9, 14, v7 :: v_dual_add_nc_u32 v24, v1, v0
                                        ; implicit-def: $vgpr0_vgpr1
	v_cmpx_ne_u32_e32 0, v9
	s_xor_b32 s7, exec_lo, s7
; %bb.8745:                             ;   in Loop: Header=BB6_7543 Depth=2
	s_delay_alu instid0(VALU_DEP_2) | instskip(SKIP_1) | instid1(VALU_DEP_1)
	v_cmp_lt_u64_e32 vcc_lo, 0xffffff, v[24:25]
	v_add_nc_u32_e32 v0, 15, v7
	v_cndmask_b32_e32 v6, v9, v0, vcc_lo
	v_cndmask_b32_e64 v0, 0, 1, vcc_lo
	s_delay_alu instid0(VALU_DEP_1)
	v_lshrrev_b64 v[0:1], v0, v[24:25]
; %bb.8746:                             ;   in Loop: Header=BB6_7543 Depth=2
	s_and_not1_saveexec_b32 s7, s7
; %bb.8747:                             ;   in Loop: Header=BB6_7543 Depth=2
	v_mov_b64_e32 v[0:1], v[24:25]
	v_bfe_u32 v6, v24, 23, 1
; %bb.8748:                             ;   in Loop: Header=BB6_7543 Depth=2
	s_or_b32 exec_lo, exec_lo, s7
	s_delay_alu instid0(VALU_DEP_2) | instskip(NEXT) | instid1(VALU_DEP_2)
	v_lshrrev_b64 v[0:1], 21, v[0:1]
	v_cmp_gt_i32_e32 vcc_lo, 32, v6
	v_min_i32_e32 v7, 31, v6
	v_cmp_eq_u32_e64 s7, 0, v6
	s_delay_alu instid0(VALU_DEP_2) | instskip(SKIP_1) | instid1(VALU_DEP_2)
	v_dual_cndmask_b32 v1, 0, v1, vcc_lo :: v_dual_lshlrev_b32 v7, 2, v7
	v_cndmask_b32_e32 v0, 3, v0, vcc_lo
	v_and_b32_e32 v7, 0xfc, v7
	s_delay_alu instid0(VALU_DEP_2) | instskip(NEXT) | instid1(VALU_DEP_2)
	v_cmp_eq_u64_e32 vcc_lo, 0, v[0:1]
	v_and_or_b32 v0, v0, 3, v7
	s_and_b32 s7, s7, vcc_lo
	s_delay_alu instid0(VALU_DEP_1) | instid1(SALU_CYCLE_1)
	v_cndmask_b32_e64 v0, v0, 0, s7
	s_delay_alu instid0(VALU_DEP_1)
	v_or_b32_e32 v51, v0, v8
.LBB6_8749:                             ;   in Loop: Header=BB6_7543 Depth=2
	s_or_b32 exec_lo, exec_lo, s41
                                        ; implicit-def: $vgpr8
.LBB6_8750:                             ;   in Loop: Header=BB6_7543 Depth=2
	s_and_not1_saveexec_b32 s7, s14
; %bb.8751:                             ;   in Loop: Header=BB6_7543 Depth=2
	v_or_b32_e32 v51, 0x7b, v8
; %bb.8752:                             ;   in Loop: Header=BB6_7543 Depth=2
	s_or_b32 exec_lo, exec_lo, s7
                                        ; implicit-def: $vgpr7
                                        ; implicit-def: $vgpr0
.LBB6_8753:                             ;   in Loop: Header=BB6_7543 Depth=2
	s_and_not1_saveexec_b32 s7, s10
	s_cbranch_execz .LBB6_8759
; %bb.8754:                             ;   in Loop: Header=BB6_7543 Depth=2
	s_mov_b32 s10, exec_lo
                                        ; implicit-def: $vgpr51
	v_cmpx_ne_u64_e32 0, v[24:25]
	s_xor_b32 s10, exec_lo, s10
; %bb.8755:                             ;   in Loop: Header=BB6_7543 Depth=2
	v_or_b32_e32 v51, 0x7f, v0
                                        ; implicit-def: $vgpr7
; %bb.8756:                             ;   in Loop: Header=BB6_7543 Depth=2
	s_and_not1_saveexec_b32 s10, s10
; %bb.8757:                             ;   in Loop: Header=BB6_7543 Depth=2
	v_cmp_lt_i32_e32 vcc_lo, -1, v7
	v_cndmask_b32_e32 v51, 0xfc, v41, vcc_lo
; %bb.8758:                             ;   in Loop: Header=BB6_7543 Depth=2
	s_or_b32 exec_lo, exec_lo, s10
.LBB6_8759:                             ;   in Loop: Header=BB6_7543 Depth=2
	s_delay_alu instid0(SALU_CYCLE_1)
	s_or_b32 exec_lo, exec_lo, s7
	v_dual_lshrrev_b32 v6, 24, v32 :: v_dual_lshrrev_b32 v0, 24, v26
	v_cmp_lt_u32_e64 s7, 0xffffff, v32
	s_and_not1_b32 vcc_lo, exec_lo, s13
	s_mov_b32 s10, -1
                                        ; implicit-def: $vgpr1
	s_cbranch_vccnz .LBB6_8781
; %bb.8760:                             ;   in Loop: Header=BB6_7543 Depth=2
	v_dual_mov_b32 v7, 0 :: v_dual_mov_b32 v1, 0
	s_and_saveexec_b32 s10, s7
	s_cbranch_execz .LBB6_8770
; %bb.8761:                             ;   in Loop: Header=BB6_7543 Depth=2
	v_bfrev_b32_e32 v1, 1
	s_mov_b32 s14, exec_lo
	v_cmpx_ne_u32_e32 0x80, v6
	s_cbranch_execz .LBB6_8769
; %bb.8762:                             ;   in Loop: Header=BB6_7543 Depth=2
	v_and_b32_e32 v1, 0x7c000000, v32
	v_bfe_u32 v8, v32, 24, 2
	s_delay_alu instid0(VALU_DEP_2) | instskip(SKIP_1) | instid1(SALU_CYCLE_1)
	v_cmp_ne_u32_e32 vcc_lo, 0x7c000000, v1
                                        ; implicit-def: $vgpr1
	s_and_saveexec_b32 s41, vcc_lo
	s_xor_b32 s41, exec_lo, s41
	s_cbranch_execz .LBB6_8766
; %bb.8763:                             ;   in Loop: Header=BB6_7543 Depth=2
	v_bfe_u32 v1, v32, 26, 5
	s_mov_b32 s42, exec_lo
	s_delay_alu instid0(VALU_DEP_1)
	v_cmpx_eq_u32_e32 0, v1
; %bb.8764:                             ;   in Loop: Header=BB6_7543 Depth=2
	v_clz_i32_u32_e32 v1, v8
	s_delay_alu instid0(VALU_DEP_1) | instskip(NEXT) | instid1(VALU_DEP_1)
	v_min_u32_e32 v1, 32, v1
	v_subrev_nc_u32_e32 v8, 29, v1
	s_delay_alu instid0(VALU_DEP_1) | instskip(NEXT) | instid1(VALU_DEP_1)
	v_lshlrev_b64_e32 v[8:9], v8, v[6:7]
	v_dual_sub_nc_u32 v1, 30, v1 :: v_dual_bitop2_b32 v8, 3, v8 bitop3:0x40
; %bb.8765:                             ;   in Loop: Header=BB6_7543 Depth=2
	s_or_b32 exec_lo, exec_lo, s42
	v_and_b32_e32 v9, 0x80000000, v32
	s_delay_alu instid0(VALU_DEP_1) | instskip(NEXT) | instid1(VALU_DEP_1)
	v_lshl_add_u32 v1, v1, 23, v9
	v_lshl_or_b32 v1, v8, 21, v1
                                        ; implicit-def: $vgpr8
	s_delay_alu instid0(VALU_DEP_1)
	v_add_nc_u32_e32 v1, 0x38000000, v1
.LBB6_8766:                             ;   in Loop: Header=BB6_7543 Depth=2
	s_and_not1_saveexec_b32 s41, s41
; %bb.8767:                             ;   in Loop: Header=BB6_7543 Depth=2
	v_cmp_lt_i32_e32 vcc_lo, -1, v32
	v_cndmask_b32_e32 v1, 0xff800000, v75, vcc_lo
	v_cmp_eq_u32_e32 vcc_lo, 0, v8
	s_delay_alu instid0(VALU_DEP_2)
	v_cndmask_b32_e32 v1, 0x7f800001, v1, vcc_lo
; %bb.8768:                             ;   in Loop: Header=BB6_7543 Depth=2
	s_or_b32 exec_lo, exec_lo, s41
.LBB6_8769:                             ;   in Loop: Header=BB6_7543 Depth=2
	s_delay_alu instid0(SALU_CYCLE_1)
	s_or_b32 exec_lo, exec_lo, s14
.LBB6_8770:                             ;   in Loop: Header=BB6_7543 Depth=2
	s_delay_alu instid0(SALU_CYCLE_1) | instskip(NEXT) | instid1(SALU_CYCLE_1)
	s_or_b32 exec_lo, exec_lo, s10
	s_mov_b32 s10, exec_lo
	v_cmpx_lt_u32_e32 0xffffff, v26
	s_cbranch_execz .LBB6_8780
; %bb.8771:                             ;   in Loop: Header=BB6_7543 Depth=2
	v_bfrev_b32_e32 v7, 1
	s_mov_b32 s14, exec_lo
	v_cmpx_ne_u32_e32 0x80, v0
	s_cbranch_execz .LBB6_8779
; %bb.8772:                             ;   in Loop: Header=BB6_7543 Depth=2
	v_and_b32_e32 v7, 0x7c000000, v26
	v_bfe_u32 v8, v26, 24, 2
	s_delay_alu instid0(VALU_DEP_2) | instskip(SKIP_1) | instid1(SALU_CYCLE_1)
	v_cmp_ne_u32_e32 vcc_lo, 0x7c000000, v7
                                        ; implicit-def: $vgpr7
	s_and_saveexec_b32 s41, vcc_lo
	s_xor_b32 s41, exec_lo, s41
	s_cbranch_execz .LBB6_8776
; %bb.8773:                             ;   in Loop: Header=BB6_7543 Depth=2
	v_bfe_u32 v7, v26, 26, 5
	s_mov_b32 s42, exec_lo
	s_delay_alu instid0(VALU_DEP_1)
	v_cmpx_eq_u32_e32 0, v7
; %bb.8774:                             ;   in Loop: Header=BB6_7543 Depth=2
	v_clz_i32_u32_e32 v7, v8
	s_delay_alu instid0(VALU_DEP_1) | instskip(NEXT) | instid1(VALU_DEP_1)
	v_min_u32_e32 v7, 32, v7
	v_subrev_nc_u32_e32 v8, 29, v7
	s_delay_alu instid0(VALU_DEP_1) | instskip(NEXT) | instid1(VALU_DEP_1)
	v_lshlrev_b64_e32 v[8:9], v8, v[0:1]
	v_dual_sub_nc_u32 v7, 30, v7 :: v_dual_bitop2_b32 v8, 3, v8 bitop3:0x40
; %bb.8775:                             ;   in Loop: Header=BB6_7543 Depth=2
	s_or_b32 exec_lo, exec_lo, s42
	v_and_b32_e32 v9, 0x80000000, v26
	s_delay_alu instid0(VALU_DEP_1) | instskip(NEXT) | instid1(VALU_DEP_1)
	v_lshl_add_u32 v7, v7, 23, v9
	v_lshl_or_b32 v7, v8, 21, v7
                                        ; implicit-def: $vgpr8
	s_delay_alu instid0(VALU_DEP_1)
	v_add_nc_u32_e32 v7, 0x38000000, v7
.LBB6_8776:                             ;   in Loop: Header=BB6_7543 Depth=2
	s_and_not1_saveexec_b32 s41, s41
; %bb.8777:                             ;   in Loop: Header=BB6_7543 Depth=2
	v_cmp_lt_i32_e32 vcc_lo, -1, v26
	v_cndmask_b32_e32 v7, 0xff800000, v75, vcc_lo
	v_cmp_eq_u32_e32 vcc_lo, 0, v8
	s_delay_alu instid0(VALU_DEP_2)
	v_cndmask_b32_e32 v7, 0x7f800001, v7, vcc_lo
; %bb.8778:                             ;   in Loop: Header=BB6_7543 Depth=2
	s_or_b32 exec_lo, exec_lo, s41
.LBB6_8779:                             ;   in Loop: Header=BB6_7543 Depth=2
	s_delay_alu instid0(SALU_CYCLE_1)
	s_or_b32 exec_lo, exec_lo, s14
.LBB6_8780:                             ;   in Loop: Header=BB6_7543 Depth=2
	s_delay_alu instid0(SALU_CYCLE_1) | instskip(NEXT) | instid1(VALU_DEP_1)
	s_or_b32 exec_lo, exec_lo, s10
	v_dual_max_num_f32 v7, v7, v7 :: v_dual_max_num_f32 v1, v1, v1
	s_mov_b32 s10, 0
	s_delay_alu instid0(VALU_DEP_1)
	v_max_num_f32_e32 v1, v1, v7
.LBB6_8781:                             ;   in Loop: Header=BB6_7543 Depth=2
	s_and_b32 vcc_lo, exec_lo, s10
	s_cbranch_vccz .LBB6_8803
; %bb.8782:                             ;   in Loop: Header=BB6_7543 Depth=2
	v_dual_mov_b32 v7, 0 :: v_dual_mov_b32 v1, 0
	s_and_saveexec_b32 s10, s7
	s_cbranch_execz .LBB6_8792
; %bb.8783:                             ;   in Loop: Header=BB6_7543 Depth=2
	v_bfrev_b32_e32 v1, 1
	s_mov_b32 s7, exec_lo
	v_cmpx_ne_u32_e32 0x80, v6
	s_cbranch_execz .LBB6_8791
; %bb.8784:                             ;   in Loop: Header=BB6_7543 Depth=2
	v_and_b32_e32 v1, 0x7c000000, v32
	v_bfe_u32 v8, v32, 24, 2
	s_delay_alu instid0(VALU_DEP_2) | instskip(SKIP_1) | instid1(SALU_CYCLE_1)
	v_cmp_ne_u32_e32 vcc_lo, 0x7c000000, v1
                                        ; implicit-def: $vgpr1
	s_and_saveexec_b32 s14, vcc_lo
	s_xor_b32 s14, exec_lo, s14
	s_cbranch_execz .LBB6_8788
; %bb.8785:                             ;   in Loop: Header=BB6_7543 Depth=2
	v_bfe_u32 v1, v32, 26, 5
	s_mov_b32 s41, exec_lo
	s_delay_alu instid0(VALU_DEP_1)
	v_cmpx_eq_u32_e32 0, v1
; %bb.8786:                             ;   in Loop: Header=BB6_7543 Depth=2
	v_clz_i32_u32_e32 v1, v8
	s_delay_alu instid0(VALU_DEP_1) | instskip(NEXT) | instid1(VALU_DEP_1)
	v_min_u32_e32 v1, 32, v1
	v_subrev_nc_u32_e32 v8, 29, v1
	s_delay_alu instid0(VALU_DEP_1) | instskip(NEXT) | instid1(VALU_DEP_1)
	v_lshlrev_b64_e32 v[8:9], v8, v[6:7]
	v_dual_sub_nc_u32 v1, 30, v1 :: v_dual_bitop2_b32 v8, 3, v8 bitop3:0x40
; %bb.8787:                             ;   in Loop: Header=BB6_7543 Depth=2
	s_or_b32 exec_lo, exec_lo, s41
	v_and_b32_e32 v6, 0x80000000, v32
	s_delay_alu instid0(VALU_DEP_1) | instskip(NEXT) | instid1(VALU_DEP_1)
	v_lshl_add_u32 v1, v1, 23, v6
	v_lshl_or_b32 v1, v8, 21, v1
                                        ; implicit-def: $vgpr8
	s_delay_alu instid0(VALU_DEP_1)
	v_add_nc_u32_e32 v1, 0x38000000, v1
.LBB6_8788:                             ;   in Loop: Header=BB6_7543 Depth=2
	s_and_not1_saveexec_b32 s14, s14
; %bb.8789:                             ;   in Loop: Header=BB6_7543 Depth=2
	v_cmp_lt_i32_e32 vcc_lo, -1, v32
	v_cndmask_b32_e32 v1, 0xff800000, v75, vcc_lo
	v_cmp_eq_u32_e32 vcc_lo, 0, v8
	s_delay_alu instid0(VALU_DEP_2)
	v_cndmask_b32_e32 v1, 0x7f800001, v1, vcc_lo
; %bb.8790:                             ;   in Loop: Header=BB6_7543 Depth=2
	s_or_b32 exec_lo, exec_lo, s14
.LBB6_8791:                             ;   in Loop: Header=BB6_7543 Depth=2
	s_delay_alu instid0(SALU_CYCLE_1)
	s_or_b32 exec_lo, exec_lo, s7
.LBB6_8792:                             ;   in Loop: Header=BB6_7543 Depth=2
	s_delay_alu instid0(SALU_CYCLE_1) | instskip(NEXT) | instid1(SALU_CYCLE_1)
	s_or_b32 exec_lo, exec_lo, s10
	s_mov_b32 s7, exec_lo
	v_cmpx_lt_u32_e32 0xffffff, v26
	s_cbranch_execz .LBB6_8802
; %bb.8793:                             ;   in Loop: Header=BB6_7543 Depth=2
	v_bfrev_b32_e32 v7, 1
	s_mov_b32 s10, exec_lo
	v_cmpx_ne_u32_e32 0x80, v0
	s_cbranch_execz .LBB6_8801
; %bb.8794:                             ;   in Loop: Header=BB6_7543 Depth=2
	v_and_b32_e32 v7, 0x7c000000, v26
	v_bfe_u32 v6, v26, 24, 2
	s_delay_alu instid0(VALU_DEP_2) | instskip(SKIP_1) | instid1(SALU_CYCLE_1)
	v_cmp_ne_u32_e32 vcc_lo, 0x7c000000, v7
                                        ; implicit-def: $vgpr7
	s_and_saveexec_b32 s14, vcc_lo
	s_xor_b32 s14, exec_lo, s14
	s_cbranch_execz .LBB6_8798
; %bb.8795:                             ;   in Loop: Header=BB6_7543 Depth=2
	v_bfe_u32 v7, v26, 26, 5
	s_mov_b32 s41, exec_lo
	s_delay_alu instid0(VALU_DEP_1)
	v_cmpx_eq_u32_e32 0, v7
; %bb.8796:                             ;   in Loop: Header=BB6_7543 Depth=2
	v_clz_i32_u32_e32 v6, v6
	s_delay_alu instid0(VALU_DEP_1) | instskip(NEXT) | instid1(VALU_DEP_1)
	v_min_u32_e32 v8, 32, v6
	v_subrev_nc_u32_e32 v6, 29, v8
	s_delay_alu instid0(VALU_DEP_1) | instskip(NEXT) | instid1(VALU_DEP_1)
	v_lshlrev_b64_e32 v[6:7], v6, v[0:1]
	v_dual_sub_nc_u32 v7, 30, v8 :: v_dual_bitop2_b32 v6, 3, v6 bitop3:0x40
; %bb.8797:                             ;   in Loop: Header=BB6_7543 Depth=2
	s_or_b32 exec_lo, exec_lo, s41
	v_and_b32_e32 v0, 0x80000000, v26
	s_delay_alu instid0(VALU_DEP_1) | instskip(NEXT) | instid1(VALU_DEP_1)
	v_lshl_add_u32 v0, v7, 23, v0
	v_lshl_or_b32 v0, v6, 21, v0
                                        ; implicit-def: $vgpr6
	s_delay_alu instid0(VALU_DEP_1)
	v_add_nc_u32_e32 v7, 0x38000000, v0
.LBB6_8798:                             ;   in Loop: Header=BB6_7543 Depth=2
	s_and_not1_saveexec_b32 s14, s14
; %bb.8799:                             ;   in Loop: Header=BB6_7543 Depth=2
	v_cmp_lt_i32_e32 vcc_lo, -1, v26
	v_cndmask_b32_e32 v0, 0xff800000, v75, vcc_lo
	v_cmp_eq_u32_e32 vcc_lo, 0, v6
	s_delay_alu instid0(VALU_DEP_2)
	v_cndmask_b32_e32 v7, 0x7f800001, v0, vcc_lo
; %bb.8800:                             ;   in Loop: Header=BB6_7543 Depth=2
	s_or_b32 exec_lo, exec_lo, s14
.LBB6_8801:                             ;   in Loop: Header=BB6_7543 Depth=2
	s_delay_alu instid0(SALU_CYCLE_1)
	s_or_b32 exec_lo, exec_lo, s10
.LBB6_8802:                             ;   in Loop: Header=BB6_7543 Depth=2
	s_delay_alu instid0(SALU_CYCLE_1) | instskip(NEXT) | instid1(VALU_DEP_1)
	s_or_b32 exec_lo, exec_lo, s7
	v_dual_max_num_f32 v0, v7, v7 :: v_dual_max_num_f32 v1, v1, v1
	s_delay_alu instid0(VALU_DEP_1)
	v_min_num_f32_e32 v1, v1, v0
.LBB6_8803:                             ;   in Loop: Header=BB6_7543 Depth=2
	s_delay_alu instid0(VALU_DEP_1) | instskip(SKIP_3) | instid1(VALU_DEP_2)
	v_and_b32_e32 v6, 0x7f800000, v1
	v_dual_mov_b32 v7, v25 :: v_dual_lshrrev_b32 v0, 24, v1
	v_and_b32_e32 v24, 0x7fffff, v1
                                        ; implicit-def: $vgpr68
	s_mov_b32 s7, exec_lo
	v_cmpx_ne_u64_e32 0x7f800000, v[6:7]
	s_xor_b32 s10, exec_lo, s7
	s_cbranch_execz .LBB6_8817
; %bb.8804:                             ;   in Loop: Header=BB6_7543 Depth=2
	v_and_b32_e32 v6, 0x7fffffff, v1
	v_mov_b32_e32 v7, v25
	v_and_b32_e32 v8, 0x80, v0
                                        ; implicit-def: $vgpr68
	s_mov_b32 s7, exec_lo
	s_delay_alu instid0(VALU_DEP_2)
	v_cmpx_gt_u64_e32 0x47600001, v[6:7]
	s_xor_b32 s14, exec_lo, s7
	s_cbranch_execz .LBB6_8814
; %bb.8805:                             ;   in Loop: Header=BB6_7543 Depth=2
	v_mov_b32_e32 v68, 0
	s_mov_b32 s41, exec_lo
	v_cmpx_ne_u32_e32 0, v1
	s_cbranch_execz .LBB6_8813
; %bb.8806:                             ;   in Loop: Header=BB6_7543 Depth=2
	v_bfe_u32 v9, v1, 23, 8
	v_or_b32_e32 v6, 0x800000, v24
	s_delay_alu instid0(VALU_DEP_2) | instskip(SKIP_1) | instid1(VALU_DEP_2)
	v_sub_nc_u32_e32 v0, 0x71, v9
	v_cmp_gt_u32_e32 vcc_lo, 0x72, v9
	v_cndmask_b32_e32 v0, 0, v0, vcc_lo
	v_cmp_eq_u32_e32 vcc_lo, 0, v9
	s_delay_alu instid0(VALU_DEP_2) | instskip(SKIP_1) | instid1(VALU_DEP_2)
	v_cndmask_b32_e64 v68, v0, 0x70, vcc_lo
	v_cndmask_b32_e32 v24, v6, v24, vcc_lo
	v_dual_add_nc_u32 v0, 21, v68 :: v_dual_add_nc_u32 v7, 20, v68
	s_delay_alu instid0(VALU_DEP_1) | instskip(NEXT) | instid1(VALU_DEP_2)
	v_lshlrev_b64_e64 v[0:1], v0, -1
	v_lshlrev_b64_e64 v[6:7], v7, 1
	s_delay_alu instid0(VALU_DEP_2) | instskip(NEXT) | instid1(VALU_DEP_3)
	v_bfi_b32 v71, v1, 0, 0
	v_bfi_b32 v70, v0, 0, v24
	v_lshrrev_b64 v[0:1], v68, v[24:25]
	s_delay_alu instid0(VALU_DEP_2) | instskip(NEXT) | instid1(VALU_DEP_2)
	v_cmp_eq_u64_e64 s7, v[70:71], v[6:7]
	v_mov_b64_e32 v[6:7], v[0:1]
	s_and_saveexec_b32 s42, s7
; %bb.8807:                             ;   in Loop: Header=BB6_7543 Depth=2
	v_bfe_u32 v24, v0, 21, 1
	s_delay_alu instid0(VALU_DEP_1) | instskip(NEXT) | instid1(VALU_DEP_1)
	v_add_nc_u64_e32 v[6:7], v[0:1], v[24:25]
	v_add_nc_u64_e32 v[6:7], -1, v[6:7]
; %bb.8808:                             ;   in Loop: Header=BB6_7543 Depth=2
	s_or_b32 exec_lo, exec_lo, s42
	v_add_nc_u32_e32 v1, 0xffffff81, v9
	v_lshrrev_b32_e32 v7, 23, v0
	s_mov_b32 s7, exec_lo
	s_delay_alu instid0(VALU_DEP_2) | instskip(NEXT) | instid1(VALU_DEP_1)
	v_cndmask_b32_e64 v1, v1, 0xffffff82, vcc_lo
	v_add3_u32 v7, v68, v1, v7
	v_and_b32_e32 v1, 0x1fffff, v6
                                        ; implicit-def: $vgpr6
	s_delay_alu instid0(VALU_DEP_1) | instskip(NEXT) | instid1(VALU_DEP_1)
	v_dual_add_nc_u32 v9, 14, v7 :: v_dual_add_nc_u32 v24, v1, v0
                                        ; implicit-def: $vgpr0_vgpr1
	v_cmpx_ne_u32_e32 0, v9
	s_xor_b32 s7, exec_lo, s7
; %bb.8809:                             ;   in Loop: Header=BB6_7543 Depth=2
	s_delay_alu instid0(VALU_DEP_2) | instskip(SKIP_1) | instid1(VALU_DEP_1)
	v_cmp_lt_u64_e32 vcc_lo, 0xffffff, v[24:25]
	v_add_nc_u32_e32 v0, 15, v7
	v_cndmask_b32_e32 v6, v9, v0, vcc_lo
	v_cndmask_b32_e64 v0, 0, 1, vcc_lo
	s_delay_alu instid0(VALU_DEP_1)
	v_lshrrev_b64 v[0:1], v0, v[24:25]
; %bb.8810:                             ;   in Loop: Header=BB6_7543 Depth=2
	s_and_not1_saveexec_b32 s7, s7
; %bb.8811:                             ;   in Loop: Header=BB6_7543 Depth=2
	v_mov_b64_e32 v[0:1], v[24:25]
	v_bfe_u32 v6, v24, 23, 1
; %bb.8812:                             ;   in Loop: Header=BB6_7543 Depth=2
	s_or_b32 exec_lo, exec_lo, s7
	s_delay_alu instid0(VALU_DEP_2) | instskip(NEXT) | instid1(VALU_DEP_2)
	v_lshrrev_b64 v[0:1], 21, v[0:1]
	v_cmp_gt_i32_e32 vcc_lo, 32, v6
	v_min_i32_e32 v7, 31, v6
	v_cmp_eq_u32_e64 s7, 0, v6
	s_delay_alu instid0(VALU_DEP_2) | instskip(SKIP_1) | instid1(VALU_DEP_2)
	v_dual_cndmask_b32 v1, 0, v1, vcc_lo :: v_dual_lshlrev_b32 v7, 2, v7
	v_cndmask_b32_e32 v0, 3, v0, vcc_lo
	v_and_b32_e32 v7, 0xfc, v7
	s_delay_alu instid0(VALU_DEP_2) | instskip(NEXT) | instid1(VALU_DEP_2)
	v_cmp_eq_u64_e32 vcc_lo, 0, v[0:1]
	v_and_or_b32 v0, v0, 3, v7
	s_and_b32 s7, s7, vcc_lo
	s_delay_alu instid0(VALU_DEP_1) | instid1(SALU_CYCLE_1)
	v_cndmask_b32_e64 v0, v0, 0, s7
	s_delay_alu instid0(VALU_DEP_1)
	v_or_b32_e32 v68, v0, v8
.LBB6_8813:                             ;   in Loop: Header=BB6_7543 Depth=2
	s_or_b32 exec_lo, exec_lo, s41
                                        ; implicit-def: $vgpr8
.LBB6_8814:                             ;   in Loop: Header=BB6_7543 Depth=2
	s_and_not1_saveexec_b32 s7, s14
; %bb.8815:                             ;   in Loop: Header=BB6_7543 Depth=2
	v_or_b32_e32 v68, 0x7b, v8
; %bb.8816:                             ;   in Loop: Header=BB6_7543 Depth=2
	s_or_b32 exec_lo, exec_lo, s7
                                        ; implicit-def: $vgpr1
                                        ; implicit-def: $vgpr0
.LBB6_8817:                             ;   in Loop: Header=BB6_7543 Depth=2
	s_and_not1_saveexec_b32 s7, s10
	s_cbranch_execz .LBB6_8823
; %bb.8818:                             ;   in Loop: Header=BB6_7543 Depth=2
	s_mov_b32 s10, exec_lo
                                        ; implicit-def: $vgpr68
	v_cmpx_ne_u64_e32 0, v[24:25]
	s_xor_b32 s10, exec_lo, s10
; %bb.8819:                             ;   in Loop: Header=BB6_7543 Depth=2
	v_or_b32_e32 v68, 0x7f, v0
                                        ; implicit-def: $vgpr1
; %bb.8820:                             ;   in Loop: Header=BB6_7543 Depth=2
	s_and_not1_saveexec_b32 s10, s10
; %bb.8821:                             ;   in Loop: Header=BB6_7543 Depth=2
	v_cmp_lt_i32_e32 vcc_lo, -1, v1
	v_cndmask_b32_e32 v68, 0xfc, v41, vcc_lo
; %bb.8822:                             ;   in Loop: Header=BB6_7543 Depth=2
	s_or_b32 exec_lo, exec_lo, s10
.LBB6_8823:                             ;   in Loop: Header=BB6_7543 Depth=2
	s_delay_alu instid0(SALU_CYCLE_1) | instskip(SKIP_4) | instid1(VALU_DEP_3)
	s_or_b32 exec_lo, exec_lo, s7
	v_and_b32_e32 v6, 0xff, v33
	v_dual_mov_b32 v24, v33 :: v_dual_mov_b32 v0, v27
	v_mov_b32_e32 v1, v25
	s_and_not1_b32 vcc_lo, exec_lo, s13
	v_cmp_ne_u16_e64 s7, 0, v6
	s_mov_b32 s10, -1
                                        ; implicit-def: $vgpr8
	s_cbranch_vccnz .LBB6_8845
; %bb.8824:                             ;   in Loop: Header=BB6_7543 Depth=2
	v_dual_mov_b32 v8, 0 :: v_dual_mov_b32 v7, 0
	s_and_saveexec_b32 s10, s7
	s_cbranch_execz .LBB6_8834
; %bb.8825:                             ;   in Loop: Header=BB6_7543 Depth=2
	v_bfrev_b32_e32 v7, 1
	s_mov_b32 s14, exec_lo
	v_cmpx_ne_u16_e32 0x80, v6
	s_cbranch_execz .LBB6_8833
; %bb.8826:                             ;   in Loop: Header=BB6_7543 Depth=2
	v_and_b32_e32 v7, 0x7c, v33
	v_and_b32_e32 v9, 3, v33
	s_delay_alu instid0(VALU_DEP_2) | instskip(SKIP_1) | instid1(SALU_CYCLE_1)
	v_cmp_ne_u32_e32 vcc_lo, 0x7c, v7
                                        ; implicit-def: $vgpr7
	s_and_saveexec_b32 s41, vcc_lo
	s_xor_b32 s41, exec_lo, s41
	s_cbranch_execz .LBB6_8830
; %bb.8827:                             ;   in Loop: Header=BB6_7543 Depth=2
	v_bfe_u32 v7, v33, 2, 5
	s_mov_b32 s42, exec_lo
	s_delay_alu instid0(VALU_DEP_1)
	v_cmpx_eq_u32_e32 0, v7
; %bb.8828:                             ;   in Loop: Header=BB6_7543 Depth=2
	v_clz_i32_u32_e32 v7, v9
	s_delay_alu instid0(VALU_DEP_1) | instskip(NEXT) | instid1(VALU_DEP_1)
	v_min_u32_e32 v7, 32, v7
	v_subrev_nc_u32_e32 v9, 29, v7
	s_delay_alu instid0(VALU_DEP_1) | instskip(NEXT) | instid1(VALU_DEP_1)
	v_lshlrev_b64_e32 v[70:71], v9, v[24:25]
	v_dual_sub_nc_u32 v7, 30, v7 :: v_dual_bitop2_b32 v9, 3, v70 bitop3:0x40
; %bb.8829:                             ;   in Loop: Header=BB6_7543 Depth=2
	s_or_b32 exec_lo, exec_lo, s42
	v_lshlrev_b32_e32 v69, 24, v33
	s_delay_alu instid0(VALU_DEP_1) | instskip(NEXT) | instid1(VALU_DEP_1)
	v_and_b32_e32 v69, 0x80000000, v69
	v_lshl_add_u32 v7, v7, 23, v69
	s_delay_alu instid0(VALU_DEP_1) | instskip(NEXT) | instid1(VALU_DEP_1)
	v_lshl_or_b32 v7, v9, 21, v7
                                        ; implicit-def: $vgpr9
	v_add_nc_u32_e32 v7, 0x38000000, v7
.LBB6_8830:                             ;   in Loop: Header=BB6_7543 Depth=2
	s_and_not1_saveexec_b32 s41, s41
; %bb.8831:                             ;   in Loop: Header=BB6_7543 Depth=2
	v_bfe_i32 v7, v33, 0, 8
	s_delay_alu instid0(VALU_DEP_1) | instskip(SKIP_2) | instid1(VALU_DEP_2)
	v_cmp_lt_i16_e32 vcc_lo, -1, v7
	v_cndmask_b32_e32 v7, 0xff800000, v75, vcc_lo
	v_cmp_eq_u32_e32 vcc_lo, 0, v9
	v_cndmask_b32_e32 v7, 0x7f800001, v7, vcc_lo
; %bb.8832:                             ;   in Loop: Header=BB6_7543 Depth=2
	s_or_b32 exec_lo, exec_lo, s41
.LBB6_8833:                             ;   in Loop: Header=BB6_7543 Depth=2
	s_delay_alu instid0(SALU_CYCLE_1)
	s_or_b32 exec_lo, exec_lo, s14
.LBB6_8834:                             ;   in Loop: Header=BB6_7543 Depth=2
	s_delay_alu instid0(SALU_CYCLE_1) | instskip(SKIP_2) | instid1(VALU_DEP_1)
	s_or_b32 exec_lo, exec_lo, s10
	v_and_b32_e32 v9, 0xff, v27
	s_mov_b32 s10, exec_lo
	v_cmpx_ne_u16_e32 0, v9
	s_cbranch_execz .LBB6_8844
; %bb.8835:                             ;   in Loop: Header=BB6_7543 Depth=2
	v_bfrev_b32_e32 v8, 1
	s_mov_b32 s14, exec_lo
	v_cmpx_ne_u16_e32 0x80, v9
	s_cbranch_execz .LBB6_8843
; %bb.8836:                             ;   in Loop: Header=BB6_7543 Depth=2
	v_and_b32_e32 v8, 0x7c, v27
	v_and_b32_e32 v9, 3, v27
	s_delay_alu instid0(VALU_DEP_2) | instskip(SKIP_1) | instid1(SALU_CYCLE_1)
	v_cmp_ne_u32_e32 vcc_lo, 0x7c, v8
                                        ; implicit-def: $vgpr8
	s_and_saveexec_b32 s41, vcc_lo
	s_xor_b32 s41, exec_lo, s41
	s_cbranch_execz .LBB6_8840
; %bb.8837:                             ;   in Loop: Header=BB6_7543 Depth=2
	v_bfe_u32 v8, v27, 2, 5
	s_mov_b32 s42, exec_lo
	s_delay_alu instid0(VALU_DEP_1)
	v_cmpx_eq_u32_e32 0, v8
; %bb.8838:                             ;   in Loop: Header=BB6_7543 Depth=2
	v_clz_i32_u32_e32 v8, v9
	s_delay_alu instid0(VALU_DEP_1) | instskip(NEXT) | instid1(VALU_DEP_1)
	v_min_u32_e32 v8, 32, v8
	v_subrev_nc_u32_e32 v9, 29, v8
	s_delay_alu instid0(VALU_DEP_1) | instskip(NEXT) | instid1(VALU_DEP_1)
	v_lshlrev_b64_e32 v[70:71], v9, v[0:1]
	v_dual_sub_nc_u32 v8, 30, v8 :: v_dual_bitop2_b32 v9, 3, v70 bitop3:0x40
; %bb.8839:                             ;   in Loop: Header=BB6_7543 Depth=2
	s_or_b32 exec_lo, exec_lo, s42
	v_lshlrev_b32_e32 v69, 24, v27
	s_delay_alu instid0(VALU_DEP_1) | instskip(NEXT) | instid1(VALU_DEP_1)
	v_and_b32_e32 v69, 0x80000000, v69
	v_lshl_add_u32 v8, v8, 23, v69
	s_delay_alu instid0(VALU_DEP_1) | instskip(NEXT) | instid1(VALU_DEP_1)
	v_lshl_or_b32 v8, v9, 21, v8
                                        ; implicit-def: $vgpr9
	v_add_nc_u32_e32 v8, 0x38000000, v8
.LBB6_8840:                             ;   in Loop: Header=BB6_7543 Depth=2
	s_and_not1_saveexec_b32 s41, s41
; %bb.8841:                             ;   in Loop: Header=BB6_7543 Depth=2
	v_bfe_i32 v8, v27, 0, 8
	s_delay_alu instid0(VALU_DEP_1) | instskip(SKIP_2) | instid1(VALU_DEP_2)
	v_cmp_lt_i16_e32 vcc_lo, -1, v8
	v_cndmask_b32_e32 v8, 0xff800000, v75, vcc_lo
	v_cmp_eq_u32_e32 vcc_lo, 0, v9
	v_cndmask_b32_e32 v8, 0x7f800001, v8, vcc_lo
; %bb.8842:                             ;   in Loop: Header=BB6_7543 Depth=2
	s_or_b32 exec_lo, exec_lo, s41
.LBB6_8843:                             ;   in Loop: Header=BB6_7543 Depth=2
	s_delay_alu instid0(SALU_CYCLE_1)
	s_or_b32 exec_lo, exec_lo, s14
.LBB6_8844:                             ;   in Loop: Header=BB6_7543 Depth=2
	s_delay_alu instid0(SALU_CYCLE_1) | instskip(NEXT) | instid1(VALU_DEP_1)
	s_or_b32 exec_lo, exec_lo, s10
	v_dual_max_num_f32 v8, v8, v8 :: v_dual_max_num_f32 v7, v7, v7
	s_mov_b32 s10, 0
	s_delay_alu instid0(VALU_DEP_1)
	v_max_num_f32_e32 v8, v7, v8
.LBB6_8845:                             ;   in Loop: Header=BB6_7543 Depth=2
	s_and_b32 vcc_lo, exec_lo, s10
	s_cbranch_vccz .LBB6_8867
; %bb.8846:                             ;   in Loop: Header=BB6_7543 Depth=2
	v_dual_mov_b32 v8, 0 :: v_dual_mov_b32 v7, 0
	s_and_saveexec_b32 s10, s7
	s_cbranch_execz .LBB6_8856
; %bb.8847:                             ;   in Loop: Header=BB6_7543 Depth=2
	v_bfrev_b32_e32 v7, 1
	s_mov_b32 s7, exec_lo
	v_cmpx_ne_u16_e32 0x80, v6
	s_cbranch_execz .LBB6_8855
; %bb.8848:                             ;   in Loop: Header=BB6_7543 Depth=2
	v_and_b32_e32 v7, 0x7c, v33
	v_and_b32_e32 v6, 3, v33
	s_delay_alu instid0(VALU_DEP_2) | instskip(SKIP_1) | instid1(SALU_CYCLE_1)
	v_cmp_ne_u32_e32 vcc_lo, 0x7c, v7
                                        ; implicit-def: $vgpr7
	s_and_saveexec_b32 s14, vcc_lo
	s_xor_b32 s14, exec_lo, s14
	s_cbranch_execz .LBB6_8852
; %bb.8849:                             ;   in Loop: Header=BB6_7543 Depth=2
	v_bfe_u32 v7, v33, 2, 5
	s_mov_b32 s41, exec_lo
	s_delay_alu instid0(VALU_DEP_1)
	v_cmpx_eq_u32_e32 0, v7
; %bb.8850:                             ;   in Loop: Header=BB6_7543 Depth=2
	v_clz_i32_u32_e32 v6, v6
	s_delay_alu instid0(VALU_DEP_1) | instskip(NEXT) | instid1(VALU_DEP_1)
	v_min_u32_e32 v9, 32, v6
	v_subrev_nc_u32_e32 v6, 29, v9
	s_delay_alu instid0(VALU_DEP_1) | instskip(NEXT) | instid1(VALU_DEP_1)
	v_lshlrev_b64_e32 v[6:7], v6, v[24:25]
	v_dual_sub_nc_u32 v7, 30, v9 :: v_dual_bitop2_b32 v6, 3, v6 bitop3:0x40
; %bb.8851:                             ;   in Loop: Header=BB6_7543 Depth=2
	s_or_b32 exec_lo, exec_lo, s41
	v_lshlrev_b32_e32 v9, 24, v33
	s_delay_alu instid0(VALU_DEP_1) | instskip(NEXT) | instid1(VALU_DEP_1)
	v_and_b32_e32 v9, 0x80000000, v9
	v_lshl_add_u32 v7, v7, 23, v9
	s_delay_alu instid0(VALU_DEP_1) | instskip(NEXT) | instid1(VALU_DEP_1)
	v_lshl_or_b32 v6, v6, 21, v7
	v_add_nc_u32_e32 v7, 0x38000000, v6
                                        ; implicit-def: $vgpr6
.LBB6_8852:                             ;   in Loop: Header=BB6_7543 Depth=2
	s_and_not1_saveexec_b32 s14, s14
; %bb.8853:                             ;   in Loop: Header=BB6_7543 Depth=2
	v_bfe_i32 v7, v33, 0, 8
	s_delay_alu instid0(VALU_DEP_1) | instskip(SKIP_2) | instid1(VALU_DEP_2)
	v_cmp_lt_i16_e32 vcc_lo, -1, v7
	v_cndmask_b32_e32 v7, 0xff800000, v75, vcc_lo
	v_cmp_eq_u32_e32 vcc_lo, 0, v6
	v_cndmask_b32_e32 v7, 0x7f800001, v7, vcc_lo
; %bb.8854:                             ;   in Loop: Header=BB6_7543 Depth=2
	s_or_b32 exec_lo, exec_lo, s14
.LBB6_8855:                             ;   in Loop: Header=BB6_7543 Depth=2
	s_delay_alu instid0(SALU_CYCLE_1)
	s_or_b32 exec_lo, exec_lo, s7
.LBB6_8856:                             ;   in Loop: Header=BB6_7543 Depth=2
	s_delay_alu instid0(SALU_CYCLE_1) | instskip(SKIP_2) | instid1(VALU_DEP_1)
	s_or_b32 exec_lo, exec_lo, s10
	v_and_b32_e32 v6, 0xff, v27
	s_mov_b32 s7, exec_lo
	v_cmpx_ne_u16_e32 0, v6
	s_cbranch_execz .LBB6_8866
; %bb.8857:                             ;   in Loop: Header=BB6_7543 Depth=2
	v_bfrev_b32_e32 v8, 1
	s_mov_b32 s10, exec_lo
	v_cmpx_ne_u16_e32 0x80, v6
	s_cbranch_execz .LBB6_8865
; %bb.8858:                             ;   in Loop: Header=BB6_7543 Depth=2
	v_and_b32_e32 v8, 0x7c, v27
	v_and_b32_e32 v6, 3, v27
	s_delay_alu instid0(VALU_DEP_2) | instskip(SKIP_1) | instid1(SALU_CYCLE_1)
	v_cmp_ne_u32_e32 vcc_lo, 0x7c, v8
                                        ; implicit-def: $vgpr8
	s_and_saveexec_b32 s14, vcc_lo
	s_xor_b32 s14, exec_lo, s14
	s_cbranch_execz .LBB6_8862
; %bb.8859:                             ;   in Loop: Header=BB6_7543 Depth=2
	v_bfe_u32 v8, v27, 2, 5
	s_mov_b32 s41, exec_lo
	s_delay_alu instid0(VALU_DEP_1)
	v_cmpx_eq_u32_e32 0, v8
; %bb.8860:                             ;   in Loop: Header=BB6_7543 Depth=2
	v_clz_i32_u32_e32 v6, v6
	s_delay_alu instid0(VALU_DEP_1) | instskip(NEXT) | instid1(VALU_DEP_1)
	v_min_u32_e32 v6, 32, v6
	v_subrev_nc_u32_e32 v8, 29, v6
	s_delay_alu instid0(VALU_DEP_1) | instskip(SKIP_1) | instid1(VALU_DEP_2)
	v_lshlrev_b64_e32 v[70:71], v8, v[0:1]
	v_sub_nc_u32_e32 v8, 30, v6
	v_and_b32_e32 v6, 3, v70
; %bb.8861:                             ;   in Loop: Header=BB6_7543 Depth=2
	s_or_b32 exec_lo, exec_lo, s41
	v_lshlrev_b32_e32 v1, 24, v27
	s_delay_alu instid0(VALU_DEP_1) | instskip(NEXT) | instid1(VALU_DEP_1)
	v_and_b32_e32 v1, 0x80000000, v1
	v_lshl_add_u32 v1, v8, 23, v1
	s_delay_alu instid0(VALU_DEP_1) | instskip(NEXT) | instid1(VALU_DEP_1)
	v_lshl_or_b32 v1, v6, 21, v1
                                        ; implicit-def: $vgpr6
	v_add_nc_u32_e32 v8, 0x38000000, v1
.LBB6_8862:                             ;   in Loop: Header=BB6_7543 Depth=2
	s_and_not1_saveexec_b32 s14, s14
; %bb.8863:                             ;   in Loop: Header=BB6_7543 Depth=2
	v_bfe_i32 v1, v27, 0, 8
	s_delay_alu instid0(VALU_DEP_1) | instskip(SKIP_2) | instid1(VALU_DEP_2)
	v_cmp_lt_i16_e32 vcc_lo, -1, v1
	v_cndmask_b32_e32 v1, 0xff800000, v75, vcc_lo
	v_cmp_eq_u32_e32 vcc_lo, 0, v6
	v_cndmask_b32_e32 v8, 0x7f800001, v1, vcc_lo
; %bb.8864:                             ;   in Loop: Header=BB6_7543 Depth=2
	s_or_b32 exec_lo, exec_lo, s14
.LBB6_8865:                             ;   in Loop: Header=BB6_7543 Depth=2
	s_delay_alu instid0(SALU_CYCLE_1)
	s_or_b32 exec_lo, exec_lo, s10
.LBB6_8866:                             ;   in Loop: Header=BB6_7543 Depth=2
	s_delay_alu instid0(SALU_CYCLE_1) | instskip(NEXT) | instid1(VALU_DEP_1)
	s_or_b32 exec_lo, exec_lo, s7
	v_dual_max_num_f32 v1, v8, v8 :: v_dual_max_num_f32 v6, v7, v7
	s_delay_alu instid0(VALU_DEP_1)
	v_min_num_f32_e32 v8, v6, v1
.LBB6_8867:                             ;   in Loop: Header=BB6_7543 Depth=2
	s_delay_alu instid0(VALU_DEP_1) | instskip(SKIP_4) | instid1(VALU_DEP_3)
	v_and_b32_e32 v70, 0x7f800000, v8
	v_dual_mov_b32 v71, v25 :: v_dual_mov_b32 v7, v25
	v_and_b32_e32 v6, 0x7fffff, v8
	v_lshrrev_b32_e32 v1, 24, v8
                                        ; implicit-def: $vgpr69
	s_mov_b32 s7, exec_lo
	v_cmpx_ne_u64_e32 0x7f800000, v[70:71]
	s_xor_b32 s10, exec_lo, s7
	s_cbranch_execz .LBB6_8881
; %bb.8868:                             ;   in Loop: Header=BB6_7543 Depth=2
	v_and_b32_e32 v70, 0x7fffffff, v8
	v_mov_b32_e32 v71, v25
	v_and_b32_e32 v1, 0x80, v1
                                        ; implicit-def: $vgpr69
	s_mov_b32 s7, exec_lo
	s_delay_alu instid0(VALU_DEP_2)
	v_cmpx_gt_u64_e32 0x47600001, v[70:71]
	s_xor_b32 s14, exec_lo, s7
	s_cbranch_execz .LBB6_8878
; %bb.8869:                             ;   in Loop: Header=BB6_7543 Depth=2
	v_mov_b32_e32 v69, 0
	s_mov_b32 s41, exec_lo
	v_cmpx_ne_u32_e32 0, v8
	s_cbranch_execz .LBB6_8877
; %bb.8870:                             ;   in Loop: Header=BB6_7543 Depth=2
	v_bfe_u32 v69, v8, 23, 8
	v_or_b32_e32 v71, 0x800000, v6
	s_delay_alu instid0(VALU_DEP_2) | instskip(SKIP_1) | instid1(VALU_DEP_2)
	v_sub_nc_u32_e32 v8, 0x71, v69
	v_cmp_gt_u32_e32 vcc_lo, 0x72, v69
	v_cndmask_b32_e32 v8, 0, v8, vcc_lo
	v_cmp_eq_u32_e32 vcc_lo, 0, v69
	s_delay_alu instid0(VALU_DEP_2) | instskip(SKIP_1) | instid1(VALU_DEP_2)
	v_cndmask_b32_e64 v70, v8, 0x70, vcc_lo
	v_cndmask_b32_e32 v6, v71, v6, vcc_lo
	v_dual_add_nc_u32 v8, 21, v70 :: v_dual_add_nc_u32 v80, 20, v70
	s_delay_alu instid0(VALU_DEP_1) | instskip(NEXT) | instid1(VALU_DEP_2)
	v_lshlrev_b64_e64 v[8:9], v8, -1
	v_lshlrev_b64_e64 v[80:81], v80, 1
	s_delay_alu instid0(VALU_DEP_2) | instskip(SKIP_1) | instid1(VALU_DEP_4)
	v_bfi_b32 v8, v8, 0, v6
	v_lshrrev_b64 v[6:7], v70, v[6:7]
	v_bfi_b32 v9, v9, 0, 0
	s_delay_alu instid0(VALU_DEP_1) | instskip(NEXT) | instid1(VALU_DEP_3)
	v_cmp_eq_u64_e64 s7, v[8:9], v[80:81]
	v_mov_b64_e32 v[8:9], v[6:7]
	s_and_saveexec_b32 s42, s7
; %bb.8871:                             ;   in Loop: Header=BB6_7543 Depth=2
	v_bfe_u32 v8, v6, 21, 1
	v_mov_b32_e32 v9, v25
	s_delay_alu instid0(VALU_DEP_1) | instskip(NEXT) | instid1(VALU_DEP_1)
	v_add_nc_u64_e32 v[8:9], v[6:7], v[8:9]
	v_add_nc_u64_e32 v[8:9], -1, v[8:9]
; %bb.8872:                             ;   in Loop: Header=BB6_7543 Depth=2
	s_or_b32 exec_lo, exec_lo, s42
	v_add_nc_u32_e32 v7, 0xffffff81, v69
	v_lshrrev_b32_e32 v9, 23, v6
	s_mov_b32 s7, exec_lo
	s_delay_alu instid0(VALU_DEP_2) | instskip(NEXT) | instid1(VALU_DEP_1)
	v_cndmask_b32_e64 v7, v7, 0xffffff82, vcc_lo
	v_add3_u32 v9, v70, v7, v9
	v_and_b32_e32 v7, 0x1fffff, v8
                                        ; implicit-def: $vgpr8
	s_delay_alu instid0(VALU_DEP_1) | instskip(SKIP_1) | instid1(VALU_DEP_2)
	v_dual_add_nc_u32 v69, 14, v9 :: v_dual_add_nc_u32 v6, v7, v6
	v_mov_b32_e32 v7, v25
	v_cmpx_ne_u32_e32 0, v69
	s_xor_b32 s7, exec_lo, s7
; %bb.8873:                             ;   in Loop: Header=BB6_7543 Depth=2
	s_delay_alu instid0(VALU_DEP_2) | instskip(SKIP_2) | instid1(VALU_DEP_2)
	v_cmp_lt_u64_e32 vcc_lo, 0xffffff, v[6:7]
	v_add_nc_u32_e32 v8, 15, v9
	v_cndmask_b32_e64 v9, 0, 1, vcc_lo
	v_cndmask_b32_e32 v8, v69, v8, vcc_lo
	s_delay_alu instid0(VALU_DEP_2)
	v_lshrrev_b64 v[6:7], v9, v[6:7]
; %bb.8874:                             ;   in Loop: Header=BB6_7543 Depth=2
	s_and_not1_saveexec_b32 s7, s7
; %bb.8875:                             ;   in Loop: Header=BB6_7543 Depth=2
	s_delay_alu instid0(VALU_DEP_1)
	v_bfe_u32 v8, v6, 23, 1
; %bb.8876:                             ;   in Loop: Header=BB6_7543 Depth=2
	s_or_b32 exec_lo, exec_lo, s7
	s_delay_alu instid0(VALU_DEP_2) | instskip(NEXT) | instid1(VALU_DEP_2)
	v_lshrrev_b64 v[6:7], 21, v[6:7]
	v_cmp_gt_i32_e32 vcc_lo, 32, v8
	v_min_i32_e32 v9, 31, v8
	v_cmp_eq_u32_e64 s7, 0, v8
	s_delay_alu instid0(VALU_DEP_2) | instskip(SKIP_1) | instid1(VALU_DEP_2)
	v_dual_cndmask_b32 v7, 0, v7, vcc_lo :: v_dual_lshlrev_b32 v9, 2, v9
	v_cndmask_b32_e32 v6, 3, v6, vcc_lo
	v_and_b32_e32 v9, 0xfc, v9
	s_delay_alu instid0(VALU_DEP_2) | instskip(NEXT) | instid1(VALU_DEP_2)
	v_cmp_eq_u64_e32 vcc_lo, 0, v[6:7]
	v_and_or_b32 v6, v6, 3, v9
	s_and_b32 s7, s7, vcc_lo
	s_delay_alu instid0(VALU_DEP_1) | instid1(SALU_CYCLE_1)
	v_cndmask_b32_e64 v6, v6, 0, s7
	s_delay_alu instid0(VALU_DEP_1)
	v_or_b32_e32 v69, v6, v1
.LBB6_8877:                             ;   in Loop: Header=BB6_7543 Depth=2
	s_or_b32 exec_lo, exec_lo, s41
                                        ; implicit-def: $vgpr1
.LBB6_8878:                             ;   in Loop: Header=BB6_7543 Depth=2
	s_and_not1_saveexec_b32 s7, s14
; %bb.8879:                             ;   in Loop: Header=BB6_7543 Depth=2
	v_or_b32_e32 v69, 0x7b, v1
; %bb.8880:                             ;   in Loop: Header=BB6_7543 Depth=2
	s_or_b32 exec_lo, exec_lo, s7
                                        ; implicit-def: $vgpr8
                                        ; implicit-def: $vgpr6_vgpr7
                                        ; implicit-def: $vgpr1
.LBB6_8881:                             ;   in Loop: Header=BB6_7543 Depth=2
	s_and_not1_saveexec_b32 s7, s10
	s_cbranch_execz .LBB6_8887
; %bb.8882:                             ;   in Loop: Header=BB6_7543 Depth=2
	s_mov_b32 s10, exec_lo
                                        ; implicit-def: $vgpr69
	v_cmpx_ne_u64_e32 0, v[6:7]
	s_xor_b32 s10, exec_lo, s10
; %bb.8883:                             ;   in Loop: Header=BB6_7543 Depth=2
	v_or_b32_e32 v69, 0x7f, v1
                                        ; implicit-def: $vgpr8
; %bb.8884:                             ;   in Loop: Header=BB6_7543 Depth=2
	s_and_not1_saveexec_b32 s10, s10
; %bb.8885:                             ;   in Loop: Header=BB6_7543 Depth=2
	v_cmp_lt_i32_e32 vcc_lo, -1, v8
	v_cndmask_b32_e32 v69, 0xfc, v41, vcc_lo
; %bb.8886:                             ;   in Loop: Header=BB6_7543 Depth=2
	s_or_b32 exec_lo, exec_lo, s10
.LBB6_8887:                             ;   in Loop: Header=BB6_7543 Depth=2
	s_delay_alu instid0(SALU_CYCLE_1) | instskip(SKIP_4) | instid1(VALU_DEP_2)
	s_or_b32 exec_lo, exec_lo, s7
	v_lshrrev_b16 v8, 8, v24
	v_lshrrev_b16 v6, 8, v0
	s_and_not1_b32 vcc_lo, exec_lo, s13
	s_mov_b32 s10, -1
                                        ; implicit-def: $vgpr7
	v_and_b32_e32 v1, 0xffff, v8
	v_cmp_ne_u16_e64 s7, 0, v8
	s_cbranch_vccnz .LBB6_8909
; %bb.8888:                             ;   in Loop: Header=BB6_7543 Depth=2
	v_dual_mov_b32 v7, 0 :: v_dual_mov_b32 v9, 0
	s_and_saveexec_b32 s10, s7
	s_cbranch_execz .LBB6_8898
; %bb.8889:                             ;   in Loop: Header=BB6_7543 Depth=2
	v_bfrev_b32_e32 v9, 1
	s_mov_b32 s14, exec_lo
	v_cmpx_ne_u16_e32 0x80, v8
	s_cbranch_execz .LBB6_8897
; %bb.8890:                             ;   in Loop: Header=BB6_7543 Depth=2
	v_and_b32_e32 v9, 0x7c, v1
	v_and_b32_e32 v70, 3, v1
	s_delay_alu instid0(VALU_DEP_2) | instskip(SKIP_1) | instid1(SALU_CYCLE_1)
	v_cmp_ne_u32_e32 vcc_lo, 0x7c, v9
                                        ; implicit-def: $vgpr9
	s_and_saveexec_b32 s41, vcc_lo
	s_xor_b32 s41, exec_lo, s41
	s_cbranch_execz .LBB6_8894
; %bb.8891:                             ;   in Loop: Header=BB6_7543 Depth=2
	v_bfe_u32 v9, v1, 2, 5
	s_mov_b32 s42, exec_lo
	s_delay_alu instid0(VALU_DEP_1)
	v_cmpx_eq_u32_e32 0, v9
; %bb.8892:                             ;   in Loop: Header=BB6_7543 Depth=2
	v_clz_i32_u32_e32 v9, v70
	s_delay_alu instid0(VALU_DEP_1) | instskip(SKIP_1) | instid1(VALU_DEP_2)
	v_min_u32_e32 v80, 32, v9
	v_mov_b32_e32 v9, v25
	v_subrev_nc_u32_e32 v70, 29, v80
	s_delay_alu instid0(VALU_DEP_1) | instskip(NEXT) | instid1(VALU_DEP_1)
	v_lshlrev_b64_e32 v[70:71], v70, v[8:9]
	v_dual_sub_nc_u32 v9, 30, v80 :: v_dual_bitop2_b32 v70, 3, v70 bitop3:0x40
; %bb.8893:                             ;   in Loop: Header=BB6_7543 Depth=2
	s_or_b32 exec_lo, exec_lo, s42
	v_lshlrev_b32_e32 v71, 16, v24
	s_delay_alu instid0(VALU_DEP_1) | instskip(NEXT) | instid1(VALU_DEP_1)
	v_and_b32_e32 v71, 0x80000000, v71
	v_lshl_add_u32 v9, v9, 23, v71
	s_delay_alu instid0(VALU_DEP_1) | instskip(NEXT) | instid1(VALU_DEP_1)
	v_lshl_or_b32 v9, v70, 21, v9
                                        ; implicit-def: $vgpr70
	v_add_nc_u32_e32 v9, 0x38000000, v9
.LBB6_8894:                             ;   in Loop: Header=BB6_7543 Depth=2
	s_and_not1_saveexec_b32 s41, s41
; %bb.8895:                             ;   in Loop: Header=BB6_7543 Depth=2
	v_cmp_lt_i16_e32 vcc_lo, -1, v24
	v_cndmask_b32_e32 v9, 0xff800000, v75, vcc_lo
	v_cmp_eq_u32_e32 vcc_lo, 0, v70
	s_delay_alu instid0(VALU_DEP_2)
	v_cndmask_b32_e32 v9, 0x7f800001, v9, vcc_lo
; %bb.8896:                             ;   in Loop: Header=BB6_7543 Depth=2
	s_or_b32 exec_lo, exec_lo, s41
.LBB6_8897:                             ;   in Loop: Header=BB6_7543 Depth=2
	s_delay_alu instid0(SALU_CYCLE_1)
	s_or_b32 exec_lo, exec_lo, s14
.LBB6_8898:                             ;   in Loop: Header=BB6_7543 Depth=2
	s_delay_alu instid0(SALU_CYCLE_1) | instskip(NEXT) | instid1(SALU_CYCLE_1)
	s_or_b32 exec_lo, exec_lo, s10
	s_mov_b32 s10, exec_lo
	v_cmpx_ne_u16_e32 0, v6
	s_cbranch_execz .LBB6_8908
; %bb.8899:                             ;   in Loop: Header=BB6_7543 Depth=2
	v_bfrev_b32_e32 v7, 1
	s_mov_b32 s14, exec_lo
	v_cmpx_ne_u16_e32 0x80, v6
	s_cbranch_execz .LBB6_8907
; %bb.8900:                             ;   in Loop: Header=BB6_7543 Depth=2
	v_and_b32_e32 v71, 0xffff, v6
	s_delay_alu instid0(VALU_DEP_1) | instskip(SKIP_1) | instid1(VALU_DEP_2)
	v_and_b32_e32 v7, 0x7c, v71
	v_and_b32_e32 v70, 3, v71
	v_cmp_ne_u32_e32 vcc_lo, 0x7c, v7
                                        ; implicit-def: $vgpr7
	s_and_saveexec_b32 s41, vcc_lo
	s_delay_alu instid0(SALU_CYCLE_1)
	s_xor_b32 s41, exec_lo, s41
	s_cbranch_execz .LBB6_8904
; %bb.8901:                             ;   in Loop: Header=BB6_7543 Depth=2
	v_bfe_u32 v7, v71, 2, 5
	s_mov_b32 s42, exec_lo
	s_delay_alu instid0(VALU_DEP_1)
	v_cmpx_eq_u32_e32 0, v7
; %bb.8902:                             ;   in Loop: Header=BB6_7543 Depth=2
	v_clz_i32_u32_e32 v7, v70
	s_delay_alu instid0(VALU_DEP_1) | instskip(SKIP_1) | instid1(VALU_DEP_2)
	v_min_u32_e32 v80, 32, v7
	v_mov_b32_e32 v7, v25
	v_subrev_nc_u32_e32 v70, 29, v80
	s_delay_alu instid0(VALU_DEP_1) | instskip(NEXT) | instid1(VALU_DEP_1)
	v_lshlrev_b64_e32 v[70:71], v70, v[6:7]
	v_dual_sub_nc_u32 v7, 30, v80 :: v_dual_bitop2_b32 v70, 3, v70 bitop3:0x40
; %bb.8903:                             ;   in Loop: Header=BB6_7543 Depth=2
	s_or_b32 exec_lo, exec_lo, s42
	v_lshlrev_b32_e32 v71, 16, v0
	s_delay_alu instid0(VALU_DEP_1) | instskip(NEXT) | instid1(VALU_DEP_1)
	v_and_b32_e32 v71, 0x80000000, v71
	v_lshl_add_u32 v7, v7, 23, v71
	s_delay_alu instid0(VALU_DEP_1) | instskip(NEXT) | instid1(VALU_DEP_1)
	v_lshl_or_b32 v7, v70, 21, v7
                                        ; implicit-def: $vgpr70
	v_add_nc_u32_e32 v7, 0x38000000, v7
.LBB6_8904:                             ;   in Loop: Header=BB6_7543 Depth=2
	s_and_not1_saveexec_b32 s41, s41
; %bb.8905:                             ;   in Loop: Header=BB6_7543 Depth=2
	v_cmp_lt_i16_e32 vcc_lo, -1, v0
	v_cndmask_b32_e32 v7, 0xff800000, v75, vcc_lo
	v_cmp_eq_u32_e32 vcc_lo, 0, v70
	s_delay_alu instid0(VALU_DEP_2)
	v_cndmask_b32_e32 v7, 0x7f800001, v7, vcc_lo
; %bb.8906:                             ;   in Loop: Header=BB6_7543 Depth=2
	s_or_b32 exec_lo, exec_lo, s41
.LBB6_8907:                             ;   in Loop: Header=BB6_7543 Depth=2
	s_delay_alu instid0(SALU_CYCLE_1)
	s_or_b32 exec_lo, exec_lo, s14
.LBB6_8908:                             ;   in Loop: Header=BB6_7543 Depth=2
	s_delay_alu instid0(SALU_CYCLE_1) | instskip(NEXT) | instid1(VALU_DEP_1)
	s_or_b32 exec_lo, exec_lo, s10
	v_dual_max_num_f32 v7, v7, v7 :: v_dual_max_num_f32 v9, v9, v9
	s_mov_b32 s10, 0
	s_delay_alu instid0(VALU_DEP_1)
	v_max_num_f32_e32 v7, v9, v7
.LBB6_8909:                             ;   in Loop: Header=BB6_7543 Depth=2
	s_and_b32 vcc_lo, exec_lo, s10
	s_cbranch_vccz .LBB6_8931
; %bb.8910:                             ;   in Loop: Header=BB6_7543 Depth=2
	v_dual_mov_b32 v7, 0 :: v_dual_mov_b32 v9, 0
	s_and_saveexec_b32 s10, s7
	s_cbranch_execz .LBB6_8920
; %bb.8911:                             ;   in Loop: Header=BB6_7543 Depth=2
	v_bfrev_b32_e32 v9, 1
	s_mov_b32 s7, exec_lo
	v_cmpx_ne_u16_e32 0x80, v8
	s_cbranch_execz .LBB6_8919
; %bb.8912:                             ;   in Loop: Header=BB6_7543 Depth=2
	v_and_b32_e32 v9, 0x7c, v1
	v_and_b32_e32 v70, 3, v1
	s_delay_alu instid0(VALU_DEP_2) | instskip(SKIP_1) | instid1(SALU_CYCLE_1)
	v_cmp_ne_u32_e32 vcc_lo, 0x7c, v9
                                        ; implicit-def: $vgpr9
	s_and_saveexec_b32 s14, vcc_lo
	s_xor_b32 s14, exec_lo, s14
	s_cbranch_execz .LBB6_8916
; %bb.8913:                             ;   in Loop: Header=BB6_7543 Depth=2
	v_bfe_u32 v1, v1, 2, 5
	s_mov_b32 s41, exec_lo
	s_delay_alu instid0(VALU_DEP_1)
	v_cmpx_eq_u32_e32 0, v1
	s_cbranch_execz .LBB6_8915
; %bb.8914:                             ;   in Loop: Header=BB6_7543 Depth=2
	v_clz_i32_u32_e32 v1, v70
	s_delay_alu instid0(VALU_DEP_1) | instskip(SKIP_1) | instid1(VALU_DEP_2)
	v_min_u32_e32 v1, 32, v1
	v_mov_b32_e32 v9, v25
	v_subrev_nc_u32_e32 v70, 29, v1
	v_sub_nc_u32_e32 v1, 30, v1
	s_delay_alu instid0(VALU_DEP_2) | instskip(NEXT) | instid1(VALU_DEP_1)
	v_lshlrev_b64_e32 v[8:9], v70, v[8:9]
	v_and_b32_e32 v70, 3, v8
.LBB6_8915:                             ;   in Loop: Header=BB6_7543 Depth=2
	s_or_b32 exec_lo, exec_lo, s41
	v_lshlrev_b32_e32 v8, 16, v24
	s_delay_alu instid0(VALU_DEP_1) | instskip(NEXT) | instid1(VALU_DEP_1)
	v_and_b32_e32 v8, 0x80000000, v8
	v_lshl_add_u32 v1, v1, 23, v8
	s_delay_alu instid0(VALU_DEP_1) | instskip(NEXT) | instid1(VALU_DEP_1)
	v_lshl_or_b32 v1, v70, 21, v1
                                        ; implicit-def: $vgpr70
	v_add_nc_u32_e32 v9, 0x38000000, v1
.LBB6_8916:                             ;   in Loop: Header=BB6_7543 Depth=2
	s_and_not1_saveexec_b32 s14, s14
; %bb.8917:                             ;   in Loop: Header=BB6_7543 Depth=2
	v_cmp_lt_i16_e32 vcc_lo, -1, v24
	v_cndmask_b32_e32 v1, 0xff800000, v75, vcc_lo
	v_cmp_eq_u32_e32 vcc_lo, 0, v70
	s_delay_alu instid0(VALU_DEP_2)
	v_cndmask_b32_e32 v9, 0x7f800001, v1, vcc_lo
; %bb.8918:                             ;   in Loop: Header=BB6_7543 Depth=2
	s_or_b32 exec_lo, exec_lo, s14
.LBB6_8919:                             ;   in Loop: Header=BB6_7543 Depth=2
	s_delay_alu instid0(SALU_CYCLE_1)
	s_or_b32 exec_lo, exec_lo, s7
.LBB6_8920:                             ;   in Loop: Header=BB6_7543 Depth=2
	s_delay_alu instid0(SALU_CYCLE_1) | instskip(NEXT) | instid1(SALU_CYCLE_1)
	s_or_b32 exec_lo, exec_lo, s10
	s_mov_b32 s7, exec_lo
	v_cmpx_ne_u16_e32 0, v6
	s_cbranch_execz .LBB6_8930
; %bb.8921:                             ;   in Loop: Header=BB6_7543 Depth=2
	v_bfrev_b32_e32 v7, 1
	s_mov_b32 s10, exec_lo
	v_cmpx_ne_u16_e32 0x80, v6
	s_cbranch_execz .LBB6_8929
; %bb.8922:                             ;   in Loop: Header=BB6_7543 Depth=2
	v_and_b32_e32 v1, 0xffff, v6
	s_delay_alu instid0(VALU_DEP_1) | instskip(SKIP_1) | instid1(VALU_DEP_2)
	v_and_b32_e32 v7, 0x7c, v1
	v_and_b32_e32 v8, 3, v1
	v_cmp_ne_u32_e32 vcc_lo, 0x7c, v7
                                        ; implicit-def: $vgpr7
	s_and_saveexec_b32 s14, vcc_lo
	s_delay_alu instid0(SALU_CYCLE_1)
	s_xor_b32 s14, exec_lo, s14
	s_cbranch_execz .LBB6_8926
; %bb.8923:                             ;   in Loop: Header=BB6_7543 Depth=2
	v_bfe_u32 v1, v1, 2, 5
	s_mov_b32 s41, exec_lo
	s_delay_alu instid0(VALU_DEP_1)
	v_cmpx_eq_u32_e32 0, v1
	s_cbranch_execz .LBB6_8925
; %bb.8924:                             ;   in Loop: Header=BB6_7543 Depth=2
	v_clz_i32_u32_e32 v1, v8
	s_delay_alu instid0(VALU_DEP_1) | instskip(SKIP_1) | instid1(VALU_DEP_2)
	v_min_u32_e32 v1, 32, v1
	v_mov_b32_e32 v7, v25
	v_subrev_nc_u32_e32 v8, 29, v1
	v_sub_nc_u32_e32 v1, 30, v1
	s_delay_alu instid0(VALU_DEP_2) | instskip(NEXT) | instid1(VALU_DEP_1)
	v_lshlrev_b64_e32 v[6:7], v8, v[6:7]
	v_and_b32_e32 v8, 3, v6
.LBB6_8925:                             ;   in Loop: Header=BB6_7543 Depth=2
	s_or_b32 exec_lo, exec_lo, s41
	v_lshlrev_b32_e32 v0, 16, v0
	s_delay_alu instid0(VALU_DEP_1) | instskip(NEXT) | instid1(VALU_DEP_1)
	v_and_b32_e32 v0, 0x80000000, v0
	v_lshl_add_u32 v0, v1, 23, v0
	s_delay_alu instid0(VALU_DEP_1) | instskip(NEXT) | instid1(VALU_DEP_1)
	v_lshl_or_b32 v0, v8, 21, v0
                                        ; implicit-def: $vgpr8
	v_add_nc_u32_e32 v7, 0x38000000, v0
                                        ; implicit-def: $vgpr0_vgpr1
.LBB6_8926:                             ;   in Loop: Header=BB6_7543 Depth=2
	s_and_not1_saveexec_b32 s14, s14
; %bb.8927:                             ;   in Loop: Header=BB6_7543 Depth=2
	v_cmp_lt_i16_e32 vcc_lo, -1, v0
	v_cndmask_b32_e32 v0, 0xff800000, v75, vcc_lo
	v_cmp_eq_u32_e32 vcc_lo, 0, v8
	s_delay_alu instid0(VALU_DEP_2)
	v_cndmask_b32_e32 v7, 0x7f800001, v0, vcc_lo
; %bb.8928:                             ;   in Loop: Header=BB6_7543 Depth=2
	s_or_b32 exec_lo, exec_lo, s14
.LBB6_8929:                             ;   in Loop: Header=BB6_7543 Depth=2
	s_delay_alu instid0(SALU_CYCLE_1)
	s_or_b32 exec_lo, exec_lo, s10
.LBB6_8930:                             ;   in Loop: Header=BB6_7543 Depth=2
	s_delay_alu instid0(SALU_CYCLE_1) | instskip(NEXT) | instid1(VALU_DEP_1)
	s_or_b32 exec_lo, exec_lo, s7
	v_dual_max_num_f32 v0, v7, v7 :: v_dual_max_num_f32 v1, v9, v9
	s_delay_alu instid0(VALU_DEP_1)
	v_min_num_f32_e32 v7, v1, v0
.LBB6_8931:                             ;   in Loop: Header=BB6_7543 Depth=2
	s_delay_alu instid0(VALU_DEP_1) | instskip(SKIP_2) | instid1(VALU_DEP_2)
	v_and_b32_e32 v0, 0x7f800000, v7
	v_mov_b32_e32 v1, v25
	v_and_b32_e32 v24, 0x7fffff, v7
                                        ; implicit-def: $vgpr70
	v_cmp_ne_u64_e32 vcc_lo, 0x7f800000, v[0:1]
	v_lshrrev_b32_e32 v0, 24, v7
	s_and_saveexec_b32 s7, vcc_lo
	s_delay_alu instid0(SALU_CYCLE_1)
	s_xor_b32 s10, exec_lo, s7
	s_cbranch_execz .LBB6_8945
; %bb.8932:                             ;   in Loop: Header=BB6_7543 Depth=2
	v_and_b32_e32 v8, 0x7fffffff, v7
	v_mov_b32_e32 v9, v25
                                        ; implicit-def: $vgpr70
	s_delay_alu instid0(VALU_DEP_1) | instskip(SKIP_2) | instid1(SALU_CYCLE_1)
	v_cmp_gt_u64_e32 vcc_lo, 0x47600001, v[8:9]
	v_and_b32_e32 v8, 0x80, v0
	s_and_saveexec_b32 s7, vcc_lo
	s_xor_b32 s14, exec_lo, s7
	s_cbranch_execz .LBB6_8942
; %bb.8933:                             ;   in Loop: Header=BB6_7543 Depth=2
	v_mov_b32_e32 v70, 0
	s_mov_b32 s41, exec_lo
	v_cmpx_ne_u32_e32 0, v7
	s_cbranch_execz .LBB6_8941
; %bb.8934:                             ;   in Loop: Header=BB6_7543 Depth=2
	v_bfe_u32 v9, v7, 23, 8
	v_or_b32_e32 v6, 0x800000, v24
	s_delay_alu instid0(VALU_DEP_2) | instskip(SKIP_1) | instid1(VALU_DEP_2)
	v_sub_nc_u32_e32 v0, 0x71, v9
	v_cmp_gt_u32_e32 vcc_lo, 0x72, v9
	v_cndmask_b32_e32 v0, 0, v0, vcc_lo
	v_cmp_eq_u32_e32 vcc_lo, 0, v9
	s_delay_alu instid0(VALU_DEP_2) | instskip(NEXT) | instid1(VALU_DEP_1)
	v_cndmask_b32_e64 v70, v0, 0x70, vcc_lo
	v_dual_cndmask_b32 v24, v6, v24, vcc_lo :: v_dual_add_nc_u32 v0, 21, v70
	v_add_nc_u32_e32 v7, 20, v70
	s_delay_alu instid0(VALU_DEP_2) | instskip(NEXT) | instid1(VALU_DEP_2)
	v_lshlrev_b64_e64 v[0:1], v0, -1
	v_lshlrev_b64_e64 v[6:7], v7, 1
	s_delay_alu instid0(VALU_DEP_2) | instskip(NEXT) | instid1(VALU_DEP_3)
	v_bfi_b32 v81, v1, 0, 0
	v_bfi_b32 v80, v0, 0, v24
	v_lshrrev_b64 v[0:1], v70, v[24:25]
	s_delay_alu instid0(VALU_DEP_2) | instskip(NEXT) | instid1(VALU_DEP_2)
	v_cmp_eq_u64_e64 s7, v[80:81], v[6:7]
	v_mov_b64_e32 v[6:7], v[0:1]
	s_and_saveexec_b32 s42, s7
; %bb.8935:                             ;   in Loop: Header=BB6_7543 Depth=2
	v_bfe_u32 v24, v0, 21, 1
	s_delay_alu instid0(VALU_DEP_1) | instskip(NEXT) | instid1(VALU_DEP_1)
	v_add_nc_u64_e32 v[6:7], v[0:1], v[24:25]
	v_add_nc_u64_e32 v[6:7], -1, v[6:7]
; %bb.8936:                             ;   in Loop: Header=BB6_7543 Depth=2
	s_or_b32 exec_lo, exec_lo, s42
	v_add_nc_u32_e32 v1, 0xffffff81, v9
	v_lshrrev_b32_e32 v7, 23, v0
	s_mov_b32 s7, exec_lo
	s_delay_alu instid0(VALU_DEP_2) | instskip(NEXT) | instid1(VALU_DEP_1)
	v_cndmask_b32_e64 v1, v1, 0xffffff82, vcc_lo
	v_add3_u32 v7, v70, v1, v7
	v_and_b32_e32 v1, 0x1fffff, v6
                                        ; implicit-def: $vgpr6
	s_delay_alu instid0(VALU_DEP_1) | instskip(NEXT) | instid1(VALU_DEP_1)
	v_dual_add_nc_u32 v9, 14, v7 :: v_dual_add_nc_u32 v24, v1, v0
                                        ; implicit-def: $vgpr0_vgpr1
	v_cmpx_ne_u32_e32 0, v9
	s_xor_b32 s7, exec_lo, s7
; %bb.8937:                             ;   in Loop: Header=BB6_7543 Depth=2
	s_delay_alu instid0(VALU_DEP_2) | instskip(SKIP_1) | instid1(VALU_DEP_1)
	v_cmp_lt_u64_e32 vcc_lo, 0xffffff, v[24:25]
	v_add_nc_u32_e32 v0, 15, v7
	v_cndmask_b32_e32 v6, v9, v0, vcc_lo
	v_cndmask_b32_e64 v0, 0, 1, vcc_lo
	s_delay_alu instid0(VALU_DEP_1)
	v_lshrrev_b64 v[0:1], v0, v[24:25]
; %bb.8938:                             ;   in Loop: Header=BB6_7543 Depth=2
	s_and_not1_saveexec_b32 s7, s7
; %bb.8939:                             ;   in Loop: Header=BB6_7543 Depth=2
	v_mov_b64_e32 v[0:1], v[24:25]
	v_bfe_u32 v6, v24, 23, 1
; %bb.8940:                             ;   in Loop: Header=BB6_7543 Depth=2
	s_or_b32 exec_lo, exec_lo, s7
	s_delay_alu instid0(VALU_DEP_2) | instskip(NEXT) | instid1(VALU_DEP_2)
	v_lshrrev_b64 v[0:1], 21, v[0:1]
	v_cmp_gt_i32_e32 vcc_lo, 32, v6
	v_min_i32_e32 v7, 31, v6
	v_cmp_eq_u32_e64 s7, 0, v6
	s_delay_alu instid0(VALU_DEP_2) | instskip(SKIP_1) | instid1(VALU_DEP_2)
	v_dual_cndmask_b32 v1, 0, v1, vcc_lo :: v_dual_lshlrev_b32 v7, 2, v7
	v_cndmask_b32_e32 v0, 3, v0, vcc_lo
	v_and_b32_e32 v7, 0xfc, v7
	s_delay_alu instid0(VALU_DEP_2) | instskip(NEXT) | instid1(VALU_DEP_2)
	v_cmp_eq_u64_e32 vcc_lo, 0, v[0:1]
	v_and_or_b32 v0, v0, 3, v7
	s_and_b32 s7, s7, vcc_lo
	s_delay_alu instid0(VALU_DEP_1) | instid1(SALU_CYCLE_1)
	v_cndmask_b32_e64 v0, v0, 0, s7
	s_delay_alu instid0(VALU_DEP_1)
	v_or_b32_e32 v70, v0, v8
.LBB6_8941:                             ;   in Loop: Header=BB6_7543 Depth=2
	s_or_b32 exec_lo, exec_lo, s41
                                        ; implicit-def: $vgpr8
.LBB6_8942:                             ;   in Loop: Header=BB6_7543 Depth=2
	s_and_not1_saveexec_b32 s7, s14
; %bb.8943:                             ;   in Loop: Header=BB6_7543 Depth=2
	v_or_b32_e32 v70, 0x7b, v8
; %bb.8944:                             ;   in Loop: Header=BB6_7543 Depth=2
	s_or_b32 exec_lo, exec_lo, s7
                                        ; implicit-def: $vgpr7
                                        ; implicit-def: $vgpr0
.LBB6_8945:                             ;   in Loop: Header=BB6_7543 Depth=2
	s_and_not1_saveexec_b32 s7, s10
	s_cbranch_execz .LBB6_8951
; %bb.8946:                             ;   in Loop: Header=BB6_7543 Depth=2
	s_mov_b32 s10, exec_lo
                                        ; implicit-def: $vgpr70
	v_cmpx_ne_u64_e32 0, v[24:25]
	s_xor_b32 s10, exec_lo, s10
; %bb.8947:                             ;   in Loop: Header=BB6_7543 Depth=2
	v_or_b32_e32 v70, 0x7f, v0
                                        ; implicit-def: $vgpr7
; %bb.8948:                             ;   in Loop: Header=BB6_7543 Depth=2
	s_and_not1_saveexec_b32 s10, s10
; %bb.8949:                             ;   in Loop: Header=BB6_7543 Depth=2
	v_cmp_lt_i32_e32 vcc_lo, -1, v7
	v_cndmask_b32_e32 v70, 0xfc, v41, vcc_lo
; %bb.8950:                             ;   in Loop: Header=BB6_7543 Depth=2
	s_or_b32 exec_lo, exec_lo, s10
.LBB6_8951:                             ;   in Loop: Header=BB6_7543 Depth=2
	s_delay_alu instid0(SALU_CYCLE_1) | instskip(SKIP_3) | instid1(VALU_DEP_1)
	s_or_b32 exec_lo, exec_lo, s7
	v_dual_lshrrev_b32 v6, 16, v33 :: v_dual_lshrrev_b32 v0, 16, v27
	s_and_not1_b32 vcc_lo, exec_lo, s13
	s_mov_b32 s10, -1
                                        ; implicit-def: $vgpr7
	v_and_b32_e32 v1, 0xff, v6
	s_delay_alu instid0(VALU_DEP_1)
	v_cmp_ne_u16_e64 s7, 0, v1
	s_cbranch_vccnz .LBB6_8973
; %bb.8952:                             ;   in Loop: Header=BB6_7543 Depth=2
	v_dual_mov_b32 v8, 0 :: v_dual_mov_b32 v7, 0
	s_and_saveexec_b32 s10, s7
	s_cbranch_execz .LBB6_8962
; %bb.8953:                             ;   in Loop: Header=BB6_7543 Depth=2
	v_bfrev_b32_e32 v7, 1
	s_mov_b32 s14, exec_lo
	v_cmpx_ne_u16_e32 0x80, v1
	s_cbranch_execz .LBB6_8961
; %bb.8954:                             ;   in Loop: Header=BB6_7543 Depth=2
	v_and_b32_e32 v7, 0x7c0000, v33
	v_bfe_u32 v9, v33, 16, 2
	s_delay_alu instid0(VALU_DEP_2) | instskip(SKIP_1) | instid1(SALU_CYCLE_1)
	v_cmp_ne_u32_e32 vcc_lo, 0x7c0000, v7
                                        ; implicit-def: $vgpr7
	s_and_saveexec_b32 s41, vcc_lo
	s_xor_b32 s41, exec_lo, s41
	s_cbranch_execz .LBB6_8958
; %bb.8955:                             ;   in Loop: Header=BB6_7543 Depth=2
	v_bfe_u32 v7, v33, 18, 5
	s_mov_b32 s42, exec_lo
	s_delay_alu instid0(VALU_DEP_1)
	v_cmpx_eq_u32_e32 0, v7
; %bb.8956:                             ;   in Loop: Header=BB6_7543 Depth=2
	v_clz_i32_u32_e32 v7, v9
	s_delay_alu instid0(VALU_DEP_1) | instskip(NEXT) | instid1(VALU_DEP_1)
	v_min_u32_e32 v7, 32, v7
	v_subrev_nc_u32_e32 v9, 29, v7
	s_delay_alu instid0(VALU_DEP_1) | instskip(NEXT) | instid1(VALU_DEP_1)
	v_lshlrev_b64_e32 v[80:81], v9, v[6:7]
	v_dual_sub_nc_u32 v7, 30, v7 :: v_dual_bitop2_b32 v9, 3, v80 bitop3:0x40
; %bb.8957:                             ;   in Loop: Header=BB6_7543 Depth=2
	s_or_b32 exec_lo, exec_lo, s42
	v_lshlrev_b32_e32 v24, 24, v6
	s_delay_alu instid0(VALU_DEP_1) | instskip(NEXT) | instid1(VALU_DEP_1)
	v_and_b32_e32 v24, 0x80000000, v24
	v_lshl_add_u32 v7, v7, 23, v24
	s_delay_alu instid0(VALU_DEP_1) | instskip(NEXT) | instid1(VALU_DEP_1)
	v_lshl_or_b32 v7, v9, 21, v7
                                        ; implicit-def: $vgpr9
	v_add_nc_u32_e32 v7, 0x38000000, v7
.LBB6_8958:                             ;   in Loop: Header=BB6_7543 Depth=2
	s_and_not1_saveexec_b32 s41, s41
; %bb.8959:                             ;   in Loop: Header=BB6_7543 Depth=2
	v_bfe_i32 v7, v6, 0, 8
	s_delay_alu instid0(VALU_DEP_1) | instskip(SKIP_2) | instid1(VALU_DEP_2)
	v_cmp_lt_i16_e32 vcc_lo, -1, v7
	v_cndmask_b32_e32 v7, 0xff800000, v75, vcc_lo
	v_cmp_eq_u32_e32 vcc_lo, 0, v9
	v_cndmask_b32_e32 v7, 0x7f800001, v7, vcc_lo
; %bb.8960:                             ;   in Loop: Header=BB6_7543 Depth=2
	s_or_b32 exec_lo, exec_lo, s41
.LBB6_8961:                             ;   in Loop: Header=BB6_7543 Depth=2
	s_delay_alu instid0(SALU_CYCLE_1)
	s_or_b32 exec_lo, exec_lo, s14
.LBB6_8962:                             ;   in Loop: Header=BB6_7543 Depth=2
	s_delay_alu instid0(SALU_CYCLE_1) | instskip(SKIP_2) | instid1(VALU_DEP_1)
	s_or_b32 exec_lo, exec_lo, s10
	v_and_b32_e32 v9, 0xff, v0
	s_mov_b32 s10, exec_lo
	v_cmpx_ne_u16_e32 0, v9
	s_cbranch_execz .LBB6_8972
; %bb.8963:                             ;   in Loop: Header=BB6_7543 Depth=2
	v_bfrev_b32_e32 v8, 1
	s_mov_b32 s14, exec_lo
	v_cmpx_ne_u16_e32 0x80, v9
	s_cbranch_execz .LBB6_8971
; %bb.8964:                             ;   in Loop: Header=BB6_7543 Depth=2
	v_and_b32_e32 v8, 0x7c0000, v27
	v_bfe_u32 v9, v27, 16, 2
	s_delay_alu instid0(VALU_DEP_2) | instskip(SKIP_1) | instid1(SALU_CYCLE_1)
	v_cmp_ne_u32_e32 vcc_lo, 0x7c0000, v8
                                        ; implicit-def: $vgpr8
	s_and_saveexec_b32 s41, vcc_lo
	s_xor_b32 s41, exec_lo, s41
	s_cbranch_execz .LBB6_8968
; %bb.8965:                             ;   in Loop: Header=BB6_7543 Depth=2
	v_bfe_u32 v8, v27, 18, 5
	s_mov_b32 s42, exec_lo
	s_delay_alu instid0(VALU_DEP_1)
	v_cmpx_eq_u32_e32 0, v8
; %bb.8966:                             ;   in Loop: Header=BB6_7543 Depth=2
	v_clz_i32_u32_e32 v8, v9
	s_delay_alu instid0(VALU_DEP_1) | instskip(NEXT) | instid1(VALU_DEP_1)
	v_min_u32_e32 v8, 32, v8
	v_subrev_nc_u32_e32 v9, 29, v8
	v_sub_nc_u32_e32 v8, 30, v8
	s_delay_alu instid0(VALU_DEP_2) | instskip(NEXT) | instid1(VALU_DEP_1)
	v_lshlrev_b64_e32 v[80:81], v9, v[0:1]
	v_and_b32_e32 v9, 3, v80
; %bb.8967:                             ;   in Loop: Header=BB6_7543 Depth=2
	s_or_b32 exec_lo, exec_lo, s42
	v_lshlrev_b32_e32 v24, 24, v0
	s_delay_alu instid0(VALU_DEP_1) | instskip(NEXT) | instid1(VALU_DEP_1)
	v_and_b32_e32 v24, 0x80000000, v24
	v_lshl_add_u32 v8, v8, 23, v24
	s_delay_alu instid0(VALU_DEP_1) | instskip(NEXT) | instid1(VALU_DEP_1)
	v_lshl_or_b32 v8, v9, 21, v8
                                        ; implicit-def: $vgpr9
	v_add_nc_u32_e32 v8, 0x38000000, v8
.LBB6_8968:                             ;   in Loop: Header=BB6_7543 Depth=2
	s_and_not1_saveexec_b32 s41, s41
; %bb.8969:                             ;   in Loop: Header=BB6_7543 Depth=2
	v_bfe_i32 v8, v0, 0, 8
	s_delay_alu instid0(VALU_DEP_1) | instskip(SKIP_2) | instid1(VALU_DEP_2)
	v_cmp_lt_i16_e32 vcc_lo, -1, v8
	v_cndmask_b32_e32 v8, 0xff800000, v75, vcc_lo
	v_cmp_eq_u32_e32 vcc_lo, 0, v9
	v_cndmask_b32_e32 v8, 0x7f800001, v8, vcc_lo
; %bb.8970:                             ;   in Loop: Header=BB6_7543 Depth=2
	s_or_b32 exec_lo, exec_lo, s41
.LBB6_8971:                             ;   in Loop: Header=BB6_7543 Depth=2
	s_delay_alu instid0(SALU_CYCLE_1)
	s_or_b32 exec_lo, exec_lo, s14
.LBB6_8972:                             ;   in Loop: Header=BB6_7543 Depth=2
	s_delay_alu instid0(SALU_CYCLE_1) | instskip(NEXT) | instid1(VALU_DEP_1)
	s_or_b32 exec_lo, exec_lo, s10
	v_dual_max_num_f32 v8, v8, v8 :: v_dual_max_num_f32 v7, v7, v7
	s_mov_b32 s10, 0
	s_delay_alu instid0(VALU_DEP_1)
	v_max_num_f32_e32 v7, v7, v8
.LBB6_8973:                             ;   in Loop: Header=BB6_7543 Depth=2
	s_and_b32 vcc_lo, exec_lo, s10
	s_cbranch_vccz .LBB6_8995
; %bb.8974:                             ;   in Loop: Header=BB6_7543 Depth=2
	v_dual_mov_b32 v8, 0 :: v_dual_mov_b32 v7, 0
	s_and_saveexec_b32 s10, s7
	s_cbranch_execz .LBB6_8984
; %bb.8975:                             ;   in Loop: Header=BB6_7543 Depth=2
	v_bfrev_b32_e32 v7, 1
	s_mov_b32 s7, exec_lo
	v_cmpx_ne_u16_e32 0x80, v1
	s_cbranch_execz .LBB6_8983
; %bb.8976:                             ;   in Loop: Header=BB6_7543 Depth=2
	v_and_b32_e32 v7, 0x7c0000, v33
	v_bfe_u32 v1, v33, 16, 2
	s_delay_alu instid0(VALU_DEP_2) | instskip(SKIP_1) | instid1(SALU_CYCLE_1)
	v_cmp_ne_u32_e32 vcc_lo, 0x7c0000, v7
                                        ; implicit-def: $vgpr7
	s_and_saveexec_b32 s14, vcc_lo
	s_xor_b32 s14, exec_lo, s14
	s_cbranch_execz .LBB6_8980
; %bb.8977:                             ;   in Loop: Header=BB6_7543 Depth=2
	v_bfe_u32 v7, v33, 18, 5
	s_mov_b32 s41, exec_lo
	s_delay_alu instid0(VALU_DEP_1)
	v_cmpx_eq_u32_e32 0, v7
; %bb.8978:                             ;   in Loop: Header=BB6_7543 Depth=2
	v_clz_i32_u32_e32 v1, v1
	s_delay_alu instid0(VALU_DEP_1) | instskip(NEXT) | instid1(VALU_DEP_1)
	v_min_u32_e32 v1, 32, v1
	v_subrev_nc_u32_e32 v7, 29, v1
	s_delay_alu instid0(VALU_DEP_1) | instskip(NEXT) | instid1(VALU_DEP_1)
	v_lshlrev_b64_e32 v[80:81], v7, v[6:7]
	v_dual_sub_nc_u32 v7, 30, v1 :: v_dual_bitop2_b32 v1, 3, v80 bitop3:0x40
; %bb.8979:                             ;   in Loop: Header=BB6_7543 Depth=2
	s_or_b32 exec_lo, exec_lo, s41
	v_lshlrev_b32_e32 v6, 24, v6
	s_delay_alu instid0(VALU_DEP_1) | instskip(NEXT) | instid1(VALU_DEP_1)
	v_and_b32_e32 v6, 0x80000000, v6
	v_lshl_add_u32 v6, v7, 23, v6
	s_delay_alu instid0(VALU_DEP_1) | instskip(NEXT) | instid1(VALU_DEP_1)
	v_lshl_or_b32 v1, v1, 21, v6
                                        ; implicit-def: $vgpr6
	v_add_nc_u32_e32 v7, 0x38000000, v1
                                        ; implicit-def: $vgpr1
.LBB6_8980:                             ;   in Loop: Header=BB6_7543 Depth=2
	s_and_not1_saveexec_b32 s14, s14
; %bb.8981:                             ;   in Loop: Header=BB6_7543 Depth=2
	v_bfe_i32 v6, v6, 0, 8
	s_delay_alu instid0(VALU_DEP_1) | instskip(SKIP_2) | instid1(VALU_DEP_2)
	v_cmp_lt_i16_e32 vcc_lo, -1, v6
	v_cndmask_b32_e32 v6, 0xff800000, v75, vcc_lo
	v_cmp_eq_u32_e32 vcc_lo, 0, v1
	v_cndmask_b32_e32 v7, 0x7f800001, v6, vcc_lo
; %bb.8982:                             ;   in Loop: Header=BB6_7543 Depth=2
	s_or_b32 exec_lo, exec_lo, s14
.LBB6_8983:                             ;   in Loop: Header=BB6_7543 Depth=2
	s_delay_alu instid0(SALU_CYCLE_1)
	s_or_b32 exec_lo, exec_lo, s7
.LBB6_8984:                             ;   in Loop: Header=BB6_7543 Depth=2
	s_delay_alu instid0(SALU_CYCLE_1) | instskip(SKIP_2) | instid1(VALU_DEP_1)
	s_or_b32 exec_lo, exec_lo, s10
	v_and_b32_e32 v1, 0xff, v0
	s_mov_b32 s7, exec_lo
	v_cmpx_ne_u16_e32 0, v1
	s_cbranch_execz .LBB6_8994
; %bb.8985:                             ;   in Loop: Header=BB6_7543 Depth=2
	v_bfrev_b32_e32 v8, 1
	s_mov_b32 s10, exec_lo
	v_cmpx_ne_u16_e32 0x80, v1
	s_cbranch_execz .LBB6_8993
; %bb.8986:                             ;   in Loop: Header=BB6_7543 Depth=2
	v_and_b32_e32 v6, 0x7c0000, v27
	v_bfe_u32 v1, v27, 16, 2
	s_mov_b32 s14, exec_lo
                                        ; implicit-def: $vgpr8
	s_delay_alu instid0(VALU_DEP_2)
	v_cmpx_ne_u32_e32 0x7c0000, v6
	s_xor_b32 s14, exec_lo, s14
	s_cbranch_execz .LBB6_8990
; %bb.8987:                             ;   in Loop: Header=BB6_7543 Depth=2
	v_bfe_u32 v6, v27, 18, 5
	s_mov_b32 s41, exec_lo
	s_delay_alu instid0(VALU_DEP_1)
	v_cmpx_eq_u32_e32 0, v6
; %bb.8988:                             ;   in Loop: Header=BB6_7543 Depth=2
	v_clz_i32_u32_e32 v1, v1
	s_delay_alu instid0(VALU_DEP_1) | instskip(NEXT) | instid1(VALU_DEP_1)
	v_min_u32_e32 v1, 32, v1
	v_subrev_nc_u32_e32 v6, 29, v1
	s_delay_alu instid0(VALU_DEP_1) | instskip(NEXT) | instid1(VALU_DEP_1)
	v_lshlrev_b64_e32 v[8:9], v6, v[0:1]
	v_dual_sub_nc_u32 v6, 30, v1 :: v_dual_bitop2_b32 v1, 3, v8 bitop3:0x40
; %bb.8989:                             ;   in Loop: Header=BB6_7543 Depth=2
	s_or_b32 exec_lo, exec_lo, s41
	v_lshlrev_b32_e32 v0, 24, v0
	s_delay_alu instid0(VALU_DEP_1) | instskip(NEXT) | instid1(VALU_DEP_1)
	v_and_b32_e32 v0, 0x80000000, v0
	v_lshl_add_u32 v0, v6, 23, v0
	s_delay_alu instid0(VALU_DEP_1) | instskip(NEXT) | instid1(VALU_DEP_1)
	v_lshl_or_b32 v0, v1, 21, v0
                                        ; implicit-def: $vgpr1
	v_add_nc_u32_e32 v8, 0x38000000, v0
                                        ; implicit-def: $vgpr0
.LBB6_8990:                             ;   in Loop: Header=BB6_7543 Depth=2
	s_and_not1_saveexec_b32 s14, s14
; %bb.8991:                             ;   in Loop: Header=BB6_7543 Depth=2
	v_bfe_i32 v0, v0, 0, 8
	s_delay_alu instid0(VALU_DEP_1) | instskip(SKIP_2) | instid1(VALU_DEP_2)
	v_cmp_lt_i16_e32 vcc_lo, -1, v0
	v_cndmask_b32_e32 v0, 0xff800000, v75, vcc_lo
	v_cmp_eq_u32_e32 vcc_lo, 0, v1
	v_cndmask_b32_e32 v8, 0x7f800001, v0, vcc_lo
; %bb.8992:                             ;   in Loop: Header=BB6_7543 Depth=2
	s_or_b32 exec_lo, exec_lo, s14
.LBB6_8993:                             ;   in Loop: Header=BB6_7543 Depth=2
	s_delay_alu instid0(SALU_CYCLE_1)
	s_or_b32 exec_lo, exec_lo, s10
.LBB6_8994:                             ;   in Loop: Header=BB6_7543 Depth=2
	s_delay_alu instid0(SALU_CYCLE_1) | instskip(NEXT) | instid1(VALU_DEP_1)
	s_or_b32 exec_lo, exec_lo, s7
	v_dual_max_num_f32 v0, v8, v8 :: v_dual_max_num_f32 v1, v7, v7
	s_delay_alu instid0(VALU_DEP_1)
	v_min_num_f32_e32 v7, v1, v0
.LBB6_8995:                             ;   in Loop: Header=BB6_7543 Depth=2
	s_delay_alu instid0(VALU_DEP_1) | instskip(SKIP_2) | instid1(VALU_DEP_2)
	v_and_b32_e32 v0, 0x7f800000, v7
	v_mov_b32_e32 v1, v25
	v_and_b32_e32 v24, 0x7fffff, v7
                                        ; implicit-def: $vgpr71
	v_cmp_ne_u64_e32 vcc_lo, 0x7f800000, v[0:1]
	v_lshrrev_b32_e32 v0, 24, v7
	s_and_saveexec_b32 s7, vcc_lo
	s_delay_alu instid0(SALU_CYCLE_1)
	s_xor_b32 s10, exec_lo, s7
	s_cbranch_execz .LBB6_9009
; %bb.8996:                             ;   in Loop: Header=BB6_7543 Depth=2
	v_and_b32_e32 v8, 0x7fffffff, v7
	v_mov_b32_e32 v9, v25
                                        ; implicit-def: $vgpr71
	s_delay_alu instid0(VALU_DEP_1) | instskip(SKIP_2) | instid1(SALU_CYCLE_1)
	v_cmp_gt_u64_e32 vcc_lo, 0x47600001, v[8:9]
	v_and_b32_e32 v8, 0x80, v0
	s_and_saveexec_b32 s7, vcc_lo
	s_xor_b32 s14, exec_lo, s7
	s_cbranch_execz .LBB6_9006
; %bb.8997:                             ;   in Loop: Header=BB6_7543 Depth=2
	v_mov_b32_e32 v71, 0
	s_mov_b32 s41, exec_lo
	v_cmpx_ne_u32_e32 0, v7
	s_cbranch_execz .LBB6_9005
; %bb.8998:                             ;   in Loop: Header=BB6_7543 Depth=2
	v_bfe_u32 v9, v7, 23, 8
	v_or_b32_e32 v6, 0x800000, v24
	s_delay_alu instid0(VALU_DEP_2) | instskip(SKIP_1) | instid1(VALU_DEP_2)
	v_sub_nc_u32_e32 v0, 0x71, v9
	v_cmp_gt_u32_e32 vcc_lo, 0x72, v9
	v_cndmask_b32_e32 v0, 0, v0, vcc_lo
	v_cmp_eq_u32_e32 vcc_lo, 0, v9
	s_delay_alu instid0(VALU_DEP_2) | instskip(NEXT) | instid1(VALU_DEP_1)
	v_cndmask_b32_e64 v71, v0, 0x70, vcc_lo
	v_dual_cndmask_b32 v24, v6, v24, vcc_lo :: v_dual_add_nc_u32 v0, 21, v71
	v_add_nc_u32_e32 v7, 20, v71
	s_delay_alu instid0(VALU_DEP_2) | instskip(NEXT) | instid1(VALU_DEP_2)
	v_lshlrev_b64_e64 v[0:1], v0, -1
	v_lshlrev_b64_e64 v[6:7], v7, 1
	s_delay_alu instid0(VALU_DEP_2) | instskip(NEXT) | instid1(VALU_DEP_3)
	v_bfi_b32 v81, v1, 0, 0
	v_bfi_b32 v80, v0, 0, v24
	v_lshrrev_b64 v[0:1], v71, v[24:25]
	s_delay_alu instid0(VALU_DEP_2) | instskip(NEXT) | instid1(VALU_DEP_2)
	v_cmp_eq_u64_e64 s7, v[80:81], v[6:7]
	v_mov_b64_e32 v[6:7], v[0:1]
	s_and_saveexec_b32 s42, s7
; %bb.8999:                             ;   in Loop: Header=BB6_7543 Depth=2
	v_bfe_u32 v24, v0, 21, 1
	s_delay_alu instid0(VALU_DEP_1) | instskip(NEXT) | instid1(VALU_DEP_1)
	v_add_nc_u64_e32 v[6:7], v[0:1], v[24:25]
	v_add_nc_u64_e32 v[6:7], -1, v[6:7]
; %bb.9000:                             ;   in Loop: Header=BB6_7543 Depth=2
	s_or_b32 exec_lo, exec_lo, s42
	v_add_nc_u32_e32 v1, 0xffffff81, v9
	v_lshrrev_b32_e32 v7, 23, v0
	s_mov_b32 s7, exec_lo
	s_delay_alu instid0(VALU_DEP_2) | instskip(NEXT) | instid1(VALU_DEP_1)
	v_cndmask_b32_e64 v1, v1, 0xffffff82, vcc_lo
	v_add3_u32 v7, v71, v1, v7
	v_and_b32_e32 v1, 0x1fffff, v6
                                        ; implicit-def: $vgpr6
	s_delay_alu instid0(VALU_DEP_1) | instskip(NEXT) | instid1(VALU_DEP_1)
	v_dual_add_nc_u32 v9, 14, v7 :: v_dual_add_nc_u32 v24, v1, v0
                                        ; implicit-def: $vgpr0_vgpr1
	v_cmpx_ne_u32_e32 0, v9
	s_xor_b32 s7, exec_lo, s7
; %bb.9001:                             ;   in Loop: Header=BB6_7543 Depth=2
	s_delay_alu instid0(VALU_DEP_2) | instskip(SKIP_1) | instid1(VALU_DEP_1)
	v_cmp_lt_u64_e32 vcc_lo, 0xffffff, v[24:25]
	v_add_nc_u32_e32 v0, 15, v7
	v_cndmask_b32_e32 v6, v9, v0, vcc_lo
	v_cndmask_b32_e64 v0, 0, 1, vcc_lo
	s_delay_alu instid0(VALU_DEP_1)
	v_lshrrev_b64 v[0:1], v0, v[24:25]
; %bb.9002:                             ;   in Loop: Header=BB6_7543 Depth=2
	s_and_not1_saveexec_b32 s7, s7
; %bb.9003:                             ;   in Loop: Header=BB6_7543 Depth=2
	v_mov_b64_e32 v[0:1], v[24:25]
	v_bfe_u32 v6, v24, 23, 1
; %bb.9004:                             ;   in Loop: Header=BB6_7543 Depth=2
	s_or_b32 exec_lo, exec_lo, s7
	s_delay_alu instid0(VALU_DEP_2) | instskip(NEXT) | instid1(VALU_DEP_2)
	v_lshrrev_b64 v[0:1], 21, v[0:1]
	v_cmp_gt_i32_e32 vcc_lo, 32, v6
	v_min_i32_e32 v7, 31, v6
	v_cmp_eq_u32_e64 s7, 0, v6
	s_delay_alu instid0(VALU_DEP_2) | instskip(SKIP_1) | instid1(VALU_DEP_2)
	v_dual_cndmask_b32 v1, 0, v1, vcc_lo :: v_dual_lshlrev_b32 v7, 2, v7
	v_cndmask_b32_e32 v0, 3, v0, vcc_lo
	v_and_b32_e32 v7, 0xfc, v7
	s_delay_alu instid0(VALU_DEP_2) | instskip(NEXT) | instid1(VALU_DEP_2)
	v_cmp_eq_u64_e32 vcc_lo, 0, v[0:1]
	v_and_or_b32 v0, v0, 3, v7
	s_and_b32 s7, s7, vcc_lo
	s_delay_alu instid0(VALU_DEP_1) | instid1(SALU_CYCLE_1)
	v_cndmask_b32_e64 v0, v0, 0, s7
	s_delay_alu instid0(VALU_DEP_1)
	v_or_b32_e32 v71, v0, v8
.LBB6_9005:                             ;   in Loop: Header=BB6_7543 Depth=2
	s_or_b32 exec_lo, exec_lo, s41
                                        ; implicit-def: $vgpr8
.LBB6_9006:                             ;   in Loop: Header=BB6_7543 Depth=2
	s_and_not1_saveexec_b32 s7, s14
; %bb.9007:                             ;   in Loop: Header=BB6_7543 Depth=2
	v_or_b32_e32 v71, 0x7b, v8
; %bb.9008:                             ;   in Loop: Header=BB6_7543 Depth=2
	s_or_b32 exec_lo, exec_lo, s7
                                        ; implicit-def: $vgpr7
                                        ; implicit-def: $vgpr0
.LBB6_9009:                             ;   in Loop: Header=BB6_7543 Depth=2
	s_and_not1_saveexec_b32 s7, s10
	s_cbranch_execz .LBB6_9015
; %bb.9010:                             ;   in Loop: Header=BB6_7543 Depth=2
	s_mov_b32 s10, exec_lo
                                        ; implicit-def: $vgpr71
	v_cmpx_ne_u64_e32 0, v[24:25]
	s_xor_b32 s10, exec_lo, s10
; %bb.9011:                             ;   in Loop: Header=BB6_7543 Depth=2
	v_or_b32_e32 v71, 0x7f, v0
                                        ; implicit-def: $vgpr7
; %bb.9012:                             ;   in Loop: Header=BB6_7543 Depth=2
	s_and_not1_saveexec_b32 s10, s10
; %bb.9013:                             ;   in Loop: Header=BB6_7543 Depth=2
	v_cmp_lt_i32_e32 vcc_lo, -1, v7
	v_cndmask_b32_e32 v71, 0xfc, v41, vcc_lo
; %bb.9014:                             ;   in Loop: Header=BB6_7543 Depth=2
	s_or_b32 exec_lo, exec_lo, s10
.LBB6_9015:                             ;   in Loop: Header=BB6_7543 Depth=2
	s_delay_alu instid0(SALU_CYCLE_1)
	s_or_b32 exec_lo, exec_lo, s7
	v_cmp_lt_u64_e64 s7, s[16:17], v[32:33]
	v_dual_lshrrev_b32 v6, 24, v33 :: v_dual_lshrrev_b32 v0, 24, v27
	s_and_not1_b32 vcc_lo, exec_lo, s13
	s_mov_b32 s10, -1
                                        ; implicit-def: $vgpr1
	s_cbranch_vccnz .LBB6_9037
; %bb.9016:                             ;   in Loop: Header=BB6_7543 Depth=2
	v_dual_mov_b32 v7, 0 :: v_dual_mov_b32 v1, 0
	s_and_saveexec_b32 s10, s7
	s_cbranch_execz .LBB6_9026
; %bb.9017:                             ;   in Loop: Header=BB6_7543 Depth=2
	v_bfrev_b32_e32 v1, 1
	s_mov_b32 s14, exec_lo
	v_cmpx_ne_u32_e32 0x80, v6
	s_cbranch_execz .LBB6_9025
; %bb.9018:                             ;   in Loop: Header=BB6_7543 Depth=2
	v_and_b32_e32 v1, 0x7c000000, v33
	v_bfe_u32 v8, v33, 24, 2
	s_delay_alu instid0(VALU_DEP_2) | instskip(SKIP_1) | instid1(SALU_CYCLE_1)
	v_cmp_ne_u32_e32 vcc_lo, 0x7c000000, v1
                                        ; implicit-def: $vgpr1
	s_and_saveexec_b32 s41, vcc_lo
	s_xor_b32 s41, exec_lo, s41
	s_cbranch_execz .LBB6_9022
; %bb.9019:                             ;   in Loop: Header=BB6_7543 Depth=2
	v_bfe_u32 v1, v33, 26, 5
	s_mov_b32 s42, exec_lo
	s_delay_alu instid0(VALU_DEP_1)
	v_cmpx_eq_u32_e32 0, v1
; %bb.9020:                             ;   in Loop: Header=BB6_7543 Depth=2
	v_clz_i32_u32_e32 v1, v8
	s_delay_alu instid0(VALU_DEP_1) | instskip(NEXT) | instid1(VALU_DEP_1)
	v_min_u32_e32 v1, 32, v1
	v_subrev_nc_u32_e32 v8, 29, v1
	s_delay_alu instid0(VALU_DEP_1) | instskip(NEXT) | instid1(VALU_DEP_1)
	v_lshlrev_b64_e32 v[8:9], v8, v[6:7]
	v_dual_sub_nc_u32 v1, 30, v1 :: v_dual_bitop2_b32 v8, 3, v8 bitop3:0x40
; %bb.9021:                             ;   in Loop: Header=BB6_7543 Depth=2
	s_or_b32 exec_lo, exec_lo, s42
	v_and_b32_e32 v9, 0x80000000, v33
	s_delay_alu instid0(VALU_DEP_1) | instskip(NEXT) | instid1(VALU_DEP_1)
	v_lshl_add_u32 v1, v1, 23, v9
	v_lshl_or_b32 v1, v8, 21, v1
                                        ; implicit-def: $vgpr8
	s_delay_alu instid0(VALU_DEP_1)
	v_add_nc_u32_e32 v1, 0x38000000, v1
.LBB6_9022:                             ;   in Loop: Header=BB6_7543 Depth=2
	s_and_not1_saveexec_b32 s41, s41
; %bb.9023:                             ;   in Loop: Header=BB6_7543 Depth=2
	v_cmp_lt_i64_e32 vcc_lo, -1, v[32:33]
	v_cndmask_b32_e32 v1, 0xff800000, v75, vcc_lo
	v_cmp_eq_u32_e32 vcc_lo, 0, v8
	s_delay_alu instid0(VALU_DEP_2)
	v_cndmask_b32_e32 v1, 0x7f800001, v1, vcc_lo
; %bb.9024:                             ;   in Loop: Header=BB6_7543 Depth=2
	s_or_b32 exec_lo, exec_lo, s41
.LBB6_9025:                             ;   in Loop: Header=BB6_7543 Depth=2
	s_delay_alu instid0(SALU_CYCLE_1)
	s_or_b32 exec_lo, exec_lo, s14
.LBB6_9026:                             ;   in Loop: Header=BB6_7543 Depth=2
	s_delay_alu instid0(SALU_CYCLE_1) | instskip(NEXT) | instid1(SALU_CYCLE_1)
	s_or_b32 exec_lo, exec_lo, s10
	s_mov_b32 s10, exec_lo
	v_cmpx_lt_u64_e64 s[16:17], v[26:27]
	s_cbranch_execz .LBB6_9036
; %bb.9027:                             ;   in Loop: Header=BB6_7543 Depth=2
	v_bfrev_b32_e32 v7, 1
	s_mov_b32 s14, exec_lo
	v_cmpx_ne_u32_e32 0x80, v0
	s_cbranch_execz .LBB6_9035
; %bb.9028:                             ;   in Loop: Header=BB6_7543 Depth=2
	v_and_b32_e32 v7, 0x7c000000, v27
	v_bfe_u32 v8, v27, 24, 2
	s_delay_alu instid0(VALU_DEP_2) | instskip(SKIP_1) | instid1(SALU_CYCLE_1)
	v_cmp_ne_u32_e32 vcc_lo, 0x7c000000, v7
                                        ; implicit-def: $vgpr7
	s_and_saveexec_b32 s41, vcc_lo
	s_xor_b32 s41, exec_lo, s41
	s_cbranch_execz .LBB6_9032
; %bb.9029:                             ;   in Loop: Header=BB6_7543 Depth=2
	v_bfe_u32 v7, v27, 26, 5
	s_mov_b32 s42, exec_lo
	s_delay_alu instid0(VALU_DEP_1)
	v_cmpx_eq_u32_e32 0, v7
; %bb.9030:                             ;   in Loop: Header=BB6_7543 Depth=2
	v_clz_i32_u32_e32 v7, v8
	s_delay_alu instid0(VALU_DEP_1) | instskip(NEXT) | instid1(VALU_DEP_1)
	v_min_u32_e32 v7, 32, v7
	v_subrev_nc_u32_e32 v8, 29, v7
	s_delay_alu instid0(VALU_DEP_1) | instskip(NEXT) | instid1(VALU_DEP_1)
	v_lshlrev_b64_e32 v[8:9], v8, v[0:1]
	v_dual_sub_nc_u32 v7, 30, v7 :: v_dual_bitop2_b32 v8, 3, v8 bitop3:0x40
; %bb.9031:                             ;   in Loop: Header=BB6_7543 Depth=2
	s_or_b32 exec_lo, exec_lo, s42
	v_and_b32_e32 v9, 0x80000000, v27
	s_delay_alu instid0(VALU_DEP_1) | instskip(NEXT) | instid1(VALU_DEP_1)
	v_lshl_add_u32 v7, v7, 23, v9
	v_lshl_or_b32 v7, v8, 21, v7
                                        ; implicit-def: $vgpr8
	s_delay_alu instid0(VALU_DEP_1)
	v_add_nc_u32_e32 v7, 0x38000000, v7
.LBB6_9032:                             ;   in Loop: Header=BB6_7543 Depth=2
	s_and_not1_saveexec_b32 s41, s41
; %bb.9033:                             ;   in Loop: Header=BB6_7543 Depth=2
	v_cmp_lt_i64_e32 vcc_lo, -1, v[26:27]
	v_cndmask_b32_e32 v7, 0xff800000, v75, vcc_lo
	v_cmp_eq_u32_e32 vcc_lo, 0, v8
	s_delay_alu instid0(VALU_DEP_2)
	v_cndmask_b32_e32 v7, 0x7f800001, v7, vcc_lo
; %bb.9034:                             ;   in Loop: Header=BB6_7543 Depth=2
	s_or_b32 exec_lo, exec_lo, s41
.LBB6_9035:                             ;   in Loop: Header=BB6_7543 Depth=2
	s_delay_alu instid0(SALU_CYCLE_1)
	s_or_b32 exec_lo, exec_lo, s14
.LBB6_9036:                             ;   in Loop: Header=BB6_7543 Depth=2
	s_delay_alu instid0(SALU_CYCLE_1) | instskip(NEXT) | instid1(VALU_DEP_1)
	s_or_b32 exec_lo, exec_lo, s10
	v_dual_max_num_f32 v7, v7, v7 :: v_dual_max_num_f32 v1, v1, v1
	s_mov_b32 s10, 0
	s_delay_alu instid0(VALU_DEP_1)
	v_max_num_f32_e32 v1, v1, v7
.LBB6_9037:                             ;   in Loop: Header=BB6_7543 Depth=2
	s_and_b32 vcc_lo, exec_lo, s10
	s_cbranch_vccz .LBB6_9059
; %bb.9038:                             ;   in Loop: Header=BB6_7543 Depth=2
	v_dual_mov_b32 v7, 0 :: v_dual_mov_b32 v1, 0
	s_and_saveexec_b32 s10, s7
	s_cbranch_execz .LBB6_9048
; %bb.9039:                             ;   in Loop: Header=BB6_7543 Depth=2
	v_bfrev_b32_e32 v1, 1
	s_mov_b32 s7, exec_lo
	v_cmpx_ne_u32_e32 0x80, v6
	s_cbranch_execz .LBB6_9047
; %bb.9040:                             ;   in Loop: Header=BB6_7543 Depth=2
	v_and_b32_e32 v1, 0x7c000000, v33
	v_bfe_u32 v8, v33, 24, 2
	s_delay_alu instid0(VALU_DEP_2) | instskip(SKIP_1) | instid1(SALU_CYCLE_1)
	v_cmp_ne_u32_e32 vcc_lo, 0x7c000000, v1
                                        ; implicit-def: $vgpr1
	s_and_saveexec_b32 s14, vcc_lo
	s_xor_b32 s14, exec_lo, s14
	s_cbranch_execz .LBB6_9044
; %bb.9041:                             ;   in Loop: Header=BB6_7543 Depth=2
	v_bfe_u32 v1, v33, 26, 5
	s_mov_b32 s41, exec_lo
	s_delay_alu instid0(VALU_DEP_1)
	v_cmpx_eq_u32_e32 0, v1
; %bb.9042:                             ;   in Loop: Header=BB6_7543 Depth=2
	v_clz_i32_u32_e32 v1, v8
	s_delay_alu instid0(VALU_DEP_1) | instskip(NEXT) | instid1(VALU_DEP_1)
	v_min_u32_e32 v1, 32, v1
	v_subrev_nc_u32_e32 v8, 29, v1
	s_delay_alu instid0(VALU_DEP_1) | instskip(NEXT) | instid1(VALU_DEP_1)
	v_lshlrev_b64_e32 v[8:9], v8, v[6:7]
	v_dual_sub_nc_u32 v1, 30, v1 :: v_dual_bitop2_b32 v8, 3, v8 bitop3:0x40
; %bb.9043:                             ;   in Loop: Header=BB6_7543 Depth=2
	s_or_b32 exec_lo, exec_lo, s41
	v_and_b32_e32 v6, 0x80000000, v33
	s_delay_alu instid0(VALU_DEP_1) | instskip(NEXT) | instid1(VALU_DEP_1)
	v_lshl_add_u32 v1, v1, 23, v6
	v_lshl_or_b32 v1, v8, 21, v1
                                        ; implicit-def: $vgpr8
	s_delay_alu instid0(VALU_DEP_1)
	v_add_nc_u32_e32 v1, 0x38000000, v1
.LBB6_9044:                             ;   in Loop: Header=BB6_7543 Depth=2
	s_and_not1_saveexec_b32 s14, s14
; %bb.9045:                             ;   in Loop: Header=BB6_7543 Depth=2
	v_cmp_lt_i64_e32 vcc_lo, -1, v[32:33]
	v_cndmask_b32_e32 v1, 0xff800000, v75, vcc_lo
	v_cmp_eq_u32_e32 vcc_lo, 0, v8
	s_delay_alu instid0(VALU_DEP_2)
	v_cndmask_b32_e32 v1, 0x7f800001, v1, vcc_lo
; %bb.9046:                             ;   in Loop: Header=BB6_7543 Depth=2
	s_or_b32 exec_lo, exec_lo, s14
.LBB6_9047:                             ;   in Loop: Header=BB6_7543 Depth=2
	s_delay_alu instid0(SALU_CYCLE_1)
	s_or_b32 exec_lo, exec_lo, s7
.LBB6_9048:                             ;   in Loop: Header=BB6_7543 Depth=2
	s_delay_alu instid0(SALU_CYCLE_1) | instskip(NEXT) | instid1(SALU_CYCLE_1)
	s_or_b32 exec_lo, exec_lo, s10
	s_mov_b32 s7, exec_lo
	v_cmpx_lt_u64_e64 s[16:17], v[26:27]
	s_cbranch_execz .LBB6_9058
; %bb.9049:                             ;   in Loop: Header=BB6_7543 Depth=2
	v_bfrev_b32_e32 v7, 1
	s_mov_b32 s10, exec_lo
	v_cmpx_ne_u32_e32 0x80, v0
	s_cbranch_execz .LBB6_9057
; %bb.9050:                             ;   in Loop: Header=BB6_7543 Depth=2
	v_and_b32_e32 v7, 0x7c000000, v27
	v_bfe_u32 v6, v27, 24, 2
	s_delay_alu instid0(VALU_DEP_2) | instskip(SKIP_1) | instid1(SALU_CYCLE_1)
	v_cmp_ne_u32_e32 vcc_lo, 0x7c000000, v7
                                        ; implicit-def: $vgpr7
	s_and_saveexec_b32 s14, vcc_lo
	s_xor_b32 s14, exec_lo, s14
	s_cbranch_execz .LBB6_9054
; %bb.9051:                             ;   in Loop: Header=BB6_7543 Depth=2
	v_bfe_u32 v7, v27, 26, 5
	s_mov_b32 s41, exec_lo
	s_delay_alu instid0(VALU_DEP_1)
	v_cmpx_eq_u32_e32 0, v7
; %bb.9052:                             ;   in Loop: Header=BB6_7543 Depth=2
	v_clz_i32_u32_e32 v6, v6
	s_delay_alu instid0(VALU_DEP_1) | instskip(NEXT) | instid1(VALU_DEP_1)
	v_min_u32_e32 v8, 32, v6
	v_subrev_nc_u32_e32 v6, 29, v8
	s_delay_alu instid0(VALU_DEP_1) | instskip(NEXT) | instid1(VALU_DEP_1)
	v_lshlrev_b64_e32 v[6:7], v6, v[0:1]
	v_dual_sub_nc_u32 v7, 30, v8 :: v_dual_bitop2_b32 v6, 3, v6 bitop3:0x40
; %bb.9053:                             ;   in Loop: Header=BB6_7543 Depth=2
	s_or_b32 exec_lo, exec_lo, s41
	v_and_b32_e32 v0, 0x80000000, v27
	s_delay_alu instid0(VALU_DEP_1) | instskip(NEXT) | instid1(VALU_DEP_1)
	v_lshl_add_u32 v0, v7, 23, v0
	v_lshl_or_b32 v0, v6, 21, v0
                                        ; implicit-def: $vgpr6
	s_delay_alu instid0(VALU_DEP_1)
	v_add_nc_u32_e32 v7, 0x38000000, v0
.LBB6_9054:                             ;   in Loop: Header=BB6_7543 Depth=2
	s_and_not1_saveexec_b32 s14, s14
; %bb.9055:                             ;   in Loop: Header=BB6_7543 Depth=2
	v_cmp_lt_i64_e32 vcc_lo, -1, v[26:27]
	v_cndmask_b32_e32 v0, 0xff800000, v75, vcc_lo
	v_cmp_eq_u32_e32 vcc_lo, 0, v6
	s_delay_alu instid0(VALU_DEP_2)
	v_cndmask_b32_e32 v7, 0x7f800001, v0, vcc_lo
; %bb.9056:                             ;   in Loop: Header=BB6_7543 Depth=2
	s_or_b32 exec_lo, exec_lo, s14
.LBB6_9057:                             ;   in Loop: Header=BB6_7543 Depth=2
	s_delay_alu instid0(SALU_CYCLE_1)
	s_or_b32 exec_lo, exec_lo, s10
.LBB6_9058:                             ;   in Loop: Header=BB6_7543 Depth=2
	s_delay_alu instid0(SALU_CYCLE_1) | instskip(NEXT) | instid1(VALU_DEP_1)
	s_or_b32 exec_lo, exec_lo, s7
	v_dual_max_num_f32 v0, v7, v7 :: v_dual_max_num_f32 v1, v1, v1
	s_delay_alu instid0(VALU_DEP_1)
	v_min_num_f32_e32 v1, v1, v0
.LBB6_9059:                             ;   in Loop: Header=BB6_7543 Depth=2
	s_delay_alu instid0(VALU_DEP_1) | instskip(SKIP_3) | instid1(VALU_DEP_2)
	v_and_b32_e32 v6, 0x7f800000, v1
	v_dual_mov_b32 v7, v25 :: v_dual_lshrrev_b32 v0, 24, v1
	v_and_b32_e32 v24, 0x7fffff, v1
                                        ; implicit-def: $vgpr26
	s_mov_b32 s7, exec_lo
	v_cmpx_ne_u64_e32 0x7f800000, v[6:7]
	s_xor_b32 s10, exec_lo, s7
	s_cbranch_execz .LBB6_9073
; %bb.9060:                             ;   in Loop: Header=BB6_7543 Depth=2
	v_and_b32_e32 v6, 0x7fffffff, v1
	v_mov_b32_e32 v7, v25
	v_and_b32_e32 v8, 0x80, v0
                                        ; implicit-def: $vgpr26
	s_mov_b32 s7, exec_lo
	s_delay_alu instid0(VALU_DEP_2)
	v_cmpx_gt_u64_e32 0x47600001, v[6:7]
	s_xor_b32 s14, exec_lo, s7
	s_cbranch_execz .LBB6_9070
; %bb.9061:                             ;   in Loop: Header=BB6_7543 Depth=2
	v_mov_b32_e32 v26, 0
	s_mov_b32 s41, exec_lo
	v_cmpx_ne_u32_e32 0, v1
	s_cbranch_execz .LBB6_9069
; %bb.9062:                             ;   in Loop: Header=BB6_7543 Depth=2
	v_bfe_u32 v9, v1, 23, 8
	v_or_b32_e32 v6, 0x800000, v24
	s_delay_alu instid0(VALU_DEP_2) | instskip(SKIP_1) | instid1(VALU_DEP_2)
	v_sub_nc_u32_e32 v0, 0x71, v9
	v_cmp_gt_u32_e32 vcc_lo, 0x72, v9
	v_cndmask_b32_e32 v0, 0, v0, vcc_lo
	v_cmp_eq_u32_e32 vcc_lo, 0, v9
	s_delay_alu instid0(VALU_DEP_2) | instskip(NEXT) | instid1(VALU_DEP_1)
	v_cndmask_b32_e64 v26, v0, 0x70, vcc_lo
	v_dual_cndmask_b32 v24, v6, v24, vcc_lo :: v_dual_add_nc_u32 v0, 21, v26
	v_add_nc_u32_e32 v7, 20, v26
	s_delay_alu instid0(VALU_DEP_2) | instskip(NEXT) | instid1(VALU_DEP_2)
	v_lshlrev_b64_e64 v[0:1], v0, -1
	v_lshlrev_b64_e64 v[6:7], v7, 1
	s_delay_alu instid0(VALU_DEP_2) | instskip(NEXT) | instid1(VALU_DEP_3)
	v_bfi_b32 v33, v1, 0, 0
	v_bfi_b32 v32, v0, 0, v24
	v_lshrrev_b64 v[0:1], v26, v[24:25]
	s_delay_alu instid0(VALU_DEP_2) | instskip(NEXT) | instid1(VALU_DEP_2)
	v_cmp_eq_u64_e64 s7, v[32:33], v[6:7]
	v_mov_b64_e32 v[6:7], v[0:1]
	s_and_saveexec_b32 s42, s7
; %bb.9063:                             ;   in Loop: Header=BB6_7543 Depth=2
	v_bfe_u32 v24, v0, 21, 1
	s_delay_alu instid0(VALU_DEP_1) | instskip(NEXT) | instid1(VALU_DEP_1)
	v_add_nc_u64_e32 v[6:7], v[0:1], v[24:25]
	v_add_nc_u64_e32 v[6:7], -1, v[6:7]
; %bb.9064:                             ;   in Loop: Header=BB6_7543 Depth=2
	s_or_b32 exec_lo, exec_lo, s42
	v_add_nc_u32_e32 v1, 0xffffff81, v9
	v_lshrrev_b32_e32 v7, 23, v0
	s_mov_b32 s7, exec_lo
	s_delay_alu instid0(VALU_DEP_2) | instskip(NEXT) | instid1(VALU_DEP_1)
	v_cndmask_b32_e64 v1, v1, 0xffffff82, vcc_lo
	v_add3_u32 v7, v26, v1, v7
	v_and_b32_e32 v1, 0x1fffff, v6
                                        ; implicit-def: $vgpr6
	s_delay_alu instid0(VALU_DEP_1) | instskip(NEXT) | instid1(VALU_DEP_1)
	v_dual_add_nc_u32 v9, 14, v7 :: v_dual_add_nc_u32 v24, v1, v0
                                        ; implicit-def: $vgpr0_vgpr1
	v_cmpx_ne_u32_e32 0, v9
	s_xor_b32 s7, exec_lo, s7
; %bb.9065:                             ;   in Loop: Header=BB6_7543 Depth=2
	s_delay_alu instid0(VALU_DEP_2) | instskip(SKIP_1) | instid1(VALU_DEP_1)
	v_cmp_lt_u64_e32 vcc_lo, 0xffffff, v[24:25]
	v_add_nc_u32_e32 v0, 15, v7
	v_cndmask_b32_e32 v6, v9, v0, vcc_lo
	v_cndmask_b32_e64 v0, 0, 1, vcc_lo
	s_delay_alu instid0(VALU_DEP_1)
	v_lshrrev_b64 v[0:1], v0, v[24:25]
; %bb.9066:                             ;   in Loop: Header=BB6_7543 Depth=2
	s_and_not1_saveexec_b32 s7, s7
; %bb.9067:                             ;   in Loop: Header=BB6_7543 Depth=2
	v_mov_b64_e32 v[0:1], v[24:25]
	v_bfe_u32 v6, v24, 23, 1
; %bb.9068:                             ;   in Loop: Header=BB6_7543 Depth=2
	s_or_b32 exec_lo, exec_lo, s7
	s_delay_alu instid0(VALU_DEP_2) | instskip(NEXT) | instid1(VALU_DEP_2)
	v_lshrrev_b64 v[0:1], 21, v[0:1]
	v_cmp_gt_i32_e32 vcc_lo, 32, v6
	v_min_i32_e32 v7, 31, v6
	v_cmp_eq_u32_e64 s7, 0, v6
	s_delay_alu instid0(VALU_DEP_2) | instskip(SKIP_1) | instid1(VALU_DEP_2)
	v_dual_cndmask_b32 v1, 0, v1, vcc_lo :: v_dual_lshlrev_b32 v7, 2, v7
	v_cndmask_b32_e32 v0, 3, v0, vcc_lo
	v_and_b32_e32 v7, 0xfc, v7
	s_delay_alu instid0(VALU_DEP_2) | instskip(NEXT) | instid1(VALU_DEP_2)
	v_cmp_eq_u64_e32 vcc_lo, 0, v[0:1]
	v_and_or_b32 v0, v0, 3, v7
	s_and_b32 s7, s7, vcc_lo
	s_delay_alu instid0(VALU_DEP_1) | instid1(SALU_CYCLE_1)
	v_cndmask_b32_e64 v0, v0, 0, s7
	s_delay_alu instid0(VALU_DEP_1)
	v_or_b32_e32 v26, v0, v8
.LBB6_9069:                             ;   in Loop: Header=BB6_7543 Depth=2
	s_or_b32 exec_lo, exec_lo, s41
                                        ; implicit-def: $vgpr8
.LBB6_9070:                             ;   in Loop: Header=BB6_7543 Depth=2
	s_and_not1_saveexec_b32 s7, s14
; %bb.9071:                             ;   in Loop: Header=BB6_7543 Depth=2
	v_or_b32_e32 v26, 0x7b, v8
; %bb.9072:                             ;   in Loop: Header=BB6_7543 Depth=2
	s_or_b32 exec_lo, exec_lo, s7
                                        ; implicit-def: $vgpr1
                                        ; implicit-def: $vgpr0
.LBB6_9073:                             ;   in Loop: Header=BB6_7543 Depth=2
	s_and_not1_saveexec_b32 s7, s10
	s_cbranch_execz .LBB6_9079
; %bb.9074:                             ;   in Loop: Header=BB6_7543 Depth=2
	s_mov_b32 s10, exec_lo
                                        ; implicit-def: $vgpr26
	v_cmpx_ne_u64_e32 0, v[24:25]
	s_xor_b32 s10, exec_lo, s10
; %bb.9075:                             ;   in Loop: Header=BB6_7543 Depth=2
	v_or_b32_e32 v26, 0x7f, v0
                                        ; implicit-def: $vgpr1
; %bb.9076:                             ;   in Loop: Header=BB6_7543 Depth=2
	s_and_not1_saveexec_b32 s10, s10
; %bb.9077:                             ;   in Loop: Header=BB6_7543 Depth=2
	v_cmp_lt_i32_e32 vcc_lo, -1, v1
	v_cndmask_b32_e32 v26, 0xfc, v41, vcc_lo
; %bb.9078:                             ;   in Loop: Header=BB6_7543 Depth=2
	s_or_b32 exec_lo, exec_lo, s10
.LBB6_9079:                             ;   in Loop: Header=BB6_7543 Depth=2
	s_delay_alu instid0(SALU_CYCLE_1)
	s_or_b32 exec_lo, exec_lo, s7
	v_and_b32_e32 v6, 0xff, v34
	v_bfe_i32 v1, v34, 0, 8
	v_bfe_i32 v0, v28, 0, 8
	s_and_not1_b32 vcc_lo, exec_lo, s13
	s_mov_b32 s10, -1
	v_cmp_ne_u16_e64 s7, 0, v6
                                        ; implicit-def: $vgpr6
	s_cbranch_vccnz .LBB6_9101
; %bb.9080:                             ;   in Loop: Header=BB6_7543 Depth=2
	v_dual_mov_b32 v7, 0 :: v_dual_mov_b32 v6, 0
	s_and_saveexec_b32 s10, s7
	s_cbranch_execz .LBB6_9090
; %bb.9081:                             ;   in Loop: Header=BB6_7543 Depth=2
	v_bfrev_b32_e32 v6, 1
	s_mov_b32 s14, exec_lo
	v_cmpx_ne_u16_e32 0xff80, v1
	s_cbranch_execz .LBB6_9089
; %bb.9082:                             ;   in Loop: Header=BB6_7543 Depth=2
	v_and_b32_e32 v6, 0x7c, v34
	v_and_b32_e32 v8, 3, v34
	s_delay_alu instid0(VALU_DEP_2) | instskip(SKIP_1) | instid1(SALU_CYCLE_1)
	v_cmp_ne_u32_e32 vcc_lo, 0x7c, v6
                                        ; implicit-def: $vgpr6
	s_and_saveexec_b32 s41, vcc_lo
	s_xor_b32 s41, exec_lo, s41
	s_cbranch_execz .LBB6_9086
; %bb.9083:                             ;   in Loop: Header=BB6_7543 Depth=2
	v_bfe_u32 v6, v34, 2, 5
	s_mov_b32 s42, exec_lo
	s_delay_alu instid0(VALU_DEP_1)
	v_cmpx_eq_u32_e32 0, v6
; %bb.9084:                             ;   in Loop: Header=BB6_7543 Depth=2
	v_clz_i32_u32_e32 v6, v8
	s_delay_alu instid0(VALU_DEP_1) | instskip(NEXT) | instid1(VALU_DEP_1)
	v_min_u32_e32 v6, 32, v6
	v_subrev_nc_u32_e32 v8, 29, v6
	s_delay_alu instid0(VALU_DEP_1) | instskip(NEXT) | instid1(VALU_DEP_1)
	v_lshlrev_b64_e32 v[8:9], v8, v[34:35]
	v_dual_sub_nc_u32 v6, 30, v6 :: v_dual_bitop2_b32 v8, 3, v8 bitop3:0x40
; %bb.9085:                             ;   in Loop: Header=BB6_7543 Depth=2
	s_or_b32 exec_lo, exec_lo, s42
	v_lshlrev_b32_e32 v9, 24, v34
	s_delay_alu instid0(VALU_DEP_1) | instskip(NEXT) | instid1(VALU_DEP_1)
	v_and_b32_e32 v9, 0x80000000, v9
	v_lshl_add_u32 v6, v6, 23, v9
	s_delay_alu instid0(VALU_DEP_1) | instskip(NEXT) | instid1(VALU_DEP_1)
	v_lshl_or_b32 v6, v8, 21, v6
                                        ; implicit-def: $vgpr8
	v_add_nc_u32_e32 v6, 0x38000000, v6
.LBB6_9086:                             ;   in Loop: Header=BB6_7543 Depth=2
	s_and_not1_saveexec_b32 s41, s41
; %bb.9087:                             ;   in Loop: Header=BB6_7543 Depth=2
	v_cmp_lt_i16_e32 vcc_lo, -1, v1
	v_cndmask_b32_e32 v6, 0xff800000, v75, vcc_lo
	v_cmp_eq_u32_e32 vcc_lo, 0, v8
	s_delay_alu instid0(VALU_DEP_2)
	v_cndmask_b32_e32 v6, 0x7f800001, v6, vcc_lo
; %bb.9088:                             ;   in Loop: Header=BB6_7543 Depth=2
	s_or_b32 exec_lo, exec_lo, s41
.LBB6_9089:                             ;   in Loop: Header=BB6_7543 Depth=2
	s_delay_alu instid0(SALU_CYCLE_1)
	s_or_b32 exec_lo, exec_lo, s14
.LBB6_9090:                             ;   in Loop: Header=BB6_7543 Depth=2
	s_delay_alu instid0(SALU_CYCLE_1) | instskip(NEXT) | instid1(SALU_CYCLE_1)
	s_or_b32 exec_lo, exec_lo, s10
	s_mov_b32 s10, exec_lo
	v_cmpx_ne_u16_e32 0, v0
	s_cbranch_execz .LBB6_9100
; %bb.9091:                             ;   in Loop: Header=BB6_7543 Depth=2
	v_bfrev_b32_e32 v7, 1
	s_mov_b32 s14, exec_lo
	v_cmpx_ne_u16_e32 0xff80, v0
	s_cbranch_execz .LBB6_9099
; %bb.9092:                             ;   in Loop: Header=BB6_7543 Depth=2
	v_and_b32_e32 v7, 0x7c, v28
	v_and_b32_e32 v8, 3, v28
	s_delay_alu instid0(VALU_DEP_2) | instskip(SKIP_1) | instid1(SALU_CYCLE_1)
	v_cmp_ne_u32_e32 vcc_lo, 0x7c, v7
                                        ; implicit-def: $vgpr7
	s_and_saveexec_b32 s41, vcc_lo
	s_xor_b32 s41, exec_lo, s41
	s_cbranch_execz .LBB6_9096
; %bb.9093:                             ;   in Loop: Header=BB6_7543 Depth=2
	v_bfe_u32 v7, v28, 2, 5
	s_mov_b32 s42, exec_lo
	s_delay_alu instid0(VALU_DEP_1)
	v_cmpx_eq_u32_e32 0, v7
; %bb.9094:                             ;   in Loop: Header=BB6_7543 Depth=2
	v_clz_i32_u32_e32 v7, v8
	s_delay_alu instid0(VALU_DEP_1) | instskip(NEXT) | instid1(VALU_DEP_1)
	v_min_u32_e32 v7, 32, v7
	v_subrev_nc_u32_e32 v8, 29, v7
	s_delay_alu instid0(VALU_DEP_1) | instskip(NEXT) | instid1(VALU_DEP_1)
	v_lshlrev_b64_e32 v[8:9], v8, v[28:29]
	v_dual_sub_nc_u32 v7, 30, v7 :: v_dual_bitop2_b32 v8, 3, v8 bitop3:0x40
; %bb.9095:                             ;   in Loop: Header=BB6_7543 Depth=2
	s_or_b32 exec_lo, exec_lo, s42
	v_lshlrev_b32_e32 v9, 24, v28
	s_delay_alu instid0(VALU_DEP_1) | instskip(NEXT) | instid1(VALU_DEP_1)
	v_and_b32_e32 v9, 0x80000000, v9
	v_lshl_add_u32 v7, v7, 23, v9
	s_delay_alu instid0(VALU_DEP_1) | instskip(NEXT) | instid1(VALU_DEP_1)
	v_lshl_or_b32 v7, v8, 21, v7
                                        ; implicit-def: $vgpr8
	v_add_nc_u32_e32 v7, 0x38000000, v7
.LBB6_9096:                             ;   in Loop: Header=BB6_7543 Depth=2
	s_and_not1_saveexec_b32 s41, s41
; %bb.9097:                             ;   in Loop: Header=BB6_7543 Depth=2
	v_cmp_lt_i16_e32 vcc_lo, -1, v0
	v_cndmask_b32_e32 v7, 0xff800000, v75, vcc_lo
	v_cmp_eq_u32_e32 vcc_lo, 0, v8
	s_delay_alu instid0(VALU_DEP_2)
	v_cndmask_b32_e32 v7, 0x7f800001, v7, vcc_lo
; %bb.9098:                             ;   in Loop: Header=BB6_7543 Depth=2
	s_or_b32 exec_lo, exec_lo, s41
.LBB6_9099:                             ;   in Loop: Header=BB6_7543 Depth=2
	s_delay_alu instid0(SALU_CYCLE_1)
	s_or_b32 exec_lo, exec_lo, s14
.LBB6_9100:                             ;   in Loop: Header=BB6_7543 Depth=2
	s_delay_alu instid0(SALU_CYCLE_1) | instskip(NEXT) | instid1(VALU_DEP_1)
	s_or_b32 exec_lo, exec_lo, s10
	v_dual_max_num_f32 v7, v7, v7 :: v_dual_max_num_f32 v6, v6, v6
	s_mov_b32 s10, 0
	s_delay_alu instid0(VALU_DEP_1)
	v_max_num_f32_e32 v6, v6, v7
.LBB6_9101:                             ;   in Loop: Header=BB6_7543 Depth=2
	s_and_b32 vcc_lo, exec_lo, s10
	s_cbranch_vccz .LBB6_9123
; %bb.9102:                             ;   in Loop: Header=BB6_7543 Depth=2
	v_dual_mov_b32 v7, 0 :: v_dual_mov_b32 v6, 0
	s_and_saveexec_b32 s10, s7
	s_cbranch_execz .LBB6_9112
; %bb.9103:                             ;   in Loop: Header=BB6_7543 Depth=2
	v_bfrev_b32_e32 v6, 1
	s_mov_b32 s7, exec_lo
	v_cmpx_ne_u16_e32 0xff80, v1
	s_cbranch_execz .LBB6_9111
; %bb.9104:                             ;   in Loop: Header=BB6_7543 Depth=2
	v_and_b32_e32 v6, 0x7c, v34
	v_and_b32_e32 v8, 3, v34
	s_delay_alu instid0(VALU_DEP_2) | instskip(SKIP_1) | instid1(SALU_CYCLE_1)
	v_cmp_ne_u32_e32 vcc_lo, 0x7c, v6
                                        ; implicit-def: $vgpr6
	s_and_saveexec_b32 s14, vcc_lo
	s_xor_b32 s14, exec_lo, s14
	s_cbranch_execz .LBB6_9108
; %bb.9105:                             ;   in Loop: Header=BB6_7543 Depth=2
	v_bfe_u32 v1, v34, 2, 5
	s_mov_b32 s41, exec_lo
	s_delay_alu instid0(VALU_DEP_1)
	v_cmpx_eq_u32_e32 0, v1
; %bb.9106:                             ;   in Loop: Header=BB6_7543 Depth=2
	v_clz_i32_u32_e32 v1, v8
	s_delay_alu instid0(VALU_DEP_1) | instskip(NEXT) | instid1(VALU_DEP_1)
	v_min_u32_e32 v1, 32, v1
	v_subrev_nc_u32_e32 v6, 29, v1
	s_delay_alu instid0(VALU_DEP_1) | instskip(NEXT) | instid1(VALU_DEP_1)
	v_lshlrev_b64_e32 v[8:9], v6, v[34:35]
	v_dual_sub_nc_u32 v1, 30, v1 :: v_dual_bitop2_b32 v8, 3, v8 bitop3:0x40
; %bb.9107:                             ;   in Loop: Header=BB6_7543 Depth=2
	s_or_b32 exec_lo, exec_lo, s41
	v_lshlrev_b32_e32 v6, 24, v34
	s_delay_alu instid0(VALU_DEP_1) | instskip(NEXT) | instid1(VALU_DEP_1)
	v_and_b32_e32 v6, 0x80000000, v6
	v_lshl_add_u32 v1, v1, 23, v6
	s_delay_alu instid0(VALU_DEP_1) | instskip(NEXT) | instid1(VALU_DEP_1)
	v_lshl_or_b32 v1, v8, 21, v1
                                        ; implicit-def: $vgpr8
	v_add_nc_u32_e32 v6, 0x38000000, v1
                                        ; implicit-def: $vgpr1
.LBB6_9108:                             ;   in Loop: Header=BB6_7543 Depth=2
	s_and_not1_saveexec_b32 s14, s14
; %bb.9109:                             ;   in Loop: Header=BB6_7543 Depth=2
	v_cmp_lt_i16_e32 vcc_lo, -1, v1
	v_cndmask_b32_e32 v1, 0xff800000, v75, vcc_lo
	v_cmp_eq_u32_e32 vcc_lo, 0, v8
	s_delay_alu instid0(VALU_DEP_2)
	v_cndmask_b32_e32 v6, 0x7f800001, v1, vcc_lo
; %bb.9110:                             ;   in Loop: Header=BB6_7543 Depth=2
	s_or_b32 exec_lo, exec_lo, s14
.LBB6_9111:                             ;   in Loop: Header=BB6_7543 Depth=2
	s_delay_alu instid0(SALU_CYCLE_1)
	s_or_b32 exec_lo, exec_lo, s7
.LBB6_9112:                             ;   in Loop: Header=BB6_7543 Depth=2
	s_delay_alu instid0(SALU_CYCLE_1) | instskip(NEXT) | instid1(SALU_CYCLE_1)
	s_or_b32 exec_lo, exec_lo, s10
	s_mov_b32 s7, exec_lo
	v_cmpx_ne_u16_e32 0, v0
	s_cbranch_execz .LBB6_9122
; %bb.9113:                             ;   in Loop: Header=BB6_7543 Depth=2
	v_bfrev_b32_e32 v7, 1
	s_mov_b32 s10, exec_lo
	v_cmpx_ne_u16_e32 0xff80, v0
	s_cbranch_execz .LBB6_9121
; %bb.9114:                             ;   in Loop: Header=BB6_7543 Depth=2
	v_and_b32_e32 v7, 0x7c, v28
	v_and_b32_e32 v1, 3, v28
	s_delay_alu instid0(VALU_DEP_2) | instskip(SKIP_1) | instid1(SALU_CYCLE_1)
	v_cmp_ne_u32_e32 vcc_lo, 0x7c, v7
                                        ; implicit-def: $vgpr7
	s_and_saveexec_b32 s14, vcc_lo
	s_xor_b32 s14, exec_lo, s14
	s_cbranch_execz .LBB6_9118
; %bb.9115:                             ;   in Loop: Header=BB6_7543 Depth=2
	v_bfe_u32 v0, v28, 2, 5
	s_mov_b32 s41, exec_lo
	s_delay_alu instid0(VALU_DEP_1)
	v_cmpx_eq_u32_e32 0, v0
; %bb.9116:                             ;   in Loop: Header=BB6_7543 Depth=2
	v_clz_i32_u32_e32 v0, v1
	s_delay_alu instid0(VALU_DEP_1) | instskip(NEXT) | instid1(VALU_DEP_1)
	v_min_u32_e32 v0, 32, v0
	v_subrev_nc_u32_e32 v1, 29, v0
	v_sub_nc_u32_e32 v0, 30, v0
	s_delay_alu instid0(VALU_DEP_2) | instskip(NEXT) | instid1(VALU_DEP_1)
	v_lshlrev_b64_e32 v[8:9], v1, v[28:29]
	v_and_b32_e32 v1, 3, v8
; %bb.9117:                             ;   in Loop: Header=BB6_7543 Depth=2
	s_or_b32 exec_lo, exec_lo, s41
	v_lshlrev_b32_e32 v7, 24, v28
	s_delay_alu instid0(VALU_DEP_1) | instskip(NEXT) | instid1(VALU_DEP_1)
	v_and_b32_e32 v7, 0x80000000, v7
	v_lshl_add_u32 v0, v0, 23, v7
	s_delay_alu instid0(VALU_DEP_1) | instskip(NEXT) | instid1(VALU_DEP_1)
	v_lshl_or_b32 v0, v1, 21, v0
                                        ; implicit-def: $vgpr1
	v_add_nc_u32_e32 v7, 0x38000000, v0
                                        ; implicit-def: $vgpr0
.LBB6_9118:                             ;   in Loop: Header=BB6_7543 Depth=2
	s_and_not1_saveexec_b32 s14, s14
; %bb.9119:                             ;   in Loop: Header=BB6_7543 Depth=2
	v_cmp_lt_i16_e32 vcc_lo, -1, v0
	v_cndmask_b32_e32 v0, 0xff800000, v75, vcc_lo
	v_cmp_eq_u32_e32 vcc_lo, 0, v1
	s_delay_alu instid0(VALU_DEP_2)
	v_cndmask_b32_e32 v7, 0x7f800001, v0, vcc_lo
; %bb.9120:                             ;   in Loop: Header=BB6_7543 Depth=2
	s_or_b32 exec_lo, exec_lo, s14
.LBB6_9121:                             ;   in Loop: Header=BB6_7543 Depth=2
	s_delay_alu instid0(SALU_CYCLE_1)
	s_or_b32 exec_lo, exec_lo, s10
.LBB6_9122:                             ;   in Loop: Header=BB6_7543 Depth=2
	s_delay_alu instid0(SALU_CYCLE_1) | instskip(NEXT) | instid1(VALU_DEP_1)
	s_or_b32 exec_lo, exec_lo, s7
	v_dual_max_num_f32 v0, v7, v7 :: v_dual_max_num_f32 v1, v6, v6
	s_delay_alu instid0(VALU_DEP_1)
	v_min_num_f32_e32 v6, v1, v0
.LBB6_9123:                             ;   in Loop: Header=BB6_7543 Depth=2
	s_delay_alu instid0(VALU_DEP_1) | instskip(SKIP_2) | instid1(VALU_DEP_2)
	v_and_b32_e32 v0, 0x7f800000, v6
	v_mov_b32_e32 v1, v25
	v_and_b32_e32 v24, 0x7fffff, v6
                                        ; implicit-def: $vgpr27
	v_cmp_ne_u64_e32 vcc_lo, 0x7f800000, v[0:1]
	v_lshrrev_b32_e32 v0, 24, v6
	s_and_saveexec_b32 s7, vcc_lo
	s_delay_alu instid0(SALU_CYCLE_1)
	s_xor_b32 s10, exec_lo, s7
	s_cbranch_execz .LBB6_9137
; %bb.9124:                             ;   in Loop: Header=BB6_7543 Depth=2
	v_and_b32_e32 v8, 0x7fffffff, v6
	v_mov_b32_e32 v9, v25
                                        ; implicit-def: $vgpr27
	s_delay_alu instid0(VALU_DEP_1) | instskip(SKIP_2) | instid1(SALU_CYCLE_1)
	v_cmp_gt_u64_e32 vcc_lo, 0x47600001, v[8:9]
	v_and_b32_e32 v8, 0x80, v0
	s_and_saveexec_b32 s7, vcc_lo
	s_xor_b32 s14, exec_lo, s7
	s_cbranch_execz .LBB6_9134
; %bb.9125:                             ;   in Loop: Header=BB6_7543 Depth=2
	v_mov_b32_e32 v27, 0
	s_mov_b32 s41, exec_lo
	v_cmpx_ne_u32_e32 0, v6
	s_cbranch_execz .LBB6_9133
; %bb.9126:                             ;   in Loop: Header=BB6_7543 Depth=2
	v_bfe_u32 v9, v6, 23, 8
	v_or_b32_e32 v6, 0x800000, v24
	s_delay_alu instid0(VALU_DEP_2) | instskip(SKIP_1) | instid1(VALU_DEP_2)
	v_sub_nc_u32_e32 v0, 0x71, v9
	v_cmp_gt_u32_e32 vcc_lo, 0x72, v9
	v_cndmask_b32_e32 v0, 0, v0, vcc_lo
	v_cmp_eq_u32_e32 vcc_lo, 0, v9
	s_delay_alu instid0(VALU_DEP_2) | instskip(NEXT) | instid1(VALU_DEP_1)
	v_cndmask_b32_e64 v27, v0, 0x70, vcc_lo
	v_dual_cndmask_b32 v24, v6, v24, vcc_lo :: v_dual_add_nc_u32 v0, 21, v27
	v_add_nc_u32_e32 v7, 20, v27
	s_delay_alu instid0(VALU_DEP_2) | instskip(NEXT) | instid1(VALU_DEP_2)
	v_lshlrev_b64_e64 v[0:1], v0, -1
	v_lshlrev_b64_e64 v[6:7], v7, 1
	s_delay_alu instid0(VALU_DEP_2) | instskip(NEXT) | instid1(VALU_DEP_3)
	v_bfi_b32 v33, v1, 0, 0
	v_bfi_b32 v32, v0, 0, v24
	v_lshrrev_b64 v[0:1], v27, v[24:25]
	s_delay_alu instid0(VALU_DEP_2) | instskip(NEXT) | instid1(VALU_DEP_2)
	v_cmp_eq_u64_e64 s7, v[32:33], v[6:7]
	v_mov_b64_e32 v[6:7], v[0:1]
	s_and_saveexec_b32 s42, s7
; %bb.9127:                             ;   in Loop: Header=BB6_7543 Depth=2
	v_bfe_u32 v24, v0, 21, 1
	s_delay_alu instid0(VALU_DEP_1) | instskip(NEXT) | instid1(VALU_DEP_1)
	v_add_nc_u64_e32 v[6:7], v[0:1], v[24:25]
	v_add_nc_u64_e32 v[6:7], -1, v[6:7]
; %bb.9128:                             ;   in Loop: Header=BB6_7543 Depth=2
	s_or_b32 exec_lo, exec_lo, s42
	v_add_nc_u32_e32 v1, 0xffffff81, v9
	v_lshrrev_b32_e32 v7, 23, v0
	s_mov_b32 s7, exec_lo
	s_delay_alu instid0(VALU_DEP_2) | instskip(NEXT) | instid1(VALU_DEP_1)
	v_cndmask_b32_e64 v1, v1, 0xffffff82, vcc_lo
	v_add3_u32 v7, v27, v1, v7
	v_and_b32_e32 v1, 0x1fffff, v6
                                        ; implicit-def: $vgpr6
	s_delay_alu instid0(VALU_DEP_1) | instskip(NEXT) | instid1(VALU_DEP_1)
	v_dual_add_nc_u32 v9, 14, v7 :: v_dual_add_nc_u32 v24, v1, v0
                                        ; implicit-def: $vgpr0_vgpr1
	v_cmpx_ne_u32_e32 0, v9
	s_xor_b32 s7, exec_lo, s7
; %bb.9129:                             ;   in Loop: Header=BB6_7543 Depth=2
	s_delay_alu instid0(VALU_DEP_2) | instskip(SKIP_1) | instid1(VALU_DEP_1)
	v_cmp_lt_u64_e32 vcc_lo, 0xffffff, v[24:25]
	v_add_nc_u32_e32 v0, 15, v7
	v_cndmask_b32_e32 v6, v9, v0, vcc_lo
	v_cndmask_b32_e64 v0, 0, 1, vcc_lo
	s_delay_alu instid0(VALU_DEP_1)
	v_lshrrev_b64 v[0:1], v0, v[24:25]
; %bb.9130:                             ;   in Loop: Header=BB6_7543 Depth=2
	s_and_not1_saveexec_b32 s7, s7
; %bb.9131:                             ;   in Loop: Header=BB6_7543 Depth=2
	v_mov_b64_e32 v[0:1], v[24:25]
	v_bfe_u32 v6, v24, 23, 1
; %bb.9132:                             ;   in Loop: Header=BB6_7543 Depth=2
	s_or_b32 exec_lo, exec_lo, s7
	s_delay_alu instid0(VALU_DEP_2) | instskip(NEXT) | instid1(VALU_DEP_2)
	v_lshrrev_b64 v[0:1], 21, v[0:1]
	v_cmp_gt_i32_e32 vcc_lo, 32, v6
	v_min_i32_e32 v7, 31, v6
	v_cmp_eq_u32_e64 s7, 0, v6
	s_delay_alu instid0(VALU_DEP_2) | instskip(SKIP_1) | instid1(VALU_DEP_2)
	v_dual_cndmask_b32 v1, 0, v1, vcc_lo :: v_dual_lshlrev_b32 v7, 2, v7
	v_cndmask_b32_e32 v0, 3, v0, vcc_lo
	v_and_b32_e32 v7, 0xfc, v7
	s_delay_alu instid0(VALU_DEP_2) | instskip(NEXT) | instid1(VALU_DEP_2)
	v_cmp_eq_u64_e32 vcc_lo, 0, v[0:1]
	v_and_or_b32 v0, v0, 3, v7
	s_and_b32 s7, s7, vcc_lo
	s_delay_alu instid0(VALU_DEP_1) | instid1(SALU_CYCLE_1)
	v_cndmask_b32_e64 v0, v0, 0, s7
	s_delay_alu instid0(VALU_DEP_1)
	v_or_b32_e32 v27, v0, v8
.LBB6_9133:                             ;   in Loop: Header=BB6_7543 Depth=2
	s_or_b32 exec_lo, exec_lo, s41
                                        ; implicit-def: $vgpr8
.LBB6_9134:                             ;   in Loop: Header=BB6_7543 Depth=2
	s_and_not1_saveexec_b32 s7, s14
; %bb.9135:                             ;   in Loop: Header=BB6_7543 Depth=2
	v_or_b32_e32 v27, 0x7b, v8
; %bb.9136:                             ;   in Loop: Header=BB6_7543 Depth=2
	s_or_b32 exec_lo, exec_lo, s7
                                        ; implicit-def: $vgpr6
                                        ; implicit-def: $vgpr0
.LBB6_9137:                             ;   in Loop: Header=BB6_7543 Depth=2
	s_and_not1_saveexec_b32 s7, s10
	s_cbranch_execz .LBB6_9143
; %bb.9138:                             ;   in Loop: Header=BB6_7543 Depth=2
	s_mov_b32 s10, exec_lo
                                        ; implicit-def: $vgpr27
	v_cmpx_ne_u64_e32 0, v[24:25]
	s_xor_b32 s10, exec_lo, s10
; %bb.9139:                             ;   in Loop: Header=BB6_7543 Depth=2
	v_or_b32_e32 v27, 0x7f, v0
                                        ; implicit-def: $vgpr6
; %bb.9140:                             ;   in Loop: Header=BB6_7543 Depth=2
	s_and_not1_saveexec_b32 s10, s10
; %bb.9141:                             ;   in Loop: Header=BB6_7543 Depth=2
	v_cmp_lt_i32_e32 vcc_lo, -1, v6
	v_cndmask_b32_e32 v27, 0xfc, v41, vcc_lo
; %bb.9142:                             ;   in Loop: Header=BB6_7543 Depth=2
	s_or_b32 exec_lo, exec_lo, s10
.LBB6_9143:                             ;   in Loop: Header=BB6_7543 Depth=2
	s_delay_alu instid0(SALU_CYCLE_1) | instskip(SKIP_4) | instid1(VALU_DEP_2)
	s_or_b32 exec_lo, exec_lo, s7
	v_lshrrev_b16 v24, 8, v34
	v_lshrrev_b16 v0, 8, v28
	s_and_not1_b32 vcc_lo, exec_lo, s13
	s_mov_b32 s10, -1
                                        ; implicit-def: $vgpr1
	v_and_b32_e32 v6, 0xffff, v24
	v_cmp_ne_u16_e64 s7, 0, v24
	s_cbranch_vccnz .LBB6_9165
; %bb.9144:                             ;   in Loop: Header=BB6_7543 Depth=2
	v_dual_mov_b32 v1, 0 :: v_dual_mov_b32 v7, 0
	s_and_saveexec_b32 s10, s7
	s_cbranch_execz .LBB6_9154
; %bb.9145:                             ;   in Loop: Header=BB6_7543 Depth=2
	v_bfrev_b32_e32 v7, 1
	s_mov_b32 s14, exec_lo
	v_cmpx_ne_u16_e32 0x80, v24
	s_cbranch_execz .LBB6_9153
; %bb.9146:                             ;   in Loop: Header=BB6_7543 Depth=2
	v_and_b32_e32 v7, 0x7c, v6
	v_and_b32_e32 v8, 3, v6
	s_delay_alu instid0(VALU_DEP_2) | instskip(SKIP_1) | instid1(SALU_CYCLE_1)
	v_cmp_ne_u32_e32 vcc_lo, 0x7c, v7
                                        ; implicit-def: $vgpr7
	s_and_saveexec_b32 s41, vcc_lo
	s_xor_b32 s41, exec_lo, s41
	s_cbranch_execz .LBB6_9150
; %bb.9147:                             ;   in Loop: Header=BB6_7543 Depth=2
	v_bfe_u32 v7, v6, 2, 5
	s_mov_b32 s42, exec_lo
	s_delay_alu instid0(VALU_DEP_1)
	v_cmpx_eq_u32_e32 0, v7
; %bb.9148:                             ;   in Loop: Header=BB6_7543 Depth=2
	v_clz_i32_u32_e32 v7, v8
	s_delay_alu instid0(VALU_DEP_1) | instskip(NEXT) | instid1(VALU_DEP_1)
	v_min_u32_e32 v7, 32, v7
	v_subrev_nc_u32_e32 v8, 29, v7
	s_delay_alu instid0(VALU_DEP_1) | instskip(NEXT) | instid1(VALU_DEP_1)
	v_lshlrev_b64_e32 v[8:9], v8, v[24:25]
	v_dual_sub_nc_u32 v7, 30, v7 :: v_dual_bitop2_b32 v8, 3, v8 bitop3:0x40
; %bb.9149:                             ;   in Loop: Header=BB6_7543 Depth=2
	s_or_b32 exec_lo, exec_lo, s42
	v_lshlrev_b32_e32 v9, 16, v34
	s_delay_alu instid0(VALU_DEP_1) | instskip(NEXT) | instid1(VALU_DEP_1)
	v_and_b32_e32 v9, 0x80000000, v9
	v_lshl_add_u32 v7, v7, 23, v9
	s_delay_alu instid0(VALU_DEP_1) | instskip(NEXT) | instid1(VALU_DEP_1)
	v_lshl_or_b32 v7, v8, 21, v7
                                        ; implicit-def: $vgpr8
	v_add_nc_u32_e32 v7, 0x38000000, v7
.LBB6_9150:                             ;   in Loop: Header=BB6_7543 Depth=2
	s_and_not1_saveexec_b32 s41, s41
; %bb.9151:                             ;   in Loop: Header=BB6_7543 Depth=2
	v_cmp_lt_i16_e32 vcc_lo, -1, v34
	v_cndmask_b32_e32 v7, 0xff800000, v75, vcc_lo
	v_cmp_eq_u32_e32 vcc_lo, 0, v8
	s_delay_alu instid0(VALU_DEP_2)
	v_cndmask_b32_e32 v7, 0x7f800001, v7, vcc_lo
; %bb.9152:                             ;   in Loop: Header=BB6_7543 Depth=2
	s_or_b32 exec_lo, exec_lo, s41
.LBB6_9153:                             ;   in Loop: Header=BB6_7543 Depth=2
	s_delay_alu instid0(SALU_CYCLE_1)
	s_or_b32 exec_lo, exec_lo, s14
.LBB6_9154:                             ;   in Loop: Header=BB6_7543 Depth=2
	s_delay_alu instid0(SALU_CYCLE_1) | instskip(NEXT) | instid1(SALU_CYCLE_1)
	s_or_b32 exec_lo, exec_lo, s10
	s_mov_b32 s10, exec_lo
	v_cmpx_ne_u16_e32 0, v0
	s_cbranch_execz .LBB6_9164
; %bb.9155:                             ;   in Loop: Header=BB6_7543 Depth=2
	v_bfrev_b32_e32 v1, 1
	s_mov_b32 s14, exec_lo
	v_cmpx_ne_u16_e32 0x80, v0
	s_cbranch_execz .LBB6_9163
; %bb.9156:                             ;   in Loop: Header=BB6_7543 Depth=2
	v_and_b32_e32 v9, 0xffff, v0
	s_delay_alu instid0(VALU_DEP_1) | instskip(SKIP_1) | instid1(VALU_DEP_2)
	v_and_b32_e32 v1, 0x7c, v9
	v_and_b32_e32 v8, 3, v9
	v_cmp_ne_u32_e32 vcc_lo, 0x7c, v1
                                        ; implicit-def: $vgpr1
	s_and_saveexec_b32 s41, vcc_lo
	s_delay_alu instid0(SALU_CYCLE_1)
	s_xor_b32 s41, exec_lo, s41
	s_cbranch_execz .LBB6_9160
; %bb.9157:                             ;   in Loop: Header=BB6_7543 Depth=2
	v_bfe_u32 v1, v9, 2, 5
	s_mov_b32 s42, exec_lo
	s_delay_alu instid0(VALU_DEP_1)
	v_cmpx_eq_u32_e32 0, v1
	s_cbranch_execz .LBB6_9159
; %bb.9158:                             ;   in Loop: Header=BB6_7543 Depth=2
	v_clz_i32_u32_e32 v1, v8
	s_delay_alu instid0(VALU_DEP_1) | instskip(SKIP_1) | instid1(VALU_DEP_2)
	v_min_u32_e32 v32, 32, v1
	v_mov_b32_e32 v1, v25
	v_subrev_nc_u32_e32 v8, 29, v32
	s_delay_alu instid0(VALU_DEP_1) | instskip(SKIP_1) | instid1(VALU_DEP_2)
	v_lshlrev_b64_e32 v[8:9], v8, v[0:1]
	v_sub_nc_u32_e32 v1, 30, v32
	v_and_b32_e32 v8, 3, v8
.LBB6_9159:                             ;   in Loop: Header=BB6_7543 Depth=2
	s_or_b32 exec_lo, exec_lo, s42
	v_lshlrev_b32_e32 v9, 16, v28
	s_delay_alu instid0(VALU_DEP_1) | instskip(NEXT) | instid1(VALU_DEP_1)
	v_and_b32_e32 v9, 0x80000000, v9
	v_lshl_add_u32 v1, v1, 23, v9
	s_delay_alu instid0(VALU_DEP_1) | instskip(NEXT) | instid1(VALU_DEP_1)
	v_lshl_or_b32 v1, v8, 21, v1
                                        ; implicit-def: $vgpr8
	v_add_nc_u32_e32 v1, 0x38000000, v1
.LBB6_9160:                             ;   in Loop: Header=BB6_7543 Depth=2
	s_and_not1_saveexec_b32 s41, s41
; %bb.9161:                             ;   in Loop: Header=BB6_7543 Depth=2
	v_cmp_lt_i16_e32 vcc_lo, -1, v28
	v_cndmask_b32_e32 v1, 0xff800000, v75, vcc_lo
	v_cmp_eq_u32_e32 vcc_lo, 0, v8
	s_delay_alu instid0(VALU_DEP_2)
	v_cndmask_b32_e32 v1, 0x7f800001, v1, vcc_lo
; %bb.9162:                             ;   in Loop: Header=BB6_7543 Depth=2
	s_or_b32 exec_lo, exec_lo, s41
.LBB6_9163:                             ;   in Loop: Header=BB6_7543 Depth=2
	s_delay_alu instid0(SALU_CYCLE_1)
	s_or_b32 exec_lo, exec_lo, s14
.LBB6_9164:                             ;   in Loop: Header=BB6_7543 Depth=2
	s_delay_alu instid0(SALU_CYCLE_1) | instskip(NEXT) | instid1(VALU_DEP_1)
	s_or_b32 exec_lo, exec_lo, s10
	v_dual_max_num_f32 v1, v1, v1 :: v_dual_max_num_f32 v7, v7, v7
	s_mov_b32 s10, 0
	s_delay_alu instid0(VALU_DEP_1)
	v_max_num_f32_e32 v1, v7, v1
.LBB6_9165:                             ;   in Loop: Header=BB6_7543 Depth=2
	s_and_b32 vcc_lo, exec_lo, s10
	s_cbranch_vccz .LBB6_9187
; %bb.9166:                             ;   in Loop: Header=BB6_7543 Depth=2
	v_dual_mov_b32 v1, 0 :: v_dual_mov_b32 v7, 0
	s_and_saveexec_b32 s10, s7
	s_cbranch_execz .LBB6_9176
; %bb.9167:                             ;   in Loop: Header=BB6_7543 Depth=2
	v_bfrev_b32_e32 v7, 1
	s_mov_b32 s7, exec_lo
	v_cmpx_ne_u16_e32 0x80, v24
	s_cbranch_execz .LBB6_9175
; %bb.9168:                             ;   in Loop: Header=BB6_7543 Depth=2
	v_and_b32_e32 v7, 0x7c, v6
	v_and_b32_e32 v8, 3, v6
	s_delay_alu instid0(VALU_DEP_2) | instskip(SKIP_1) | instid1(SALU_CYCLE_1)
	v_cmp_ne_u32_e32 vcc_lo, 0x7c, v7
                                        ; implicit-def: $vgpr7
	s_and_saveexec_b32 s14, vcc_lo
	s_xor_b32 s14, exec_lo, s14
	s_cbranch_execz .LBB6_9172
; %bb.9169:                             ;   in Loop: Header=BB6_7543 Depth=2
	v_bfe_u32 v6, v6, 2, 5
	s_mov_b32 s41, exec_lo
	s_delay_alu instid0(VALU_DEP_1)
	v_cmpx_eq_u32_e32 0, v6
; %bb.9170:                             ;   in Loop: Header=BB6_7543 Depth=2
	v_clz_i32_u32_e32 v6, v8
	s_delay_alu instid0(VALU_DEP_1) | instskip(NEXT) | instid1(VALU_DEP_1)
	v_min_u32_e32 v6, 32, v6
	v_subrev_nc_u32_e32 v7, 29, v6
	s_delay_alu instid0(VALU_DEP_1) | instskip(NEXT) | instid1(VALU_DEP_1)
	v_lshlrev_b64_e32 v[8:9], v7, v[24:25]
	v_dual_sub_nc_u32 v6, 30, v6 :: v_dual_bitop2_b32 v8, 3, v8 bitop3:0x40
; %bb.9171:                             ;   in Loop: Header=BB6_7543 Depth=2
	s_or_b32 exec_lo, exec_lo, s41
	v_lshlrev_b32_e32 v7, 16, v34
	s_delay_alu instid0(VALU_DEP_1) | instskip(NEXT) | instid1(VALU_DEP_1)
	v_and_b32_e32 v7, 0x80000000, v7
	v_lshl_add_u32 v6, v6, 23, v7
	s_delay_alu instid0(VALU_DEP_1) | instskip(NEXT) | instid1(VALU_DEP_1)
	v_lshl_or_b32 v6, v8, 21, v6
                                        ; implicit-def: $vgpr8
	v_add_nc_u32_e32 v7, 0x38000000, v6
.LBB6_9172:                             ;   in Loop: Header=BB6_7543 Depth=2
	s_and_not1_saveexec_b32 s14, s14
; %bb.9173:                             ;   in Loop: Header=BB6_7543 Depth=2
	v_cmp_lt_i16_e32 vcc_lo, -1, v34
	v_cndmask_b32_e32 v6, 0xff800000, v75, vcc_lo
	v_cmp_eq_u32_e32 vcc_lo, 0, v8
	s_delay_alu instid0(VALU_DEP_2)
	v_cndmask_b32_e32 v7, 0x7f800001, v6, vcc_lo
; %bb.9174:                             ;   in Loop: Header=BB6_7543 Depth=2
	s_or_b32 exec_lo, exec_lo, s14
.LBB6_9175:                             ;   in Loop: Header=BB6_7543 Depth=2
	s_delay_alu instid0(SALU_CYCLE_1)
	s_or_b32 exec_lo, exec_lo, s7
.LBB6_9176:                             ;   in Loop: Header=BB6_7543 Depth=2
	s_delay_alu instid0(SALU_CYCLE_1) | instskip(NEXT) | instid1(SALU_CYCLE_1)
	s_or_b32 exec_lo, exec_lo, s10
	s_mov_b32 s7, exec_lo
	v_cmpx_ne_u16_e32 0, v0
	s_cbranch_execz .LBB6_9186
; %bb.9177:                             ;   in Loop: Header=BB6_7543 Depth=2
	v_bfrev_b32_e32 v1, 1
	s_mov_b32 s10, exec_lo
	v_cmpx_ne_u16_e32 0x80, v0
	s_cbranch_execz .LBB6_9185
; %bb.9178:                             ;   in Loop: Header=BB6_7543 Depth=2
	v_and_b32_e32 v8, 0xffff, v0
	s_delay_alu instid0(VALU_DEP_1) | instskip(SKIP_1) | instid1(VALU_DEP_2)
	v_and_b32_e32 v1, 0x7c, v8
	v_and_b32_e32 v6, 3, v8
	v_cmp_ne_u32_e32 vcc_lo, 0x7c, v1
                                        ; implicit-def: $vgpr1
	s_and_saveexec_b32 s14, vcc_lo
	s_delay_alu instid0(SALU_CYCLE_1)
	s_xor_b32 s14, exec_lo, s14
	s_cbranch_execz .LBB6_9182
; %bb.9179:                             ;   in Loop: Header=BB6_7543 Depth=2
	v_bfe_u32 v1, v8, 2, 5
	s_mov_b32 s41, exec_lo
	s_delay_alu instid0(VALU_DEP_1)
	v_cmpx_eq_u32_e32 0, v1
; %bb.9180:                             ;   in Loop: Header=BB6_7543 Depth=2
	v_clz_i32_u32_e32 v1, v6
	s_delay_alu instid0(VALU_DEP_1) | instskip(SKIP_1) | instid1(VALU_DEP_2)
	v_min_u32_e32 v6, 32, v1
	v_mov_b32_e32 v1, v25
	v_subrev_nc_u32_e32 v8, 29, v6
	s_delay_alu instid0(VALU_DEP_1) | instskip(NEXT) | instid1(VALU_DEP_1)
	v_lshlrev_b64_e32 v[0:1], v8, v[0:1]
	v_dual_sub_nc_u32 v1, 30, v6 :: v_dual_bitop2_b32 v6, 3, v0 bitop3:0x40
; %bb.9181:                             ;   in Loop: Header=BB6_7543 Depth=2
	s_or_b32 exec_lo, exec_lo, s41
	v_lshlrev_b32_e32 v0, 16, v28
	s_delay_alu instid0(VALU_DEP_1) | instskip(NEXT) | instid1(VALU_DEP_1)
	v_and_b32_e32 v0, 0x80000000, v0
	v_lshl_add_u32 v0, v1, 23, v0
	s_delay_alu instid0(VALU_DEP_1) | instskip(NEXT) | instid1(VALU_DEP_1)
	v_lshl_or_b32 v0, v6, 21, v0
                                        ; implicit-def: $vgpr6
	v_add_nc_u32_e32 v1, 0x38000000, v0
.LBB6_9182:                             ;   in Loop: Header=BB6_7543 Depth=2
	s_and_not1_saveexec_b32 s14, s14
; %bb.9183:                             ;   in Loop: Header=BB6_7543 Depth=2
	v_cmp_lt_i16_e32 vcc_lo, -1, v28
	v_cndmask_b32_e32 v0, 0xff800000, v75, vcc_lo
	v_cmp_eq_u32_e32 vcc_lo, 0, v6
	s_delay_alu instid0(VALU_DEP_2)
	v_cndmask_b32_e32 v1, 0x7f800001, v0, vcc_lo
; %bb.9184:                             ;   in Loop: Header=BB6_7543 Depth=2
	s_or_b32 exec_lo, exec_lo, s14
.LBB6_9185:                             ;   in Loop: Header=BB6_7543 Depth=2
	s_delay_alu instid0(SALU_CYCLE_1)
	s_or_b32 exec_lo, exec_lo, s10
.LBB6_9186:                             ;   in Loop: Header=BB6_7543 Depth=2
	s_delay_alu instid0(SALU_CYCLE_1) | instskip(NEXT) | instid1(VALU_DEP_1)
	s_or_b32 exec_lo, exec_lo, s7
	v_dual_max_num_f32 v0, v1, v1 :: v_dual_max_num_f32 v1, v7, v7
	s_delay_alu instid0(VALU_DEP_1)
	v_min_num_f32_e32 v1, v1, v0
.LBB6_9187:                             ;   in Loop: Header=BB6_7543 Depth=2
	s_delay_alu instid0(VALU_DEP_1) | instskip(SKIP_3) | instid1(VALU_DEP_2)
	v_and_b32_e32 v6, 0x7f800000, v1
	v_dual_mov_b32 v7, v25 :: v_dual_lshrrev_b32 v0, 24, v1
	v_and_b32_e32 v24, 0x7fffff, v1
                                        ; implicit-def: $vgpr32
	s_mov_b32 s7, exec_lo
	v_cmpx_ne_u64_e32 0x7f800000, v[6:7]
	s_xor_b32 s10, exec_lo, s7
	s_cbranch_execz .LBB6_9201
; %bb.9188:                             ;   in Loop: Header=BB6_7543 Depth=2
	v_and_b32_e32 v6, 0x7fffffff, v1
	v_mov_b32_e32 v7, v25
	v_and_b32_e32 v8, 0x80, v0
                                        ; implicit-def: $vgpr32
	s_mov_b32 s7, exec_lo
	s_delay_alu instid0(VALU_DEP_2)
	v_cmpx_gt_u64_e32 0x47600001, v[6:7]
	s_xor_b32 s14, exec_lo, s7
	s_cbranch_execz .LBB6_9198
; %bb.9189:                             ;   in Loop: Header=BB6_7543 Depth=2
	v_mov_b32_e32 v32, 0
	s_mov_b32 s41, exec_lo
	v_cmpx_ne_u32_e32 0, v1
	s_cbranch_execz .LBB6_9197
; %bb.9190:                             ;   in Loop: Header=BB6_7543 Depth=2
	v_bfe_u32 v9, v1, 23, 8
	v_or_b32_e32 v6, 0x800000, v24
	s_delay_alu instid0(VALU_DEP_2) | instskip(SKIP_1) | instid1(VALU_DEP_2)
	v_sub_nc_u32_e32 v0, 0x71, v9
	v_cmp_gt_u32_e32 vcc_lo, 0x72, v9
	v_cndmask_b32_e32 v0, 0, v0, vcc_lo
	v_cmp_eq_u32_e32 vcc_lo, 0, v9
	s_delay_alu instid0(VALU_DEP_2) | instskip(SKIP_1) | instid1(VALU_DEP_2)
	v_cndmask_b32_e64 v32, v0, 0x70, vcc_lo
	v_cndmask_b32_e32 v24, v6, v24, vcc_lo
	v_dual_add_nc_u32 v0, 21, v32 :: v_dual_add_nc_u32 v7, 20, v32
	s_delay_alu instid0(VALU_DEP_1) | instskip(NEXT) | instid1(VALU_DEP_2)
	v_lshlrev_b64_e64 v[0:1], v0, -1
	v_lshlrev_b64_e64 v[6:7], v7, 1
	s_delay_alu instid0(VALU_DEP_2) | instskip(NEXT) | instid1(VALU_DEP_3)
	v_bfi_b32 v81, v1, 0, 0
	v_bfi_b32 v80, v0, 0, v24
	v_lshrrev_b64 v[0:1], v32, v[24:25]
	s_delay_alu instid0(VALU_DEP_2) | instskip(NEXT) | instid1(VALU_DEP_2)
	v_cmp_eq_u64_e64 s7, v[80:81], v[6:7]
	v_mov_b64_e32 v[6:7], v[0:1]
	s_and_saveexec_b32 s42, s7
; %bb.9191:                             ;   in Loop: Header=BB6_7543 Depth=2
	v_bfe_u32 v24, v0, 21, 1
	s_delay_alu instid0(VALU_DEP_1) | instskip(NEXT) | instid1(VALU_DEP_1)
	v_add_nc_u64_e32 v[6:7], v[0:1], v[24:25]
	v_add_nc_u64_e32 v[6:7], -1, v[6:7]
; %bb.9192:                             ;   in Loop: Header=BB6_7543 Depth=2
	s_or_b32 exec_lo, exec_lo, s42
	v_add_nc_u32_e32 v1, 0xffffff81, v9
	v_lshrrev_b32_e32 v7, 23, v0
	s_mov_b32 s7, exec_lo
	s_delay_alu instid0(VALU_DEP_2) | instskip(NEXT) | instid1(VALU_DEP_1)
	v_cndmask_b32_e64 v1, v1, 0xffffff82, vcc_lo
	v_add3_u32 v7, v32, v1, v7
	v_and_b32_e32 v1, 0x1fffff, v6
                                        ; implicit-def: $vgpr6
	s_delay_alu instid0(VALU_DEP_1) | instskip(NEXT) | instid1(VALU_DEP_1)
	v_dual_add_nc_u32 v9, 14, v7 :: v_dual_add_nc_u32 v24, v1, v0
                                        ; implicit-def: $vgpr0_vgpr1
	v_cmpx_ne_u32_e32 0, v9
	s_xor_b32 s7, exec_lo, s7
; %bb.9193:                             ;   in Loop: Header=BB6_7543 Depth=2
	s_delay_alu instid0(VALU_DEP_2) | instskip(SKIP_1) | instid1(VALU_DEP_1)
	v_cmp_lt_u64_e32 vcc_lo, 0xffffff, v[24:25]
	v_add_nc_u32_e32 v0, 15, v7
	v_cndmask_b32_e32 v6, v9, v0, vcc_lo
	v_cndmask_b32_e64 v0, 0, 1, vcc_lo
	s_delay_alu instid0(VALU_DEP_1)
	v_lshrrev_b64 v[0:1], v0, v[24:25]
; %bb.9194:                             ;   in Loop: Header=BB6_7543 Depth=2
	s_and_not1_saveexec_b32 s7, s7
; %bb.9195:                             ;   in Loop: Header=BB6_7543 Depth=2
	v_mov_b64_e32 v[0:1], v[24:25]
	v_bfe_u32 v6, v24, 23, 1
; %bb.9196:                             ;   in Loop: Header=BB6_7543 Depth=2
	s_or_b32 exec_lo, exec_lo, s7
	s_delay_alu instid0(VALU_DEP_2) | instskip(NEXT) | instid1(VALU_DEP_2)
	v_lshrrev_b64 v[0:1], 21, v[0:1]
	v_cmp_gt_i32_e32 vcc_lo, 32, v6
	v_min_i32_e32 v7, 31, v6
	v_cmp_eq_u32_e64 s7, 0, v6
	s_delay_alu instid0(VALU_DEP_2) | instskip(SKIP_1) | instid1(VALU_DEP_2)
	v_dual_cndmask_b32 v1, 0, v1, vcc_lo :: v_dual_lshlrev_b32 v7, 2, v7
	v_cndmask_b32_e32 v0, 3, v0, vcc_lo
	v_and_b32_e32 v7, 0xfc, v7
	s_delay_alu instid0(VALU_DEP_2) | instskip(NEXT) | instid1(VALU_DEP_2)
	v_cmp_eq_u64_e32 vcc_lo, 0, v[0:1]
	v_and_or_b32 v0, v0, 3, v7
	s_and_b32 s7, s7, vcc_lo
	s_delay_alu instid0(VALU_DEP_1) | instid1(SALU_CYCLE_1)
	v_cndmask_b32_e64 v0, v0, 0, s7
	s_delay_alu instid0(VALU_DEP_1)
	v_or_b32_e32 v32, v0, v8
.LBB6_9197:                             ;   in Loop: Header=BB6_7543 Depth=2
	s_or_b32 exec_lo, exec_lo, s41
                                        ; implicit-def: $vgpr8
.LBB6_9198:                             ;   in Loop: Header=BB6_7543 Depth=2
	s_and_not1_saveexec_b32 s7, s14
; %bb.9199:                             ;   in Loop: Header=BB6_7543 Depth=2
	v_or_b32_e32 v32, 0x7b, v8
; %bb.9200:                             ;   in Loop: Header=BB6_7543 Depth=2
	s_or_b32 exec_lo, exec_lo, s7
                                        ; implicit-def: $vgpr1
                                        ; implicit-def: $vgpr0
.LBB6_9201:                             ;   in Loop: Header=BB6_7543 Depth=2
	s_and_not1_saveexec_b32 s7, s10
	s_cbranch_execz .LBB6_9207
; %bb.9202:                             ;   in Loop: Header=BB6_7543 Depth=2
	s_mov_b32 s10, exec_lo
                                        ; implicit-def: $vgpr32
	v_cmpx_ne_u64_e32 0, v[24:25]
	s_xor_b32 s10, exec_lo, s10
; %bb.9203:                             ;   in Loop: Header=BB6_7543 Depth=2
	v_or_b32_e32 v32, 0x7f, v0
                                        ; implicit-def: $vgpr1
; %bb.9204:                             ;   in Loop: Header=BB6_7543 Depth=2
	s_and_not1_saveexec_b32 s10, s10
; %bb.9205:                             ;   in Loop: Header=BB6_7543 Depth=2
	v_cmp_lt_i32_e32 vcc_lo, -1, v1
	v_cndmask_b32_e32 v32, 0xfc, v41, vcc_lo
; %bb.9206:                             ;   in Loop: Header=BB6_7543 Depth=2
	s_or_b32 exec_lo, exec_lo, s10
.LBB6_9207:                             ;   in Loop: Header=BB6_7543 Depth=2
	s_delay_alu instid0(SALU_CYCLE_1) | instskip(SKIP_3) | instid1(VALU_DEP_1)
	s_or_b32 exec_lo, exec_lo, s7
	v_dual_lshrrev_b32 v6, 16, v34 :: v_dual_lshrrev_b32 v0, 16, v28
	s_and_not1_b32 vcc_lo, exec_lo, s13
	s_mov_b32 s10, -1
                                        ; implicit-def: $vgpr7
	v_and_b32_e32 v1, 0xff, v6
	s_delay_alu instid0(VALU_DEP_1)
	v_cmp_ne_u16_e64 s7, 0, v1
	s_cbranch_vccnz .LBB6_9229
; %bb.9208:                             ;   in Loop: Header=BB6_7543 Depth=2
	v_dual_mov_b32 v8, 0 :: v_dual_mov_b32 v7, 0
	s_and_saveexec_b32 s10, s7
	s_cbranch_execz .LBB6_9218
; %bb.9209:                             ;   in Loop: Header=BB6_7543 Depth=2
	v_bfrev_b32_e32 v7, 1
	s_mov_b32 s14, exec_lo
	v_cmpx_ne_u16_e32 0x80, v1
	s_cbranch_execz .LBB6_9217
; %bb.9210:                             ;   in Loop: Header=BB6_7543 Depth=2
	v_and_b32_e32 v7, 0x7c0000, v34
	v_bfe_u32 v9, v34, 16, 2
	s_delay_alu instid0(VALU_DEP_2) | instskip(SKIP_1) | instid1(SALU_CYCLE_1)
	v_cmp_ne_u32_e32 vcc_lo, 0x7c0000, v7
                                        ; implicit-def: $vgpr7
	s_and_saveexec_b32 s41, vcc_lo
	s_xor_b32 s41, exec_lo, s41
	s_cbranch_execz .LBB6_9214
; %bb.9211:                             ;   in Loop: Header=BB6_7543 Depth=2
	v_bfe_u32 v7, v34, 18, 5
	s_mov_b32 s42, exec_lo
	s_delay_alu instid0(VALU_DEP_1)
	v_cmpx_eq_u32_e32 0, v7
; %bb.9212:                             ;   in Loop: Header=BB6_7543 Depth=2
	v_clz_i32_u32_e32 v7, v9
	s_delay_alu instid0(VALU_DEP_1) | instskip(NEXT) | instid1(VALU_DEP_1)
	v_min_u32_e32 v7, 32, v7
	v_subrev_nc_u32_e32 v9, 29, v7
	s_delay_alu instid0(VALU_DEP_1) | instskip(NEXT) | instid1(VALU_DEP_1)
	v_lshlrev_b64_e32 v[80:81], v9, v[6:7]
	v_dual_sub_nc_u32 v7, 30, v7 :: v_dual_bitop2_b32 v9, 3, v80 bitop3:0x40
; %bb.9213:                             ;   in Loop: Header=BB6_7543 Depth=2
	s_or_b32 exec_lo, exec_lo, s42
	v_lshlrev_b32_e32 v24, 24, v6
	s_delay_alu instid0(VALU_DEP_1) | instskip(NEXT) | instid1(VALU_DEP_1)
	v_and_b32_e32 v24, 0x80000000, v24
	v_lshl_add_u32 v7, v7, 23, v24
	s_delay_alu instid0(VALU_DEP_1) | instskip(NEXT) | instid1(VALU_DEP_1)
	v_lshl_or_b32 v7, v9, 21, v7
                                        ; implicit-def: $vgpr9
	v_add_nc_u32_e32 v7, 0x38000000, v7
.LBB6_9214:                             ;   in Loop: Header=BB6_7543 Depth=2
	s_and_not1_saveexec_b32 s41, s41
; %bb.9215:                             ;   in Loop: Header=BB6_7543 Depth=2
	v_bfe_i32 v7, v6, 0, 8
	s_delay_alu instid0(VALU_DEP_1) | instskip(SKIP_2) | instid1(VALU_DEP_2)
	v_cmp_lt_i16_e32 vcc_lo, -1, v7
	v_cndmask_b32_e32 v7, 0xff800000, v75, vcc_lo
	v_cmp_eq_u32_e32 vcc_lo, 0, v9
	v_cndmask_b32_e32 v7, 0x7f800001, v7, vcc_lo
; %bb.9216:                             ;   in Loop: Header=BB6_7543 Depth=2
	s_or_b32 exec_lo, exec_lo, s41
.LBB6_9217:                             ;   in Loop: Header=BB6_7543 Depth=2
	s_delay_alu instid0(SALU_CYCLE_1)
	s_or_b32 exec_lo, exec_lo, s14
.LBB6_9218:                             ;   in Loop: Header=BB6_7543 Depth=2
	s_delay_alu instid0(SALU_CYCLE_1) | instskip(SKIP_2) | instid1(VALU_DEP_1)
	s_or_b32 exec_lo, exec_lo, s10
	v_and_b32_e32 v9, 0xff, v0
	s_mov_b32 s10, exec_lo
	v_cmpx_ne_u16_e32 0, v9
	s_cbranch_execz .LBB6_9228
; %bb.9219:                             ;   in Loop: Header=BB6_7543 Depth=2
	v_bfrev_b32_e32 v8, 1
	s_mov_b32 s14, exec_lo
	v_cmpx_ne_u16_e32 0x80, v9
	s_cbranch_execz .LBB6_9227
; %bb.9220:                             ;   in Loop: Header=BB6_7543 Depth=2
	v_and_b32_e32 v8, 0x7c0000, v28
	v_bfe_u32 v9, v28, 16, 2
	s_delay_alu instid0(VALU_DEP_2) | instskip(SKIP_1) | instid1(SALU_CYCLE_1)
	v_cmp_ne_u32_e32 vcc_lo, 0x7c0000, v8
                                        ; implicit-def: $vgpr8
	s_and_saveexec_b32 s41, vcc_lo
	s_xor_b32 s41, exec_lo, s41
	s_cbranch_execz .LBB6_9224
; %bb.9221:                             ;   in Loop: Header=BB6_7543 Depth=2
	v_bfe_u32 v8, v28, 18, 5
	s_mov_b32 s42, exec_lo
	s_delay_alu instid0(VALU_DEP_1)
	v_cmpx_eq_u32_e32 0, v8
; %bb.9222:                             ;   in Loop: Header=BB6_7543 Depth=2
	v_clz_i32_u32_e32 v8, v9
	s_delay_alu instid0(VALU_DEP_1) | instskip(NEXT) | instid1(VALU_DEP_1)
	v_min_u32_e32 v8, 32, v8
	v_subrev_nc_u32_e32 v9, 29, v8
	v_sub_nc_u32_e32 v8, 30, v8
	s_delay_alu instid0(VALU_DEP_2) | instskip(NEXT) | instid1(VALU_DEP_1)
	v_lshlrev_b64_e32 v[80:81], v9, v[0:1]
	v_and_b32_e32 v9, 3, v80
; %bb.9223:                             ;   in Loop: Header=BB6_7543 Depth=2
	s_or_b32 exec_lo, exec_lo, s42
	v_lshlrev_b32_e32 v24, 24, v0
	s_delay_alu instid0(VALU_DEP_1) | instskip(NEXT) | instid1(VALU_DEP_1)
	v_and_b32_e32 v24, 0x80000000, v24
	v_lshl_add_u32 v8, v8, 23, v24
	s_delay_alu instid0(VALU_DEP_1) | instskip(NEXT) | instid1(VALU_DEP_1)
	v_lshl_or_b32 v8, v9, 21, v8
                                        ; implicit-def: $vgpr9
	v_add_nc_u32_e32 v8, 0x38000000, v8
.LBB6_9224:                             ;   in Loop: Header=BB6_7543 Depth=2
	s_and_not1_saveexec_b32 s41, s41
; %bb.9225:                             ;   in Loop: Header=BB6_7543 Depth=2
	v_bfe_i32 v8, v0, 0, 8
	s_delay_alu instid0(VALU_DEP_1) | instskip(SKIP_2) | instid1(VALU_DEP_2)
	v_cmp_lt_i16_e32 vcc_lo, -1, v8
	v_cndmask_b32_e32 v8, 0xff800000, v75, vcc_lo
	v_cmp_eq_u32_e32 vcc_lo, 0, v9
	v_cndmask_b32_e32 v8, 0x7f800001, v8, vcc_lo
; %bb.9226:                             ;   in Loop: Header=BB6_7543 Depth=2
	s_or_b32 exec_lo, exec_lo, s41
.LBB6_9227:                             ;   in Loop: Header=BB6_7543 Depth=2
	s_delay_alu instid0(SALU_CYCLE_1)
	s_or_b32 exec_lo, exec_lo, s14
.LBB6_9228:                             ;   in Loop: Header=BB6_7543 Depth=2
	s_delay_alu instid0(SALU_CYCLE_1) | instskip(NEXT) | instid1(VALU_DEP_1)
	s_or_b32 exec_lo, exec_lo, s10
	v_dual_max_num_f32 v8, v8, v8 :: v_dual_max_num_f32 v7, v7, v7
	s_mov_b32 s10, 0
	s_delay_alu instid0(VALU_DEP_1)
	v_max_num_f32_e32 v7, v7, v8
.LBB6_9229:                             ;   in Loop: Header=BB6_7543 Depth=2
	s_and_b32 vcc_lo, exec_lo, s10
	s_cbranch_vccz .LBB6_9251
; %bb.9230:                             ;   in Loop: Header=BB6_7543 Depth=2
	v_dual_mov_b32 v8, 0 :: v_dual_mov_b32 v7, 0
	s_and_saveexec_b32 s10, s7
	s_cbranch_execz .LBB6_9240
; %bb.9231:                             ;   in Loop: Header=BB6_7543 Depth=2
	v_bfrev_b32_e32 v7, 1
	s_mov_b32 s7, exec_lo
	v_cmpx_ne_u16_e32 0x80, v1
	s_cbranch_execz .LBB6_9239
; %bb.9232:                             ;   in Loop: Header=BB6_7543 Depth=2
	v_and_b32_e32 v7, 0x7c0000, v34
	v_bfe_u32 v1, v34, 16, 2
	s_delay_alu instid0(VALU_DEP_2) | instskip(SKIP_1) | instid1(SALU_CYCLE_1)
	v_cmp_ne_u32_e32 vcc_lo, 0x7c0000, v7
                                        ; implicit-def: $vgpr7
	s_and_saveexec_b32 s14, vcc_lo
	s_xor_b32 s14, exec_lo, s14
	s_cbranch_execz .LBB6_9236
; %bb.9233:                             ;   in Loop: Header=BB6_7543 Depth=2
	v_bfe_u32 v7, v34, 18, 5
	s_mov_b32 s41, exec_lo
	s_delay_alu instid0(VALU_DEP_1)
	v_cmpx_eq_u32_e32 0, v7
; %bb.9234:                             ;   in Loop: Header=BB6_7543 Depth=2
	v_clz_i32_u32_e32 v1, v1
	s_delay_alu instid0(VALU_DEP_1) | instskip(NEXT) | instid1(VALU_DEP_1)
	v_min_u32_e32 v1, 32, v1
	v_subrev_nc_u32_e32 v7, 29, v1
	s_delay_alu instid0(VALU_DEP_1) | instskip(NEXT) | instid1(VALU_DEP_1)
	v_lshlrev_b64_e32 v[80:81], v7, v[6:7]
	v_dual_sub_nc_u32 v7, 30, v1 :: v_dual_bitop2_b32 v1, 3, v80 bitop3:0x40
; %bb.9235:                             ;   in Loop: Header=BB6_7543 Depth=2
	s_or_b32 exec_lo, exec_lo, s41
	v_lshlrev_b32_e32 v6, 24, v6
	s_delay_alu instid0(VALU_DEP_1) | instskip(NEXT) | instid1(VALU_DEP_1)
	v_and_b32_e32 v6, 0x80000000, v6
	v_lshl_add_u32 v6, v7, 23, v6
	s_delay_alu instid0(VALU_DEP_1) | instskip(NEXT) | instid1(VALU_DEP_1)
	v_lshl_or_b32 v1, v1, 21, v6
                                        ; implicit-def: $vgpr6
	v_add_nc_u32_e32 v7, 0x38000000, v1
                                        ; implicit-def: $vgpr1
.LBB6_9236:                             ;   in Loop: Header=BB6_7543 Depth=2
	s_and_not1_saveexec_b32 s14, s14
; %bb.9237:                             ;   in Loop: Header=BB6_7543 Depth=2
	v_bfe_i32 v6, v6, 0, 8
	s_delay_alu instid0(VALU_DEP_1) | instskip(SKIP_2) | instid1(VALU_DEP_2)
	v_cmp_lt_i16_e32 vcc_lo, -1, v6
	v_cndmask_b32_e32 v6, 0xff800000, v75, vcc_lo
	v_cmp_eq_u32_e32 vcc_lo, 0, v1
	v_cndmask_b32_e32 v7, 0x7f800001, v6, vcc_lo
; %bb.9238:                             ;   in Loop: Header=BB6_7543 Depth=2
	s_or_b32 exec_lo, exec_lo, s14
.LBB6_9239:                             ;   in Loop: Header=BB6_7543 Depth=2
	s_delay_alu instid0(SALU_CYCLE_1)
	s_or_b32 exec_lo, exec_lo, s7
.LBB6_9240:                             ;   in Loop: Header=BB6_7543 Depth=2
	s_delay_alu instid0(SALU_CYCLE_1) | instskip(SKIP_2) | instid1(VALU_DEP_1)
	s_or_b32 exec_lo, exec_lo, s10
	v_and_b32_e32 v1, 0xff, v0
	s_mov_b32 s7, exec_lo
	v_cmpx_ne_u16_e32 0, v1
	s_cbranch_execz .LBB6_9250
; %bb.9241:                             ;   in Loop: Header=BB6_7543 Depth=2
	v_bfrev_b32_e32 v8, 1
	s_mov_b32 s10, exec_lo
	v_cmpx_ne_u16_e32 0x80, v1
	s_cbranch_execz .LBB6_9249
; %bb.9242:                             ;   in Loop: Header=BB6_7543 Depth=2
	v_and_b32_e32 v6, 0x7c0000, v28
	v_bfe_u32 v1, v28, 16, 2
	s_mov_b32 s14, exec_lo
                                        ; implicit-def: $vgpr8
	s_delay_alu instid0(VALU_DEP_2)
	v_cmpx_ne_u32_e32 0x7c0000, v6
	s_xor_b32 s14, exec_lo, s14
	s_cbranch_execz .LBB6_9246
; %bb.9243:                             ;   in Loop: Header=BB6_7543 Depth=2
	v_bfe_u32 v6, v28, 18, 5
	s_mov_b32 s41, exec_lo
	s_delay_alu instid0(VALU_DEP_1)
	v_cmpx_eq_u32_e32 0, v6
; %bb.9244:                             ;   in Loop: Header=BB6_7543 Depth=2
	v_clz_i32_u32_e32 v1, v1
	s_delay_alu instid0(VALU_DEP_1) | instskip(NEXT) | instid1(VALU_DEP_1)
	v_min_u32_e32 v1, 32, v1
	v_subrev_nc_u32_e32 v6, 29, v1
	s_delay_alu instid0(VALU_DEP_1) | instskip(NEXT) | instid1(VALU_DEP_1)
	v_lshlrev_b64_e32 v[8:9], v6, v[0:1]
	v_dual_sub_nc_u32 v6, 30, v1 :: v_dual_bitop2_b32 v1, 3, v8 bitop3:0x40
; %bb.9245:                             ;   in Loop: Header=BB6_7543 Depth=2
	s_or_b32 exec_lo, exec_lo, s41
	v_lshlrev_b32_e32 v0, 24, v0
	s_delay_alu instid0(VALU_DEP_1) | instskip(NEXT) | instid1(VALU_DEP_1)
	v_and_b32_e32 v0, 0x80000000, v0
	v_lshl_add_u32 v0, v6, 23, v0
	s_delay_alu instid0(VALU_DEP_1) | instskip(NEXT) | instid1(VALU_DEP_1)
	v_lshl_or_b32 v0, v1, 21, v0
                                        ; implicit-def: $vgpr1
	v_add_nc_u32_e32 v8, 0x38000000, v0
                                        ; implicit-def: $vgpr0
.LBB6_9246:                             ;   in Loop: Header=BB6_7543 Depth=2
	s_and_not1_saveexec_b32 s14, s14
; %bb.9247:                             ;   in Loop: Header=BB6_7543 Depth=2
	v_bfe_i32 v0, v0, 0, 8
	s_delay_alu instid0(VALU_DEP_1) | instskip(SKIP_2) | instid1(VALU_DEP_2)
	v_cmp_lt_i16_e32 vcc_lo, -1, v0
	v_cndmask_b32_e32 v0, 0xff800000, v75, vcc_lo
	v_cmp_eq_u32_e32 vcc_lo, 0, v1
	v_cndmask_b32_e32 v8, 0x7f800001, v0, vcc_lo
; %bb.9248:                             ;   in Loop: Header=BB6_7543 Depth=2
	s_or_b32 exec_lo, exec_lo, s14
.LBB6_9249:                             ;   in Loop: Header=BB6_7543 Depth=2
	s_delay_alu instid0(SALU_CYCLE_1)
	s_or_b32 exec_lo, exec_lo, s10
.LBB6_9250:                             ;   in Loop: Header=BB6_7543 Depth=2
	s_delay_alu instid0(SALU_CYCLE_1) | instskip(NEXT) | instid1(VALU_DEP_1)
	s_or_b32 exec_lo, exec_lo, s7
	v_dual_max_num_f32 v0, v8, v8 :: v_dual_max_num_f32 v1, v7, v7
	s_delay_alu instid0(VALU_DEP_1)
	v_min_num_f32_e32 v7, v1, v0
.LBB6_9251:                             ;   in Loop: Header=BB6_7543 Depth=2
	s_delay_alu instid0(VALU_DEP_1) | instskip(SKIP_2) | instid1(VALU_DEP_2)
	v_and_b32_e32 v0, 0x7f800000, v7
	v_mov_b32_e32 v1, v25
	v_and_b32_e32 v24, 0x7fffff, v7
                                        ; implicit-def: $vgpr33
	v_cmp_ne_u64_e32 vcc_lo, 0x7f800000, v[0:1]
	v_lshrrev_b32_e32 v0, 24, v7
	s_and_saveexec_b32 s7, vcc_lo
	s_delay_alu instid0(SALU_CYCLE_1)
	s_xor_b32 s10, exec_lo, s7
	s_cbranch_execz .LBB6_9265
; %bb.9252:                             ;   in Loop: Header=BB6_7543 Depth=2
	v_and_b32_e32 v8, 0x7fffffff, v7
	v_mov_b32_e32 v9, v25
                                        ; implicit-def: $vgpr33
	s_delay_alu instid0(VALU_DEP_1) | instskip(SKIP_2) | instid1(SALU_CYCLE_1)
	v_cmp_gt_u64_e32 vcc_lo, 0x47600001, v[8:9]
	v_and_b32_e32 v8, 0x80, v0
	s_and_saveexec_b32 s7, vcc_lo
	s_xor_b32 s14, exec_lo, s7
	s_cbranch_execz .LBB6_9262
; %bb.9253:                             ;   in Loop: Header=BB6_7543 Depth=2
	v_mov_b32_e32 v33, 0
	s_mov_b32 s41, exec_lo
	v_cmpx_ne_u32_e32 0, v7
	s_cbranch_execz .LBB6_9261
; %bb.9254:                             ;   in Loop: Header=BB6_7543 Depth=2
	v_bfe_u32 v9, v7, 23, 8
	v_or_b32_e32 v6, 0x800000, v24
	s_delay_alu instid0(VALU_DEP_2) | instskip(SKIP_1) | instid1(VALU_DEP_2)
	v_sub_nc_u32_e32 v0, 0x71, v9
	v_cmp_gt_u32_e32 vcc_lo, 0x72, v9
	v_cndmask_b32_e32 v0, 0, v0, vcc_lo
	v_cmp_eq_u32_e32 vcc_lo, 0, v9
	s_delay_alu instid0(VALU_DEP_2) | instskip(NEXT) | instid1(VALU_DEP_1)
	v_cndmask_b32_e64 v33, v0, 0x70, vcc_lo
	v_dual_cndmask_b32 v24, v6, v24, vcc_lo :: v_dual_add_nc_u32 v0, 21, v33
	v_add_nc_u32_e32 v7, 20, v33
	s_delay_alu instid0(VALU_DEP_2) | instskip(NEXT) | instid1(VALU_DEP_2)
	v_lshlrev_b64_e64 v[0:1], v0, -1
	v_lshlrev_b64_e64 v[6:7], v7, 1
	s_delay_alu instid0(VALU_DEP_2) | instskip(NEXT) | instid1(VALU_DEP_3)
	v_bfi_b32 v81, v1, 0, 0
	v_bfi_b32 v80, v0, 0, v24
	v_lshrrev_b64 v[0:1], v33, v[24:25]
	s_delay_alu instid0(VALU_DEP_2) | instskip(NEXT) | instid1(VALU_DEP_2)
	v_cmp_eq_u64_e64 s7, v[80:81], v[6:7]
	v_mov_b64_e32 v[6:7], v[0:1]
	s_and_saveexec_b32 s42, s7
; %bb.9255:                             ;   in Loop: Header=BB6_7543 Depth=2
	v_bfe_u32 v24, v0, 21, 1
	s_delay_alu instid0(VALU_DEP_1) | instskip(NEXT) | instid1(VALU_DEP_1)
	v_add_nc_u64_e32 v[6:7], v[0:1], v[24:25]
	v_add_nc_u64_e32 v[6:7], -1, v[6:7]
; %bb.9256:                             ;   in Loop: Header=BB6_7543 Depth=2
	s_or_b32 exec_lo, exec_lo, s42
	v_add_nc_u32_e32 v1, 0xffffff81, v9
	v_lshrrev_b32_e32 v7, 23, v0
	s_mov_b32 s7, exec_lo
	s_delay_alu instid0(VALU_DEP_2) | instskip(NEXT) | instid1(VALU_DEP_1)
	v_cndmask_b32_e64 v1, v1, 0xffffff82, vcc_lo
	v_add3_u32 v7, v33, v1, v7
	v_and_b32_e32 v1, 0x1fffff, v6
                                        ; implicit-def: $vgpr6
	s_delay_alu instid0(VALU_DEP_1) | instskip(NEXT) | instid1(VALU_DEP_1)
	v_dual_add_nc_u32 v9, 14, v7 :: v_dual_add_nc_u32 v24, v1, v0
                                        ; implicit-def: $vgpr0_vgpr1
	v_cmpx_ne_u32_e32 0, v9
	s_xor_b32 s7, exec_lo, s7
; %bb.9257:                             ;   in Loop: Header=BB6_7543 Depth=2
	s_delay_alu instid0(VALU_DEP_2) | instskip(SKIP_1) | instid1(VALU_DEP_1)
	v_cmp_lt_u64_e32 vcc_lo, 0xffffff, v[24:25]
	v_add_nc_u32_e32 v0, 15, v7
	v_cndmask_b32_e32 v6, v9, v0, vcc_lo
	v_cndmask_b32_e64 v0, 0, 1, vcc_lo
	s_delay_alu instid0(VALU_DEP_1)
	v_lshrrev_b64 v[0:1], v0, v[24:25]
; %bb.9258:                             ;   in Loop: Header=BB6_7543 Depth=2
	s_and_not1_saveexec_b32 s7, s7
; %bb.9259:                             ;   in Loop: Header=BB6_7543 Depth=2
	v_mov_b64_e32 v[0:1], v[24:25]
	v_bfe_u32 v6, v24, 23, 1
; %bb.9260:                             ;   in Loop: Header=BB6_7543 Depth=2
	s_or_b32 exec_lo, exec_lo, s7
	s_delay_alu instid0(VALU_DEP_2) | instskip(NEXT) | instid1(VALU_DEP_2)
	v_lshrrev_b64 v[0:1], 21, v[0:1]
	v_cmp_gt_i32_e32 vcc_lo, 32, v6
	v_min_i32_e32 v7, 31, v6
	v_cmp_eq_u32_e64 s7, 0, v6
	s_delay_alu instid0(VALU_DEP_2) | instskip(SKIP_1) | instid1(VALU_DEP_2)
	v_dual_cndmask_b32 v1, 0, v1, vcc_lo :: v_dual_lshlrev_b32 v7, 2, v7
	v_cndmask_b32_e32 v0, 3, v0, vcc_lo
	v_and_b32_e32 v7, 0xfc, v7
	s_delay_alu instid0(VALU_DEP_2) | instskip(NEXT) | instid1(VALU_DEP_2)
	v_cmp_eq_u64_e32 vcc_lo, 0, v[0:1]
	v_and_or_b32 v0, v0, 3, v7
	s_and_b32 s7, s7, vcc_lo
	s_delay_alu instid0(VALU_DEP_1) | instid1(SALU_CYCLE_1)
	v_cndmask_b32_e64 v0, v0, 0, s7
	s_delay_alu instid0(VALU_DEP_1)
	v_or_b32_e32 v33, v0, v8
.LBB6_9261:                             ;   in Loop: Header=BB6_7543 Depth=2
	s_or_b32 exec_lo, exec_lo, s41
                                        ; implicit-def: $vgpr8
.LBB6_9262:                             ;   in Loop: Header=BB6_7543 Depth=2
	s_and_not1_saveexec_b32 s7, s14
; %bb.9263:                             ;   in Loop: Header=BB6_7543 Depth=2
	v_or_b32_e32 v33, 0x7b, v8
; %bb.9264:                             ;   in Loop: Header=BB6_7543 Depth=2
	s_or_b32 exec_lo, exec_lo, s7
                                        ; implicit-def: $vgpr7
                                        ; implicit-def: $vgpr0
.LBB6_9265:                             ;   in Loop: Header=BB6_7543 Depth=2
	s_and_not1_saveexec_b32 s7, s10
	s_cbranch_execz .LBB6_9271
; %bb.9266:                             ;   in Loop: Header=BB6_7543 Depth=2
	s_mov_b32 s10, exec_lo
                                        ; implicit-def: $vgpr33
	v_cmpx_ne_u64_e32 0, v[24:25]
	s_xor_b32 s10, exec_lo, s10
; %bb.9267:                             ;   in Loop: Header=BB6_7543 Depth=2
	v_or_b32_e32 v33, 0x7f, v0
                                        ; implicit-def: $vgpr7
; %bb.9268:                             ;   in Loop: Header=BB6_7543 Depth=2
	s_and_not1_saveexec_b32 s10, s10
; %bb.9269:                             ;   in Loop: Header=BB6_7543 Depth=2
	v_cmp_lt_i32_e32 vcc_lo, -1, v7
	v_cndmask_b32_e32 v33, 0xfc, v41, vcc_lo
; %bb.9270:                             ;   in Loop: Header=BB6_7543 Depth=2
	s_or_b32 exec_lo, exec_lo, s10
.LBB6_9271:                             ;   in Loop: Header=BB6_7543 Depth=2
	s_delay_alu instid0(SALU_CYCLE_1)
	s_or_b32 exec_lo, exec_lo, s7
	v_dual_lshrrev_b32 v6, 24, v34 :: v_dual_lshrrev_b32 v0, 24, v28
	v_cmp_lt_u32_e64 s7, 0xffffff, v34
	s_and_not1_b32 vcc_lo, exec_lo, s13
	s_mov_b32 s10, -1
                                        ; implicit-def: $vgpr1
	s_cbranch_vccnz .LBB6_9293
; %bb.9272:                             ;   in Loop: Header=BB6_7543 Depth=2
	v_dual_mov_b32 v7, 0 :: v_dual_mov_b32 v1, 0
	s_and_saveexec_b32 s10, s7
	s_cbranch_execz .LBB6_9282
; %bb.9273:                             ;   in Loop: Header=BB6_7543 Depth=2
	v_bfrev_b32_e32 v1, 1
	s_mov_b32 s14, exec_lo
	v_cmpx_ne_u32_e32 0x80, v6
	s_cbranch_execz .LBB6_9281
; %bb.9274:                             ;   in Loop: Header=BB6_7543 Depth=2
	v_and_b32_e32 v1, 0x7c000000, v34
	v_bfe_u32 v8, v34, 24, 2
	s_delay_alu instid0(VALU_DEP_2) | instskip(SKIP_1) | instid1(SALU_CYCLE_1)
	v_cmp_ne_u32_e32 vcc_lo, 0x7c000000, v1
                                        ; implicit-def: $vgpr1
	s_and_saveexec_b32 s41, vcc_lo
	s_xor_b32 s41, exec_lo, s41
	s_cbranch_execz .LBB6_9278
; %bb.9275:                             ;   in Loop: Header=BB6_7543 Depth=2
	v_bfe_u32 v1, v34, 26, 5
	s_mov_b32 s42, exec_lo
	s_delay_alu instid0(VALU_DEP_1)
	v_cmpx_eq_u32_e32 0, v1
; %bb.9276:                             ;   in Loop: Header=BB6_7543 Depth=2
	v_clz_i32_u32_e32 v1, v8
	s_delay_alu instid0(VALU_DEP_1) | instskip(NEXT) | instid1(VALU_DEP_1)
	v_min_u32_e32 v1, 32, v1
	v_subrev_nc_u32_e32 v8, 29, v1
	s_delay_alu instid0(VALU_DEP_1) | instskip(NEXT) | instid1(VALU_DEP_1)
	v_lshlrev_b64_e32 v[8:9], v8, v[6:7]
	v_dual_sub_nc_u32 v1, 30, v1 :: v_dual_bitop2_b32 v8, 3, v8 bitop3:0x40
; %bb.9277:                             ;   in Loop: Header=BB6_7543 Depth=2
	s_or_b32 exec_lo, exec_lo, s42
	v_and_b32_e32 v9, 0x80000000, v34
	s_delay_alu instid0(VALU_DEP_1) | instskip(NEXT) | instid1(VALU_DEP_1)
	v_lshl_add_u32 v1, v1, 23, v9
	v_lshl_or_b32 v1, v8, 21, v1
                                        ; implicit-def: $vgpr8
	s_delay_alu instid0(VALU_DEP_1)
	v_add_nc_u32_e32 v1, 0x38000000, v1
.LBB6_9278:                             ;   in Loop: Header=BB6_7543 Depth=2
	s_and_not1_saveexec_b32 s41, s41
; %bb.9279:                             ;   in Loop: Header=BB6_7543 Depth=2
	v_cmp_lt_i32_e32 vcc_lo, -1, v34
	v_cndmask_b32_e32 v1, 0xff800000, v75, vcc_lo
	v_cmp_eq_u32_e32 vcc_lo, 0, v8
	s_delay_alu instid0(VALU_DEP_2)
	v_cndmask_b32_e32 v1, 0x7f800001, v1, vcc_lo
; %bb.9280:                             ;   in Loop: Header=BB6_7543 Depth=2
	s_or_b32 exec_lo, exec_lo, s41
.LBB6_9281:                             ;   in Loop: Header=BB6_7543 Depth=2
	s_delay_alu instid0(SALU_CYCLE_1)
	s_or_b32 exec_lo, exec_lo, s14
.LBB6_9282:                             ;   in Loop: Header=BB6_7543 Depth=2
	s_delay_alu instid0(SALU_CYCLE_1) | instskip(NEXT) | instid1(SALU_CYCLE_1)
	s_or_b32 exec_lo, exec_lo, s10
	s_mov_b32 s10, exec_lo
	v_cmpx_lt_u32_e32 0xffffff, v28
	s_cbranch_execz .LBB6_9292
; %bb.9283:                             ;   in Loop: Header=BB6_7543 Depth=2
	v_bfrev_b32_e32 v7, 1
	s_mov_b32 s14, exec_lo
	v_cmpx_ne_u32_e32 0x80, v0
	s_cbranch_execz .LBB6_9291
; %bb.9284:                             ;   in Loop: Header=BB6_7543 Depth=2
	v_and_b32_e32 v7, 0x7c000000, v28
	v_bfe_u32 v8, v28, 24, 2
	s_delay_alu instid0(VALU_DEP_2) | instskip(SKIP_1) | instid1(SALU_CYCLE_1)
	v_cmp_ne_u32_e32 vcc_lo, 0x7c000000, v7
                                        ; implicit-def: $vgpr7
	s_and_saveexec_b32 s41, vcc_lo
	s_xor_b32 s41, exec_lo, s41
	s_cbranch_execz .LBB6_9288
; %bb.9285:                             ;   in Loop: Header=BB6_7543 Depth=2
	v_bfe_u32 v7, v28, 26, 5
	s_mov_b32 s42, exec_lo
	s_delay_alu instid0(VALU_DEP_1)
	v_cmpx_eq_u32_e32 0, v7
; %bb.9286:                             ;   in Loop: Header=BB6_7543 Depth=2
	v_clz_i32_u32_e32 v7, v8
	s_delay_alu instid0(VALU_DEP_1) | instskip(NEXT) | instid1(VALU_DEP_1)
	v_min_u32_e32 v7, 32, v7
	v_subrev_nc_u32_e32 v8, 29, v7
	s_delay_alu instid0(VALU_DEP_1) | instskip(NEXT) | instid1(VALU_DEP_1)
	v_lshlrev_b64_e32 v[8:9], v8, v[0:1]
	v_dual_sub_nc_u32 v7, 30, v7 :: v_dual_bitop2_b32 v8, 3, v8 bitop3:0x40
; %bb.9287:                             ;   in Loop: Header=BB6_7543 Depth=2
	s_or_b32 exec_lo, exec_lo, s42
	v_and_b32_e32 v9, 0x80000000, v28
	s_delay_alu instid0(VALU_DEP_1) | instskip(NEXT) | instid1(VALU_DEP_1)
	v_lshl_add_u32 v7, v7, 23, v9
	v_lshl_or_b32 v7, v8, 21, v7
                                        ; implicit-def: $vgpr8
	s_delay_alu instid0(VALU_DEP_1)
	v_add_nc_u32_e32 v7, 0x38000000, v7
.LBB6_9288:                             ;   in Loop: Header=BB6_7543 Depth=2
	s_and_not1_saveexec_b32 s41, s41
; %bb.9289:                             ;   in Loop: Header=BB6_7543 Depth=2
	v_cmp_lt_i32_e32 vcc_lo, -1, v28
	v_cndmask_b32_e32 v7, 0xff800000, v75, vcc_lo
	v_cmp_eq_u32_e32 vcc_lo, 0, v8
	s_delay_alu instid0(VALU_DEP_2)
	v_cndmask_b32_e32 v7, 0x7f800001, v7, vcc_lo
; %bb.9290:                             ;   in Loop: Header=BB6_7543 Depth=2
	s_or_b32 exec_lo, exec_lo, s41
.LBB6_9291:                             ;   in Loop: Header=BB6_7543 Depth=2
	s_delay_alu instid0(SALU_CYCLE_1)
	s_or_b32 exec_lo, exec_lo, s14
.LBB6_9292:                             ;   in Loop: Header=BB6_7543 Depth=2
	s_delay_alu instid0(SALU_CYCLE_1) | instskip(NEXT) | instid1(VALU_DEP_1)
	s_or_b32 exec_lo, exec_lo, s10
	v_dual_max_num_f32 v7, v7, v7 :: v_dual_max_num_f32 v1, v1, v1
	s_mov_b32 s10, 0
	s_delay_alu instid0(VALU_DEP_1)
	v_max_num_f32_e32 v1, v1, v7
.LBB6_9293:                             ;   in Loop: Header=BB6_7543 Depth=2
	s_and_b32 vcc_lo, exec_lo, s10
	s_cbranch_vccz .LBB6_9315
; %bb.9294:                             ;   in Loop: Header=BB6_7543 Depth=2
	v_dual_mov_b32 v7, 0 :: v_dual_mov_b32 v1, 0
	s_and_saveexec_b32 s10, s7
	s_cbranch_execz .LBB6_9304
; %bb.9295:                             ;   in Loop: Header=BB6_7543 Depth=2
	v_bfrev_b32_e32 v1, 1
	s_mov_b32 s7, exec_lo
	v_cmpx_ne_u32_e32 0x80, v6
	s_cbranch_execz .LBB6_9303
; %bb.9296:                             ;   in Loop: Header=BB6_7543 Depth=2
	v_and_b32_e32 v1, 0x7c000000, v34
	v_bfe_u32 v8, v34, 24, 2
	s_delay_alu instid0(VALU_DEP_2) | instskip(SKIP_1) | instid1(SALU_CYCLE_1)
	v_cmp_ne_u32_e32 vcc_lo, 0x7c000000, v1
                                        ; implicit-def: $vgpr1
	s_and_saveexec_b32 s14, vcc_lo
	s_xor_b32 s14, exec_lo, s14
	s_cbranch_execz .LBB6_9300
; %bb.9297:                             ;   in Loop: Header=BB6_7543 Depth=2
	v_bfe_u32 v1, v34, 26, 5
	s_mov_b32 s41, exec_lo
	s_delay_alu instid0(VALU_DEP_1)
	v_cmpx_eq_u32_e32 0, v1
; %bb.9298:                             ;   in Loop: Header=BB6_7543 Depth=2
	v_clz_i32_u32_e32 v1, v8
	s_delay_alu instid0(VALU_DEP_1) | instskip(NEXT) | instid1(VALU_DEP_1)
	v_min_u32_e32 v1, 32, v1
	v_subrev_nc_u32_e32 v8, 29, v1
	s_delay_alu instid0(VALU_DEP_1) | instskip(NEXT) | instid1(VALU_DEP_1)
	v_lshlrev_b64_e32 v[8:9], v8, v[6:7]
	v_dual_sub_nc_u32 v1, 30, v1 :: v_dual_bitop2_b32 v8, 3, v8 bitop3:0x40
; %bb.9299:                             ;   in Loop: Header=BB6_7543 Depth=2
	s_or_b32 exec_lo, exec_lo, s41
	v_and_b32_e32 v6, 0x80000000, v34
	s_delay_alu instid0(VALU_DEP_1) | instskip(NEXT) | instid1(VALU_DEP_1)
	v_lshl_add_u32 v1, v1, 23, v6
	v_lshl_or_b32 v1, v8, 21, v1
                                        ; implicit-def: $vgpr8
	s_delay_alu instid0(VALU_DEP_1)
	v_add_nc_u32_e32 v1, 0x38000000, v1
.LBB6_9300:                             ;   in Loop: Header=BB6_7543 Depth=2
	s_and_not1_saveexec_b32 s14, s14
; %bb.9301:                             ;   in Loop: Header=BB6_7543 Depth=2
	v_cmp_lt_i32_e32 vcc_lo, -1, v34
	v_cndmask_b32_e32 v1, 0xff800000, v75, vcc_lo
	v_cmp_eq_u32_e32 vcc_lo, 0, v8
	s_delay_alu instid0(VALU_DEP_2)
	v_cndmask_b32_e32 v1, 0x7f800001, v1, vcc_lo
; %bb.9302:                             ;   in Loop: Header=BB6_7543 Depth=2
	s_or_b32 exec_lo, exec_lo, s14
.LBB6_9303:                             ;   in Loop: Header=BB6_7543 Depth=2
	s_delay_alu instid0(SALU_CYCLE_1)
	s_or_b32 exec_lo, exec_lo, s7
.LBB6_9304:                             ;   in Loop: Header=BB6_7543 Depth=2
	s_delay_alu instid0(SALU_CYCLE_1) | instskip(NEXT) | instid1(SALU_CYCLE_1)
	s_or_b32 exec_lo, exec_lo, s10
	s_mov_b32 s7, exec_lo
	v_cmpx_lt_u32_e32 0xffffff, v28
	s_cbranch_execz .LBB6_9314
; %bb.9305:                             ;   in Loop: Header=BB6_7543 Depth=2
	v_bfrev_b32_e32 v7, 1
	s_mov_b32 s10, exec_lo
	v_cmpx_ne_u32_e32 0x80, v0
	s_cbranch_execz .LBB6_9313
; %bb.9306:                             ;   in Loop: Header=BB6_7543 Depth=2
	v_and_b32_e32 v7, 0x7c000000, v28
	v_bfe_u32 v6, v28, 24, 2
	s_delay_alu instid0(VALU_DEP_2) | instskip(SKIP_1) | instid1(SALU_CYCLE_1)
	v_cmp_ne_u32_e32 vcc_lo, 0x7c000000, v7
                                        ; implicit-def: $vgpr7
	s_and_saveexec_b32 s14, vcc_lo
	s_xor_b32 s14, exec_lo, s14
	s_cbranch_execz .LBB6_9310
; %bb.9307:                             ;   in Loop: Header=BB6_7543 Depth=2
	v_bfe_u32 v7, v28, 26, 5
	s_mov_b32 s41, exec_lo
	s_delay_alu instid0(VALU_DEP_1)
	v_cmpx_eq_u32_e32 0, v7
; %bb.9308:                             ;   in Loop: Header=BB6_7543 Depth=2
	v_clz_i32_u32_e32 v6, v6
	s_delay_alu instid0(VALU_DEP_1) | instskip(NEXT) | instid1(VALU_DEP_1)
	v_min_u32_e32 v8, 32, v6
	v_subrev_nc_u32_e32 v6, 29, v8
	s_delay_alu instid0(VALU_DEP_1) | instskip(NEXT) | instid1(VALU_DEP_1)
	v_lshlrev_b64_e32 v[6:7], v6, v[0:1]
	v_dual_sub_nc_u32 v7, 30, v8 :: v_dual_bitop2_b32 v6, 3, v6 bitop3:0x40
; %bb.9309:                             ;   in Loop: Header=BB6_7543 Depth=2
	s_or_b32 exec_lo, exec_lo, s41
	v_and_b32_e32 v0, 0x80000000, v28
	s_delay_alu instid0(VALU_DEP_1) | instskip(NEXT) | instid1(VALU_DEP_1)
	v_lshl_add_u32 v0, v7, 23, v0
	v_lshl_or_b32 v0, v6, 21, v0
                                        ; implicit-def: $vgpr6
	s_delay_alu instid0(VALU_DEP_1)
	v_add_nc_u32_e32 v7, 0x38000000, v0
.LBB6_9310:                             ;   in Loop: Header=BB6_7543 Depth=2
	s_and_not1_saveexec_b32 s14, s14
; %bb.9311:                             ;   in Loop: Header=BB6_7543 Depth=2
	v_cmp_lt_i32_e32 vcc_lo, -1, v28
	v_cndmask_b32_e32 v0, 0xff800000, v75, vcc_lo
	v_cmp_eq_u32_e32 vcc_lo, 0, v6
	s_delay_alu instid0(VALU_DEP_2)
	v_cndmask_b32_e32 v7, 0x7f800001, v0, vcc_lo
; %bb.9312:                             ;   in Loop: Header=BB6_7543 Depth=2
	s_or_b32 exec_lo, exec_lo, s14
.LBB6_9313:                             ;   in Loop: Header=BB6_7543 Depth=2
	s_delay_alu instid0(SALU_CYCLE_1)
	s_or_b32 exec_lo, exec_lo, s10
.LBB6_9314:                             ;   in Loop: Header=BB6_7543 Depth=2
	s_delay_alu instid0(SALU_CYCLE_1) | instskip(NEXT) | instid1(VALU_DEP_1)
	s_or_b32 exec_lo, exec_lo, s7
	v_dual_max_num_f32 v0, v7, v7 :: v_dual_max_num_f32 v1, v1, v1
	s_delay_alu instid0(VALU_DEP_1)
	v_min_num_f32_e32 v1, v1, v0
.LBB6_9315:                             ;   in Loop: Header=BB6_7543 Depth=2
	s_delay_alu instid0(VALU_DEP_1) | instskip(SKIP_3) | instid1(VALU_DEP_2)
	v_and_b32_e32 v6, 0x7f800000, v1
	v_dual_mov_b32 v7, v25 :: v_dual_lshrrev_b32 v0, 24, v1
	v_and_b32_e32 v24, 0x7fffff, v1
                                        ; implicit-def: $vgpr80
	s_mov_b32 s7, exec_lo
	v_cmpx_ne_u64_e32 0x7f800000, v[6:7]
	s_xor_b32 s10, exec_lo, s7
	s_cbranch_execz .LBB6_9329
; %bb.9316:                             ;   in Loop: Header=BB6_7543 Depth=2
	v_and_b32_e32 v6, 0x7fffffff, v1
	v_mov_b32_e32 v7, v25
	v_and_b32_e32 v8, 0x80, v0
                                        ; implicit-def: $vgpr80
	s_mov_b32 s7, exec_lo
	s_delay_alu instid0(VALU_DEP_2)
	v_cmpx_gt_u64_e32 0x47600001, v[6:7]
	s_xor_b32 s14, exec_lo, s7
	s_cbranch_execz .LBB6_9326
; %bb.9317:                             ;   in Loop: Header=BB6_7543 Depth=2
	v_mov_b32_e32 v80, 0
	s_mov_b32 s41, exec_lo
	v_cmpx_ne_u32_e32 0, v1
	s_cbranch_execz .LBB6_9325
; %bb.9318:                             ;   in Loop: Header=BB6_7543 Depth=2
	v_bfe_u32 v9, v1, 23, 8
	v_or_b32_e32 v6, 0x800000, v24
	s_delay_alu instid0(VALU_DEP_2) | instskip(SKIP_1) | instid1(VALU_DEP_2)
	v_sub_nc_u32_e32 v0, 0x71, v9
	v_cmp_gt_u32_e32 vcc_lo, 0x72, v9
	v_cndmask_b32_e32 v0, 0, v0, vcc_lo
	v_cmp_eq_u32_e32 vcc_lo, 0, v9
	s_delay_alu instid0(VALU_DEP_2) | instskip(SKIP_1) | instid1(VALU_DEP_2)
	v_cndmask_b32_e64 v80, v0, 0x70, vcc_lo
	v_cndmask_b32_e32 v24, v6, v24, vcc_lo
	v_dual_add_nc_u32 v0, 21, v80 :: v_dual_add_nc_u32 v7, 20, v80
	s_delay_alu instid0(VALU_DEP_1) | instskip(NEXT) | instid1(VALU_DEP_2)
	v_lshlrev_b64_e64 v[0:1], v0, -1
	v_lshlrev_b64_e64 v[6:7], v7, 1
	s_delay_alu instid0(VALU_DEP_2) | instskip(NEXT) | instid1(VALU_DEP_3)
	v_bfi_b32 v83, v1, 0, 0
	v_bfi_b32 v82, v0, 0, v24
	v_lshrrev_b64 v[0:1], v80, v[24:25]
	s_delay_alu instid0(VALU_DEP_2) | instskip(NEXT) | instid1(VALU_DEP_2)
	v_cmp_eq_u64_e64 s7, v[82:83], v[6:7]
	v_mov_b64_e32 v[6:7], v[0:1]
	s_and_saveexec_b32 s42, s7
; %bb.9319:                             ;   in Loop: Header=BB6_7543 Depth=2
	v_bfe_u32 v24, v0, 21, 1
	s_delay_alu instid0(VALU_DEP_1) | instskip(NEXT) | instid1(VALU_DEP_1)
	v_add_nc_u64_e32 v[6:7], v[0:1], v[24:25]
	v_add_nc_u64_e32 v[6:7], -1, v[6:7]
; %bb.9320:                             ;   in Loop: Header=BB6_7543 Depth=2
	s_or_b32 exec_lo, exec_lo, s42
	v_add_nc_u32_e32 v1, 0xffffff81, v9
	v_lshrrev_b32_e32 v7, 23, v0
	s_mov_b32 s7, exec_lo
	s_delay_alu instid0(VALU_DEP_2) | instskip(NEXT) | instid1(VALU_DEP_1)
	v_cndmask_b32_e64 v1, v1, 0xffffff82, vcc_lo
	v_add3_u32 v7, v80, v1, v7
	v_and_b32_e32 v1, 0x1fffff, v6
                                        ; implicit-def: $vgpr6
	s_delay_alu instid0(VALU_DEP_1) | instskip(NEXT) | instid1(VALU_DEP_1)
	v_dual_add_nc_u32 v9, 14, v7 :: v_dual_add_nc_u32 v24, v1, v0
                                        ; implicit-def: $vgpr0_vgpr1
	v_cmpx_ne_u32_e32 0, v9
	s_xor_b32 s7, exec_lo, s7
; %bb.9321:                             ;   in Loop: Header=BB6_7543 Depth=2
	s_delay_alu instid0(VALU_DEP_2) | instskip(SKIP_1) | instid1(VALU_DEP_1)
	v_cmp_lt_u64_e32 vcc_lo, 0xffffff, v[24:25]
	v_add_nc_u32_e32 v0, 15, v7
	v_cndmask_b32_e32 v6, v9, v0, vcc_lo
	v_cndmask_b32_e64 v0, 0, 1, vcc_lo
	s_delay_alu instid0(VALU_DEP_1)
	v_lshrrev_b64 v[0:1], v0, v[24:25]
; %bb.9322:                             ;   in Loop: Header=BB6_7543 Depth=2
	s_and_not1_saveexec_b32 s7, s7
; %bb.9323:                             ;   in Loop: Header=BB6_7543 Depth=2
	v_mov_b64_e32 v[0:1], v[24:25]
	v_bfe_u32 v6, v24, 23, 1
; %bb.9324:                             ;   in Loop: Header=BB6_7543 Depth=2
	s_or_b32 exec_lo, exec_lo, s7
	s_delay_alu instid0(VALU_DEP_2) | instskip(NEXT) | instid1(VALU_DEP_2)
	v_lshrrev_b64 v[0:1], 21, v[0:1]
	v_cmp_gt_i32_e32 vcc_lo, 32, v6
	v_min_i32_e32 v7, 31, v6
	v_cmp_eq_u32_e64 s7, 0, v6
	s_delay_alu instid0(VALU_DEP_2) | instskip(SKIP_1) | instid1(VALU_DEP_2)
	v_dual_cndmask_b32 v1, 0, v1, vcc_lo :: v_dual_lshlrev_b32 v7, 2, v7
	v_cndmask_b32_e32 v0, 3, v0, vcc_lo
	v_and_b32_e32 v7, 0xfc, v7
	s_delay_alu instid0(VALU_DEP_2) | instskip(NEXT) | instid1(VALU_DEP_2)
	v_cmp_eq_u64_e32 vcc_lo, 0, v[0:1]
	v_and_or_b32 v0, v0, 3, v7
	s_and_b32 s7, s7, vcc_lo
	s_delay_alu instid0(VALU_DEP_1) | instid1(SALU_CYCLE_1)
	v_cndmask_b32_e64 v0, v0, 0, s7
	s_delay_alu instid0(VALU_DEP_1)
	v_or_b32_e32 v80, v0, v8
.LBB6_9325:                             ;   in Loop: Header=BB6_7543 Depth=2
	s_or_b32 exec_lo, exec_lo, s41
                                        ; implicit-def: $vgpr8
.LBB6_9326:                             ;   in Loop: Header=BB6_7543 Depth=2
	s_and_not1_saveexec_b32 s7, s14
; %bb.9327:                             ;   in Loop: Header=BB6_7543 Depth=2
	v_or_b32_e32 v80, 0x7b, v8
; %bb.9328:                             ;   in Loop: Header=BB6_7543 Depth=2
	s_or_b32 exec_lo, exec_lo, s7
                                        ; implicit-def: $vgpr1
                                        ; implicit-def: $vgpr0
.LBB6_9329:                             ;   in Loop: Header=BB6_7543 Depth=2
	s_and_not1_saveexec_b32 s7, s10
	s_cbranch_execz .LBB6_9335
; %bb.9330:                             ;   in Loop: Header=BB6_7543 Depth=2
	s_mov_b32 s10, exec_lo
                                        ; implicit-def: $vgpr80
	v_cmpx_ne_u64_e32 0, v[24:25]
	s_xor_b32 s10, exec_lo, s10
; %bb.9331:                             ;   in Loop: Header=BB6_7543 Depth=2
	v_or_b32_e32 v80, 0x7f, v0
                                        ; implicit-def: $vgpr1
; %bb.9332:                             ;   in Loop: Header=BB6_7543 Depth=2
	s_and_not1_saveexec_b32 s10, s10
; %bb.9333:                             ;   in Loop: Header=BB6_7543 Depth=2
	v_cmp_lt_i32_e32 vcc_lo, -1, v1
	v_cndmask_b32_e32 v80, 0xfc, v41, vcc_lo
; %bb.9334:                             ;   in Loop: Header=BB6_7543 Depth=2
	s_or_b32 exec_lo, exec_lo, s10
.LBB6_9335:                             ;   in Loop: Header=BB6_7543 Depth=2
	s_delay_alu instid0(SALU_CYCLE_1) | instskip(SKIP_4) | instid1(VALU_DEP_3)
	s_or_b32 exec_lo, exec_lo, s7
	v_and_b32_e32 v6, 0xff, v35
	v_dual_mov_b32 v24, v35 :: v_dual_mov_b32 v0, v29
	v_mov_b32_e32 v1, v25
	s_and_not1_b32 vcc_lo, exec_lo, s13
	v_cmp_ne_u16_e64 s7, 0, v6
	s_mov_b32 s10, -1
                                        ; implicit-def: $vgpr8
	s_cbranch_vccnz .LBB6_9357
; %bb.9336:                             ;   in Loop: Header=BB6_7543 Depth=2
	v_dual_mov_b32 v8, 0 :: v_dual_mov_b32 v7, 0
	s_and_saveexec_b32 s10, s7
	s_cbranch_execz .LBB6_9346
; %bb.9337:                             ;   in Loop: Header=BB6_7543 Depth=2
	v_bfrev_b32_e32 v7, 1
	s_mov_b32 s14, exec_lo
	v_cmpx_ne_u16_e32 0x80, v6
	s_cbranch_execz .LBB6_9345
; %bb.9338:                             ;   in Loop: Header=BB6_7543 Depth=2
	v_and_b32_e32 v7, 0x7c, v35
	v_and_b32_e32 v9, 3, v35
	s_delay_alu instid0(VALU_DEP_2) | instskip(SKIP_1) | instid1(SALU_CYCLE_1)
	v_cmp_ne_u32_e32 vcc_lo, 0x7c, v7
                                        ; implicit-def: $vgpr7
	s_and_saveexec_b32 s41, vcc_lo
	s_xor_b32 s41, exec_lo, s41
	s_cbranch_execz .LBB6_9342
; %bb.9339:                             ;   in Loop: Header=BB6_7543 Depth=2
	v_bfe_u32 v7, v35, 2, 5
	s_mov_b32 s42, exec_lo
	s_delay_alu instid0(VALU_DEP_1)
	v_cmpx_eq_u32_e32 0, v7
; %bb.9340:                             ;   in Loop: Header=BB6_7543 Depth=2
	v_clz_i32_u32_e32 v7, v9
	s_delay_alu instid0(VALU_DEP_1) | instskip(NEXT) | instid1(VALU_DEP_1)
	v_min_u32_e32 v7, 32, v7
	v_subrev_nc_u32_e32 v9, 29, v7
	s_delay_alu instid0(VALU_DEP_1) | instskip(NEXT) | instid1(VALU_DEP_1)
	v_lshlrev_b64_e32 v[82:83], v9, v[24:25]
	v_dual_sub_nc_u32 v7, 30, v7 :: v_dual_bitop2_b32 v9, 3, v82 bitop3:0x40
; %bb.9341:                             ;   in Loop: Header=BB6_7543 Depth=2
	s_or_b32 exec_lo, exec_lo, s42
	v_lshlrev_b32_e32 v81, 24, v35
	s_delay_alu instid0(VALU_DEP_1) | instskip(NEXT) | instid1(VALU_DEP_1)
	v_and_b32_e32 v81, 0x80000000, v81
	v_lshl_add_u32 v7, v7, 23, v81
	s_delay_alu instid0(VALU_DEP_1) | instskip(NEXT) | instid1(VALU_DEP_1)
	v_lshl_or_b32 v7, v9, 21, v7
                                        ; implicit-def: $vgpr9
	v_add_nc_u32_e32 v7, 0x38000000, v7
.LBB6_9342:                             ;   in Loop: Header=BB6_7543 Depth=2
	s_and_not1_saveexec_b32 s41, s41
; %bb.9343:                             ;   in Loop: Header=BB6_7543 Depth=2
	v_bfe_i32 v7, v35, 0, 8
	s_delay_alu instid0(VALU_DEP_1) | instskip(SKIP_2) | instid1(VALU_DEP_2)
	v_cmp_lt_i16_e32 vcc_lo, -1, v7
	v_cndmask_b32_e32 v7, 0xff800000, v75, vcc_lo
	v_cmp_eq_u32_e32 vcc_lo, 0, v9
	v_cndmask_b32_e32 v7, 0x7f800001, v7, vcc_lo
; %bb.9344:                             ;   in Loop: Header=BB6_7543 Depth=2
	s_or_b32 exec_lo, exec_lo, s41
.LBB6_9345:                             ;   in Loop: Header=BB6_7543 Depth=2
	s_delay_alu instid0(SALU_CYCLE_1)
	s_or_b32 exec_lo, exec_lo, s14
.LBB6_9346:                             ;   in Loop: Header=BB6_7543 Depth=2
	s_delay_alu instid0(SALU_CYCLE_1) | instskip(SKIP_2) | instid1(VALU_DEP_1)
	s_or_b32 exec_lo, exec_lo, s10
	v_and_b32_e32 v9, 0xff, v29
	s_mov_b32 s10, exec_lo
	v_cmpx_ne_u16_e32 0, v9
	s_cbranch_execz .LBB6_9356
; %bb.9347:                             ;   in Loop: Header=BB6_7543 Depth=2
	v_bfrev_b32_e32 v8, 1
	s_mov_b32 s14, exec_lo
	v_cmpx_ne_u16_e32 0x80, v9
	s_cbranch_execz .LBB6_9355
; %bb.9348:                             ;   in Loop: Header=BB6_7543 Depth=2
	v_and_b32_e32 v8, 0x7c, v29
	v_and_b32_e32 v9, 3, v29
	s_delay_alu instid0(VALU_DEP_2) | instskip(SKIP_1) | instid1(SALU_CYCLE_1)
	v_cmp_ne_u32_e32 vcc_lo, 0x7c, v8
                                        ; implicit-def: $vgpr8
	s_and_saveexec_b32 s41, vcc_lo
	s_xor_b32 s41, exec_lo, s41
	s_cbranch_execz .LBB6_9352
; %bb.9349:                             ;   in Loop: Header=BB6_7543 Depth=2
	v_bfe_u32 v8, v29, 2, 5
	s_mov_b32 s42, exec_lo
	s_delay_alu instid0(VALU_DEP_1)
	v_cmpx_eq_u32_e32 0, v8
; %bb.9350:                             ;   in Loop: Header=BB6_7543 Depth=2
	v_clz_i32_u32_e32 v8, v9
	s_delay_alu instid0(VALU_DEP_1) | instskip(NEXT) | instid1(VALU_DEP_1)
	v_min_u32_e32 v8, 32, v8
	v_subrev_nc_u32_e32 v9, 29, v8
	s_delay_alu instid0(VALU_DEP_1) | instskip(NEXT) | instid1(VALU_DEP_1)
	v_lshlrev_b64_e32 v[82:83], v9, v[0:1]
	v_dual_sub_nc_u32 v8, 30, v8 :: v_dual_bitop2_b32 v9, 3, v82 bitop3:0x40
; %bb.9351:                             ;   in Loop: Header=BB6_7543 Depth=2
	s_or_b32 exec_lo, exec_lo, s42
	v_lshlrev_b32_e32 v81, 24, v29
	s_delay_alu instid0(VALU_DEP_1) | instskip(NEXT) | instid1(VALU_DEP_1)
	v_and_b32_e32 v81, 0x80000000, v81
	v_lshl_add_u32 v8, v8, 23, v81
	s_delay_alu instid0(VALU_DEP_1) | instskip(NEXT) | instid1(VALU_DEP_1)
	v_lshl_or_b32 v8, v9, 21, v8
                                        ; implicit-def: $vgpr9
	v_add_nc_u32_e32 v8, 0x38000000, v8
.LBB6_9352:                             ;   in Loop: Header=BB6_7543 Depth=2
	s_and_not1_saveexec_b32 s41, s41
; %bb.9353:                             ;   in Loop: Header=BB6_7543 Depth=2
	v_bfe_i32 v8, v29, 0, 8
	s_delay_alu instid0(VALU_DEP_1) | instskip(SKIP_2) | instid1(VALU_DEP_2)
	v_cmp_lt_i16_e32 vcc_lo, -1, v8
	v_cndmask_b32_e32 v8, 0xff800000, v75, vcc_lo
	v_cmp_eq_u32_e32 vcc_lo, 0, v9
	v_cndmask_b32_e32 v8, 0x7f800001, v8, vcc_lo
; %bb.9354:                             ;   in Loop: Header=BB6_7543 Depth=2
	s_or_b32 exec_lo, exec_lo, s41
.LBB6_9355:                             ;   in Loop: Header=BB6_7543 Depth=2
	s_delay_alu instid0(SALU_CYCLE_1)
	s_or_b32 exec_lo, exec_lo, s14
.LBB6_9356:                             ;   in Loop: Header=BB6_7543 Depth=2
	s_delay_alu instid0(SALU_CYCLE_1) | instskip(NEXT) | instid1(VALU_DEP_1)
	s_or_b32 exec_lo, exec_lo, s10
	v_dual_max_num_f32 v8, v8, v8 :: v_dual_max_num_f32 v7, v7, v7
	s_mov_b32 s10, 0
	s_delay_alu instid0(VALU_DEP_1)
	v_max_num_f32_e32 v8, v7, v8
.LBB6_9357:                             ;   in Loop: Header=BB6_7543 Depth=2
	s_and_b32 vcc_lo, exec_lo, s10
	s_cbranch_vccz .LBB6_9379
; %bb.9358:                             ;   in Loop: Header=BB6_7543 Depth=2
	v_dual_mov_b32 v8, 0 :: v_dual_mov_b32 v7, 0
	s_and_saveexec_b32 s10, s7
	s_cbranch_execz .LBB6_9368
; %bb.9359:                             ;   in Loop: Header=BB6_7543 Depth=2
	v_bfrev_b32_e32 v7, 1
	s_mov_b32 s7, exec_lo
	v_cmpx_ne_u16_e32 0x80, v6
	s_cbranch_execz .LBB6_9367
; %bb.9360:                             ;   in Loop: Header=BB6_7543 Depth=2
	v_and_b32_e32 v7, 0x7c, v35
	v_and_b32_e32 v6, 3, v35
	s_delay_alu instid0(VALU_DEP_2) | instskip(SKIP_1) | instid1(SALU_CYCLE_1)
	v_cmp_ne_u32_e32 vcc_lo, 0x7c, v7
                                        ; implicit-def: $vgpr7
	s_and_saveexec_b32 s14, vcc_lo
	s_xor_b32 s14, exec_lo, s14
	s_cbranch_execz .LBB6_9364
; %bb.9361:                             ;   in Loop: Header=BB6_7543 Depth=2
	v_bfe_u32 v7, v35, 2, 5
	s_mov_b32 s41, exec_lo
	s_delay_alu instid0(VALU_DEP_1)
	v_cmpx_eq_u32_e32 0, v7
; %bb.9362:                             ;   in Loop: Header=BB6_7543 Depth=2
	v_clz_i32_u32_e32 v6, v6
	s_delay_alu instid0(VALU_DEP_1) | instskip(NEXT) | instid1(VALU_DEP_1)
	v_min_u32_e32 v9, 32, v6
	v_subrev_nc_u32_e32 v6, 29, v9
	s_delay_alu instid0(VALU_DEP_1) | instskip(NEXT) | instid1(VALU_DEP_1)
	v_lshlrev_b64_e32 v[6:7], v6, v[24:25]
	v_dual_sub_nc_u32 v7, 30, v9 :: v_dual_bitop2_b32 v6, 3, v6 bitop3:0x40
; %bb.9363:                             ;   in Loop: Header=BB6_7543 Depth=2
	s_or_b32 exec_lo, exec_lo, s41
	v_lshlrev_b32_e32 v9, 24, v35
	s_delay_alu instid0(VALU_DEP_1) | instskip(NEXT) | instid1(VALU_DEP_1)
	v_and_b32_e32 v9, 0x80000000, v9
	v_lshl_add_u32 v7, v7, 23, v9
	s_delay_alu instid0(VALU_DEP_1) | instskip(NEXT) | instid1(VALU_DEP_1)
	v_lshl_or_b32 v6, v6, 21, v7
	v_add_nc_u32_e32 v7, 0x38000000, v6
                                        ; implicit-def: $vgpr6
.LBB6_9364:                             ;   in Loop: Header=BB6_7543 Depth=2
	s_and_not1_saveexec_b32 s14, s14
; %bb.9365:                             ;   in Loop: Header=BB6_7543 Depth=2
	v_bfe_i32 v7, v35, 0, 8
	s_delay_alu instid0(VALU_DEP_1) | instskip(SKIP_2) | instid1(VALU_DEP_2)
	v_cmp_lt_i16_e32 vcc_lo, -1, v7
	v_cndmask_b32_e32 v7, 0xff800000, v75, vcc_lo
	v_cmp_eq_u32_e32 vcc_lo, 0, v6
	v_cndmask_b32_e32 v7, 0x7f800001, v7, vcc_lo
; %bb.9366:                             ;   in Loop: Header=BB6_7543 Depth=2
	s_or_b32 exec_lo, exec_lo, s14
.LBB6_9367:                             ;   in Loop: Header=BB6_7543 Depth=2
	s_delay_alu instid0(SALU_CYCLE_1)
	s_or_b32 exec_lo, exec_lo, s7
.LBB6_9368:                             ;   in Loop: Header=BB6_7543 Depth=2
	s_delay_alu instid0(SALU_CYCLE_1) | instskip(SKIP_2) | instid1(VALU_DEP_1)
	s_or_b32 exec_lo, exec_lo, s10
	v_and_b32_e32 v6, 0xff, v29
	s_mov_b32 s7, exec_lo
	v_cmpx_ne_u16_e32 0, v6
	s_cbranch_execz .LBB6_9378
; %bb.9369:                             ;   in Loop: Header=BB6_7543 Depth=2
	v_bfrev_b32_e32 v8, 1
	s_mov_b32 s10, exec_lo
	v_cmpx_ne_u16_e32 0x80, v6
	s_cbranch_execz .LBB6_9377
; %bb.9370:                             ;   in Loop: Header=BB6_7543 Depth=2
	v_and_b32_e32 v8, 0x7c, v29
	v_and_b32_e32 v6, 3, v29
	s_delay_alu instid0(VALU_DEP_2) | instskip(SKIP_1) | instid1(SALU_CYCLE_1)
	v_cmp_ne_u32_e32 vcc_lo, 0x7c, v8
                                        ; implicit-def: $vgpr8
	s_and_saveexec_b32 s14, vcc_lo
	s_xor_b32 s14, exec_lo, s14
	s_cbranch_execz .LBB6_9374
; %bb.9371:                             ;   in Loop: Header=BB6_7543 Depth=2
	v_bfe_u32 v8, v29, 2, 5
	s_mov_b32 s41, exec_lo
	s_delay_alu instid0(VALU_DEP_1)
	v_cmpx_eq_u32_e32 0, v8
; %bb.9372:                             ;   in Loop: Header=BB6_7543 Depth=2
	v_clz_i32_u32_e32 v6, v6
	s_delay_alu instid0(VALU_DEP_1) | instskip(NEXT) | instid1(VALU_DEP_1)
	v_min_u32_e32 v6, 32, v6
	v_subrev_nc_u32_e32 v8, 29, v6
	s_delay_alu instid0(VALU_DEP_1) | instskip(SKIP_1) | instid1(VALU_DEP_2)
	v_lshlrev_b64_e32 v[82:83], v8, v[0:1]
	v_sub_nc_u32_e32 v8, 30, v6
	v_and_b32_e32 v6, 3, v82
; %bb.9373:                             ;   in Loop: Header=BB6_7543 Depth=2
	s_or_b32 exec_lo, exec_lo, s41
	v_lshlrev_b32_e32 v1, 24, v29
	s_delay_alu instid0(VALU_DEP_1) | instskip(NEXT) | instid1(VALU_DEP_1)
	v_and_b32_e32 v1, 0x80000000, v1
	v_lshl_add_u32 v1, v8, 23, v1
	s_delay_alu instid0(VALU_DEP_1) | instskip(NEXT) | instid1(VALU_DEP_1)
	v_lshl_or_b32 v1, v6, 21, v1
                                        ; implicit-def: $vgpr6
	v_add_nc_u32_e32 v8, 0x38000000, v1
.LBB6_9374:                             ;   in Loop: Header=BB6_7543 Depth=2
	s_and_not1_saveexec_b32 s14, s14
; %bb.9375:                             ;   in Loop: Header=BB6_7543 Depth=2
	v_bfe_i32 v1, v29, 0, 8
	s_delay_alu instid0(VALU_DEP_1) | instskip(SKIP_2) | instid1(VALU_DEP_2)
	v_cmp_lt_i16_e32 vcc_lo, -1, v1
	v_cndmask_b32_e32 v1, 0xff800000, v75, vcc_lo
	v_cmp_eq_u32_e32 vcc_lo, 0, v6
	v_cndmask_b32_e32 v8, 0x7f800001, v1, vcc_lo
; %bb.9376:                             ;   in Loop: Header=BB6_7543 Depth=2
	s_or_b32 exec_lo, exec_lo, s14
.LBB6_9377:                             ;   in Loop: Header=BB6_7543 Depth=2
	s_delay_alu instid0(SALU_CYCLE_1)
	s_or_b32 exec_lo, exec_lo, s10
.LBB6_9378:                             ;   in Loop: Header=BB6_7543 Depth=2
	s_delay_alu instid0(SALU_CYCLE_1) | instskip(NEXT) | instid1(VALU_DEP_1)
	s_or_b32 exec_lo, exec_lo, s7
	v_dual_max_num_f32 v1, v8, v8 :: v_dual_max_num_f32 v6, v7, v7
	s_delay_alu instid0(VALU_DEP_1)
	v_min_num_f32_e32 v8, v6, v1
.LBB6_9379:                             ;   in Loop: Header=BB6_7543 Depth=2
	s_delay_alu instid0(VALU_DEP_1) | instskip(SKIP_4) | instid1(VALU_DEP_3)
	v_and_b32_e32 v82, 0x7f800000, v8
	v_dual_mov_b32 v83, v25 :: v_dual_mov_b32 v7, v25
	v_and_b32_e32 v6, 0x7fffff, v8
	v_lshrrev_b32_e32 v1, 24, v8
                                        ; implicit-def: $vgpr81
	s_mov_b32 s7, exec_lo
	v_cmpx_ne_u64_e32 0x7f800000, v[82:83]
	s_xor_b32 s10, exec_lo, s7
	s_cbranch_execz .LBB6_9393
; %bb.9380:                             ;   in Loop: Header=BB6_7543 Depth=2
	v_and_b32_e32 v82, 0x7fffffff, v8
	v_mov_b32_e32 v83, v25
	v_and_b32_e32 v1, 0x80, v1
                                        ; implicit-def: $vgpr81
	s_mov_b32 s7, exec_lo
	s_delay_alu instid0(VALU_DEP_2)
	v_cmpx_gt_u64_e32 0x47600001, v[82:83]
	s_xor_b32 s14, exec_lo, s7
	s_cbranch_execz .LBB6_9390
; %bb.9381:                             ;   in Loop: Header=BB6_7543 Depth=2
	v_mov_b32_e32 v81, 0
	s_mov_b32 s41, exec_lo
	v_cmpx_ne_u32_e32 0, v8
	s_cbranch_execz .LBB6_9389
; %bb.9382:                             ;   in Loop: Header=BB6_7543 Depth=2
	v_bfe_u32 v81, v8, 23, 8
	v_or_b32_e32 v83, 0x800000, v6
	s_delay_alu instid0(VALU_DEP_2) | instskip(SKIP_1) | instid1(VALU_DEP_2)
	v_sub_nc_u32_e32 v8, 0x71, v81
	v_cmp_gt_u32_e32 vcc_lo, 0x72, v81
	v_cndmask_b32_e32 v8, 0, v8, vcc_lo
	v_cmp_eq_u32_e32 vcc_lo, 0, v81
	s_delay_alu instid0(VALU_DEP_2) | instskip(SKIP_1) | instid1(VALU_DEP_2)
	v_cndmask_b32_e64 v82, v8, 0x70, vcc_lo
	v_cndmask_b32_e32 v6, v83, v6, vcc_lo
	v_dual_add_nc_u32 v8, 21, v82 :: v_dual_add_nc_u32 v84, 20, v82
	s_delay_alu instid0(VALU_DEP_1) | instskip(NEXT) | instid1(VALU_DEP_2)
	v_lshlrev_b64_e64 v[8:9], v8, -1
	v_lshlrev_b64_e64 v[84:85], v84, 1
	s_delay_alu instid0(VALU_DEP_2) | instskip(SKIP_1) | instid1(VALU_DEP_4)
	v_bfi_b32 v8, v8, 0, v6
	v_lshrrev_b64 v[6:7], v82, v[6:7]
	v_bfi_b32 v9, v9, 0, 0
	s_delay_alu instid0(VALU_DEP_1) | instskip(NEXT) | instid1(VALU_DEP_3)
	v_cmp_eq_u64_e64 s7, v[8:9], v[84:85]
	v_mov_b64_e32 v[8:9], v[6:7]
	s_and_saveexec_b32 s42, s7
; %bb.9383:                             ;   in Loop: Header=BB6_7543 Depth=2
	v_bfe_u32 v8, v6, 21, 1
	v_mov_b32_e32 v9, v25
	s_delay_alu instid0(VALU_DEP_1) | instskip(NEXT) | instid1(VALU_DEP_1)
	v_add_nc_u64_e32 v[8:9], v[6:7], v[8:9]
	v_add_nc_u64_e32 v[8:9], -1, v[8:9]
; %bb.9384:                             ;   in Loop: Header=BB6_7543 Depth=2
	s_or_b32 exec_lo, exec_lo, s42
	v_add_nc_u32_e32 v7, 0xffffff81, v81
	v_lshrrev_b32_e32 v9, 23, v6
	s_mov_b32 s7, exec_lo
	s_delay_alu instid0(VALU_DEP_2) | instskip(NEXT) | instid1(VALU_DEP_1)
	v_cndmask_b32_e64 v7, v7, 0xffffff82, vcc_lo
	v_add3_u32 v9, v82, v7, v9
	v_and_b32_e32 v7, 0x1fffff, v8
                                        ; implicit-def: $vgpr8
	s_delay_alu instid0(VALU_DEP_1) | instskip(SKIP_1) | instid1(VALU_DEP_2)
	v_dual_add_nc_u32 v81, 14, v9 :: v_dual_add_nc_u32 v6, v7, v6
	v_mov_b32_e32 v7, v25
	v_cmpx_ne_u32_e32 0, v81
	s_xor_b32 s7, exec_lo, s7
; %bb.9385:                             ;   in Loop: Header=BB6_7543 Depth=2
	s_delay_alu instid0(VALU_DEP_2) | instskip(SKIP_2) | instid1(VALU_DEP_2)
	v_cmp_lt_u64_e32 vcc_lo, 0xffffff, v[6:7]
	v_add_nc_u32_e32 v8, 15, v9
	v_cndmask_b32_e64 v9, 0, 1, vcc_lo
	v_cndmask_b32_e32 v8, v81, v8, vcc_lo
	s_delay_alu instid0(VALU_DEP_2)
	v_lshrrev_b64 v[6:7], v9, v[6:7]
; %bb.9386:                             ;   in Loop: Header=BB6_7543 Depth=2
	s_and_not1_saveexec_b32 s7, s7
; %bb.9387:                             ;   in Loop: Header=BB6_7543 Depth=2
	s_delay_alu instid0(VALU_DEP_1)
	v_bfe_u32 v8, v6, 23, 1
; %bb.9388:                             ;   in Loop: Header=BB6_7543 Depth=2
	s_or_b32 exec_lo, exec_lo, s7
	s_delay_alu instid0(VALU_DEP_2) | instskip(NEXT) | instid1(VALU_DEP_2)
	v_lshrrev_b64 v[6:7], 21, v[6:7]
	v_cmp_gt_i32_e32 vcc_lo, 32, v8
	v_min_i32_e32 v9, 31, v8
	v_cmp_eq_u32_e64 s7, 0, v8
	s_delay_alu instid0(VALU_DEP_2) | instskip(SKIP_1) | instid1(VALU_DEP_2)
	v_dual_cndmask_b32 v7, 0, v7, vcc_lo :: v_dual_lshlrev_b32 v9, 2, v9
	v_cndmask_b32_e32 v6, 3, v6, vcc_lo
	v_and_b32_e32 v9, 0xfc, v9
	s_delay_alu instid0(VALU_DEP_2) | instskip(NEXT) | instid1(VALU_DEP_2)
	v_cmp_eq_u64_e32 vcc_lo, 0, v[6:7]
	v_and_or_b32 v6, v6, 3, v9
	s_and_b32 s7, s7, vcc_lo
	s_delay_alu instid0(VALU_DEP_1) | instid1(SALU_CYCLE_1)
	v_cndmask_b32_e64 v6, v6, 0, s7
	s_delay_alu instid0(VALU_DEP_1)
	v_or_b32_e32 v81, v6, v1
.LBB6_9389:                             ;   in Loop: Header=BB6_7543 Depth=2
	s_or_b32 exec_lo, exec_lo, s41
                                        ; implicit-def: $vgpr1
.LBB6_9390:                             ;   in Loop: Header=BB6_7543 Depth=2
	s_and_not1_saveexec_b32 s7, s14
; %bb.9391:                             ;   in Loop: Header=BB6_7543 Depth=2
	v_or_b32_e32 v81, 0x7b, v1
; %bb.9392:                             ;   in Loop: Header=BB6_7543 Depth=2
	s_or_b32 exec_lo, exec_lo, s7
                                        ; implicit-def: $vgpr8
                                        ; implicit-def: $vgpr6_vgpr7
                                        ; implicit-def: $vgpr1
.LBB6_9393:                             ;   in Loop: Header=BB6_7543 Depth=2
	s_and_not1_saveexec_b32 s7, s10
	s_cbranch_execz .LBB6_9399
; %bb.9394:                             ;   in Loop: Header=BB6_7543 Depth=2
	s_mov_b32 s10, exec_lo
                                        ; implicit-def: $vgpr81
	v_cmpx_ne_u64_e32 0, v[6:7]
	s_xor_b32 s10, exec_lo, s10
; %bb.9395:                             ;   in Loop: Header=BB6_7543 Depth=2
	v_or_b32_e32 v81, 0x7f, v1
                                        ; implicit-def: $vgpr8
; %bb.9396:                             ;   in Loop: Header=BB6_7543 Depth=2
	s_and_not1_saveexec_b32 s10, s10
; %bb.9397:                             ;   in Loop: Header=BB6_7543 Depth=2
	v_cmp_lt_i32_e32 vcc_lo, -1, v8
	v_cndmask_b32_e32 v81, 0xfc, v41, vcc_lo
; %bb.9398:                             ;   in Loop: Header=BB6_7543 Depth=2
	s_or_b32 exec_lo, exec_lo, s10
.LBB6_9399:                             ;   in Loop: Header=BB6_7543 Depth=2
	s_delay_alu instid0(SALU_CYCLE_1) | instskip(SKIP_4) | instid1(VALU_DEP_2)
	s_or_b32 exec_lo, exec_lo, s7
	v_lshrrev_b16 v8, 8, v24
	v_lshrrev_b16 v6, 8, v0
	s_and_not1_b32 vcc_lo, exec_lo, s13
	s_mov_b32 s10, -1
                                        ; implicit-def: $vgpr7
	v_and_b32_e32 v1, 0xffff, v8
	v_cmp_ne_u16_e64 s7, 0, v8
	s_cbranch_vccnz .LBB6_9421
; %bb.9400:                             ;   in Loop: Header=BB6_7543 Depth=2
	v_dual_mov_b32 v7, 0 :: v_dual_mov_b32 v9, 0
	s_and_saveexec_b32 s10, s7
	s_cbranch_execz .LBB6_9410
; %bb.9401:                             ;   in Loop: Header=BB6_7543 Depth=2
	v_bfrev_b32_e32 v9, 1
	s_mov_b32 s14, exec_lo
	v_cmpx_ne_u16_e32 0x80, v8
	s_cbranch_execz .LBB6_9409
; %bb.9402:                             ;   in Loop: Header=BB6_7543 Depth=2
	v_and_b32_e32 v9, 0x7c, v1
	v_and_b32_e32 v82, 3, v1
	s_delay_alu instid0(VALU_DEP_2) | instskip(SKIP_1) | instid1(SALU_CYCLE_1)
	v_cmp_ne_u32_e32 vcc_lo, 0x7c, v9
                                        ; implicit-def: $vgpr9
	s_and_saveexec_b32 s41, vcc_lo
	s_xor_b32 s41, exec_lo, s41
	s_cbranch_execz .LBB6_9406
; %bb.9403:                             ;   in Loop: Header=BB6_7543 Depth=2
	v_bfe_u32 v9, v1, 2, 5
	s_mov_b32 s42, exec_lo
	s_delay_alu instid0(VALU_DEP_1)
	v_cmpx_eq_u32_e32 0, v9
; %bb.9404:                             ;   in Loop: Header=BB6_7543 Depth=2
	v_clz_i32_u32_e32 v9, v82
	s_delay_alu instid0(VALU_DEP_1) | instskip(SKIP_1) | instid1(VALU_DEP_2)
	v_min_u32_e32 v84, 32, v9
	v_mov_b32_e32 v9, v25
	v_subrev_nc_u32_e32 v82, 29, v84
	s_delay_alu instid0(VALU_DEP_1) | instskip(NEXT) | instid1(VALU_DEP_1)
	v_lshlrev_b64_e32 v[82:83], v82, v[8:9]
	v_dual_sub_nc_u32 v9, 30, v84 :: v_dual_bitop2_b32 v82, 3, v82 bitop3:0x40
; %bb.9405:                             ;   in Loop: Header=BB6_7543 Depth=2
	s_or_b32 exec_lo, exec_lo, s42
	v_lshlrev_b32_e32 v83, 16, v24
	s_delay_alu instid0(VALU_DEP_1) | instskip(NEXT) | instid1(VALU_DEP_1)
	v_and_b32_e32 v83, 0x80000000, v83
	v_lshl_add_u32 v9, v9, 23, v83
	s_delay_alu instid0(VALU_DEP_1) | instskip(NEXT) | instid1(VALU_DEP_1)
	v_lshl_or_b32 v9, v82, 21, v9
                                        ; implicit-def: $vgpr82
	v_add_nc_u32_e32 v9, 0x38000000, v9
.LBB6_9406:                             ;   in Loop: Header=BB6_7543 Depth=2
	s_and_not1_saveexec_b32 s41, s41
; %bb.9407:                             ;   in Loop: Header=BB6_7543 Depth=2
	v_cmp_lt_i16_e32 vcc_lo, -1, v24
	v_cndmask_b32_e32 v9, 0xff800000, v75, vcc_lo
	v_cmp_eq_u32_e32 vcc_lo, 0, v82
	s_delay_alu instid0(VALU_DEP_2)
	v_cndmask_b32_e32 v9, 0x7f800001, v9, vcc_lo
; %bb.9408:                             ;   in Loop: Header=BB6_7543 Depth=2
	s_or_b32 exec_lo, exec_lo, s41
.LBB6_9409:                             ;   in Loop: Header=BB6_7543 Depth=2
	s_delay_alu instid0(SALU_CYCLE_1)
	s_or_b32 exec_lo, exec_lo, s14
.LBB6_9410:                             ;   in Loop: Header=BB6_7543 Depth=2
	s_delay_alu instid0(SALU_CYCLE_1) | instskip(NEXT) | instid1(SALU_CYCLE_1)
	s_or_b32 exec_lo, exec_lo, s10
	s_mov_b32 s10, exec_lo
	v_cmpx_ne_u16_e32 0, v6
	s_cbranch_execz .LBB6_9420
; %bb.9411:                             ;   in Loop: Header=BB6_7543 Depth=2
	v_bfrev_b32_e32 v7, 1
	s_mov_b32 s14, exec_lo
	v_cmpx_ne_u16_e32 0x80, v6
	s_cbranch_execz .LBB6_9419
; %bb.9412:                             ;   in Loop: Header=BB6_7543 Depth=2
	v_and_b32_e32 v83, 0xffff, v6
	s_delay_alu instid0(VALU_DEP_1) | instskip(SKIP_1) | instid1(VALU_DEP_2)
	v_and_b32_e32 v7, 0x7c, v83
	v_and_b32_e32 v82, 3, v83
	v_cmp_ne_u32_e32 vcc_lo, 0x7c, v7
                                        ; implicit-def: $vgpr7
	s_and_saveexec_b32 s41, vcc_lo
	s_delay_alu instid0(SALU_CYCLE_1)
	s_xor_b32 s41, exec_lo, s41
	s_cbranch_execz .LBB6_9416
; %bb.9413:                             ;   in Loop: Header=BB6_7543 Depth=2
	v_bfe_u32 v7, v83, 2, 5
	s_mov_b32 s42, exec_lo
	s_delay_alu instid0(VALU_DEP_1)
	v_cmpx_eq_u32_e32 0, v7
; %bb.9414:                             ;   in Loop: Header=BB6_7543 Depth=2
	v_clz_i32_u32_e32 v7, v82
	s_delay_alu instid0(VALU_DEP_1) | instskip(SKIP_1) | instid1(VALU_DEP_2)
	v_min_u32_e32 v84, 32, v7
	v_mov_b32_e32 v7, v25
	v_subrev_nc_u32_e32 v82, 29, v84
	s_delay_alu instid0(VALU_DEP_1) | instskip(NEXT) | instid1(VALU_DEP_1)
	v_lshlrev_b64_e32 v[82:83], v82, v[6:7]
	v_dual_sub_nc_u32 v7, 30, v84 :: v_dual_bitop2_b32 v82, 3, v82 bitop3:0x40
; %bb.9415:                             ;   in Loop: Header=BB6_7543 Depth=2
	s_or_b32 exec_lo, exec_lo, s42
	v_lshlrev_b32_e32 v83, 16, v0
	s_delay_alu instid0(VALU_DEP_1) | instskip(NEXT) | instid1(VALU_DEP_1)
	v_and_b32_e32 v83, 0x80000000, v83
	v_lshl_add_u32 v7, v7, 23, v83
	s_delay_alu instid0(VALU_DEP_1) | instskip(NEXT) | instid1(VALU_DEP_1)
	v_lshl_or_b32 v7, v82, 21, v7
                                        ; implicit-def: $vgpr82
	v_add_nc_u32_e32 v7, 0x38000000, v7
.LBB6_9416:                             ;   in Loop: Header=BB6_7543 Depth=2
	s_and_not1_saveexec_b32 s41, s41
; %bb.9417:                             ;   in Loop: Header=BB6_7543 Depth=2
	v_cmp_lt_i16_e32 vcc_lo, -1, v0
	v_cndmask_b32_e32 v7, 0xff800000, v75, vcc_lo
	v_cmp_eq_u32_e32 vcc_lo, 0, v82
	s_delay_alu instid0(VALU_DEP_2)
	v_cndmask_b32_e32 v7, 0x7f800001, v7, vcc_lo
; %bb.9418:                             ;   in Loop: Header=BB6_7543 Depth=2
	s_or_b32 exec_lo, exec_lo, s41
.LBB6_9419:                             ;   in Loop: Header=BB6_7543 Depth=2
	s_delay_alu instid0(SALU_CYCLE_1)
	s_or_b32 exec_lo, exec_lo, s14
.LBB6_9420:                             ;   in Loop: Header=BB6_7543 Depth=2
	s_delay_alu instid0(SALU_CYCLE_1) | instskip(NEXT) | instid1(VALU_DEP_1)
	s_or_b32 exec_lo, exec_lo, s10
	v_dual_max_num_f32 v7, v7, v7 :: v_dual_max_num_f32 v9, v9, v9
	s_mov_b32 s10, 0
	s_delay_alu instid0(VALU_DEP_1)
	v_max_num_f32_e32 v7, v9, v7
.LBB6_9421:                             ;   in Loop: Header=BB6_7543 Depth=2
	s_and_b32 vcc_lo, exec_lo, s10
	s_cbranch_vccz .LBB6_9443
; %bb.9422:                             ;   in Loop: Header=BB6_7543 Depth=2
	v_dual_mov_b32 v7, 0 :: v_dual_mov_b32 v9, 0
	s_and_saveexec_b32 s10, s7
	s_cbranch_execz .LBB6_9432
; %bb.9423:                             ;   in Loop: Header=BB6_7543 Depth=2
	v_bfrev_b32_e32 v9, 1
	s_mov_b32 s7, exec_lo
	v_cmpx_ne_u16_e32 0x80, v8
	s_cbranch_execz .LBB6_9431
; %bb.9424:                             ;   in Loop: Header=BB6_7543 Depth=2
	v_and_b32_e32 v9, 0x7c, v1
	v_and_b32_e32 v82, 3, v1
	s_delay_alu instid0(VALU_DEP_2) | instskip(SKIP_1) | instid1(SALU_CYCLE_1)
	v_cmp_ne_u32_e32 vcc_lo, 0x7c, v9
                                        ; implicit-def: $vgpr9
	s_and_saveexec_b32 s14, vcc_lo
	s_xor_b32 s14, exec_lo, s14
	s_cbranch_execz .LBB6_9428
; %bb.9425:                             ;   in Loop: Header=BB6_7543 Depth=2
	v_bfe_u32 v1, v1, 2, 5
	s_mov_b32 s41, exec_lo
	s_delay_alu instid0(VALU_DEP_1)
	v_cmpx_eq_u32_e32 0, v1
	s_cbranch_execz .LBB6_9427
; %bb.9426:                             ;   in Loop: Header=BB6_7543 Depth=2
	v_clz_i32_u32_e32 v1, v82
	s_delay_alu instid0(VALU_DEP_1) | instskip(SKIP_1) | instid1(VALU_DEP_2)
	v_min_u32_e32 v1, 32, v1
	v_mov_b32_e32 v9, v25
	v_subrev_nc_u32_e32 v82, 29, v1
	v_sub_nc_u32_e32 v1, 30, v1
	s_delay_alu instid0(VALU_DEP_2) | instskip(NEXT) | instid1(VALU_DEP_1)
	v_lshlrev_b64_e32 v[8:9], v82, v[8:9]
	v_and_b32_e32 v82, 3, v8
.LBB6_9427:                             ;   in Loop: Header=BB6_7543 Depth=2
	s_or_b32 exec_lo, exec_lo, s41
	v_lshlrev_b32_e32 v8, 16, v24
	s_delay_alu instid0(VALU_DEP_1) | instskip(NEXT) | instid1(VALU_DEP_1)
	v_and_b32_e32 v8, 0x80000000, v8
	v_lshl_add_u32 v1, v1, 23, v8
	s_delay_alu instid0(VALU_DEP_1) | instskip(NEXT) | instid1(VALU_DEP_1)
	v_lshl_or_b32 v1, v82, 21, v1
                                        ; implicit-def: $vgpr82
	v_add_nc_u32_e32 v9, 0x38000000, v1
.LBB6_9428:                             ;   in Loop: Header=BB6_7543 Depth=2
	s_and_not1_saveexec_b32 s14, s14
; %bb.9429:                             ;   in Loop: Header=BB6_7543 Depth=2
	v_cmp_lt_i16_e32 vcc_lo, -1, v24
	v_cndmask_b32_e32 v1, 0xff800000, v75, vcc_lo
	v_cmp_eq_u32_e32 vcc_lo, 0, v82
	s_delay_alu instid0(VALU_DEP_2)
	v_cndmask_b32_e32 v9, 0x7f800001, v1, vcc_lo
; %bb.9430:                             ;   in Loop: Header=BB6_7543 Depth=2
	s_or_b32 exec_lo, exec_lo, s14
.LBB6_9431:                             ;   in Loop: Header=BB6_7543 Depth=2
	s_delay_alu instid0(SALU_CYCLE_1)
	s_or_b32 exec_lo, exec_lo, s7
.LBB6_9432:                             ;   in Loop: Header=BB6_7543 Depth=2
	s_delay_alu instid0(SALU_CYCLE_1) | instskip(NEXT) | instid1(SALU_CYCLE_1)
	s_or_b32 exec_lo, exec_lo, s10
	s_mov_b32 s7, exec_lo
	v_cmpx_ne_u16_e32 0, v6
	s_cbranch_execz .LBB6_9442
; %bb.9433:                             ;   in Loop: Header=BB6_7543 Depth=2
	v_bfrev_b32_e32 v7, 1
	s_mov_b32 s10, exec_lo
	v_cmpx_ne_u16_e32 0x80, v6
	s_cbranch_execz .LBB6_9441
; %bb.9434:                             ;   in Loop: Header=BB6_7543 Depth=2
	v_and_b32_e32 v1, 0xffff, v6
	s_delay_alu instid0(VALU_DEP_1) | instskip(SKIP_1) | instid1(VALU_DEP_2)
	v_and_b32_e32 v7, 0x7c, v1
	v_and_b32_e32 v8, 3, v1
	v_cmp_ne_u32_e32 vcc_lo, 0x7c, v7
                                        ; implicit-def: $vgpr7
	s_and_saveexec_b32 s14, vcc_lo
	s_delay_alu instid0(SALU_CYCLE_1)
	s_xor_b32 s14, exec_lo, s14
	s_cbranch_execz .LBB6_9438
; %bb.9435:                             ;   in Loop: Header=BB6_7543 Depth=2
	v_bfe_u32 v1, v1, 2, 5
	s_mov_b32 s41, exec_lo
	s_delay_alu instid0(VALU_DEP_1)
	v_cmpx_eq_u32_e32 0, v1
	s_cbranch_execz .LBB6_9437
; %bb.9436:                             ;   in Loop: Header=BB6_7543 Depth=2
	v_clz_i32_u32_e32 v1, v8
	s_delay_alu instid0(VALU_DEP_1) | instskip(SKIP_1) | instid1(VALU_DEP_2)
	v_min_u32_e32 v1, 32, v1
	v_mov_b32_e32 v7, v25
	v_subrev_nc_u32_e32 v8, 29, v1
	v_sub_nc_u32_e32 v1, 30, v1
	s_delay_alu instid0(VALU_DEP_2) | instskip(NEXT) | instid1(VALU_DEP_1)
	v_lshlrev_b64_e32 v[6:7], v8, v[6:7]
	v_and_b32_e32 v8, 3, v6
.LBB6_9437:                             ;   in Loop: Header=BB6_7543 Depth=2
	s_or_b32 exec_lo, exec_lo, s41
	v_lshlrev_b32_e32 v0, 16, v0
	s_delay_alu instid0(VALU_DEP_1) | instskip(NEXT) | instid1(VALU_DEP_1)
	v_and_b32_e32 v0, 0x80000000, v0
	v_lshl_add_u32 v0, v1, 23, v0
	s_delay_alu instid0(VALU_DEP_1) | instskip(NEXT) | instid1(VALU_DEP_1)
	v_lshl_or_b32 v0, v8, 21, v0
                                        ; implicit-def: $vgpr8
	v_add_nc_u32_e32 v7, 0x38000000, v0
                                        ; implicit-def: $vgpr0_vgpr1
.LBB6_9438:                             ;   in Loop: Header=BB6_7543 Depth=2
	s_and_not1_saveexec_b32 s14, s14
; %bb.9439:                             ;   in Loop: Header=BB6_7543 Depth=2
	v_cmp_lt_i16_e32 vcc_lo, -1, v0
	v_cndmask_b32_e32 v0, 0xff800000, v75, vcc_lo
	v_cmp_eq_u32_e32 vcc_lo, 0, v8
	s_delay_alu instid0(VALU_DEP_2)
	v_cndmask_b32_e32 v7, 0x7f800001, v0, vcc_lo
; %bb.9440:                             ;   in Loop: Header=BB6_7543 Depth=2
	s_or_b32 exec_lo, exec_lo, s14
.LBB6_9441:                             ;   in Loop: Header=BB6_7543 Depth=2
	s_delay_alu instid0(SALU_CYCLE_1)
	s_or_b32 exec_lo, exec_lo, s10
.LBB6_9442:                             ;   in Loop: Header=BB6_7543 Depth=2
	s_delay_alu instid0(SALU_CYCLE_1) | instskip(NEXT) | instid1(VALU_DEP_1)
	s_or_b32 exec_lo, exec_lo, s7
	v_dual_max_num_f32 v0, v7, v7 :: v_dual_max_num_f32 v1, v9, v9
	s_delay_alu instid0(VALU_DEP_1)
	v_min_num_f32_e32 v7, v1, v0
.LBB6_9443:                             ;   in Loop: Header=BB6_7543 Depth=2
	s_delay_alu instid0(VALU_DEP_1) | instskip(SKIP_2) | instid1(VALU_DEP_2)
	v_and_b32_e32 v0, 0x7f800000, v7
	v_mov_b32_e32 v1, v25
	v_and_b32_e32 v24, 0x7fffff, v7
                                        ; implicit-def: $vgpr82
	v_cmp_ne_u64_e32 vcc_lo, 0x7f800000, v[0:1]
	v_lshrrev_b32_e32 v0, 24, v7
	s_and_saveexec_b32 s7, vcc_lo
	s_delay_alu instid0(SALU_CYCLE_1)
	s_xor_b32 s10, exec_lo, s7
	s_cbranch_execz .LBB6_9457
; %bb.9444:                             ;   in Loop: Header=BB6_7543 Depth=2
	v_and_b32_e32 v8, 0x7fffffff, v7
	v_mov_b32_e32 v9, v25
                                        ; implicit-def: $vgpr82
	s_delay_alu instid0(VALU_DEP_1) | instskip(SKIP_2) | instid1(SALU_CYCLE_1)
	v_cmp_gt_u64_e32 vcc_lo, 0x47600001, v[8:9]
	v_and_b32_e32 v8, 0x80, v0
	s_and_saveexec_b32 s7, vcc_lo
	s_xor_b32 s14, exec_lo, s7
	s_cbranch_execz .LBB6_9454
; %bb.9445:                             ;   in Loop: Header=BB6_7543 Depth=2
	v_mov_b32_e32 v82, 0
	s_mov_b32 s41, exec_lo
	v_cmpx_ne_u32_e32 0, v7
	s_cbranch_execz .LBB6_9453
; %bb.9446:                             ;   in Loop: Header=BB6_7543 Depth=2
	v_bfe_u32 v9, v7, 23, 8
	v_or_b32_e32 v6, 0x800000, v24
	s_delay_alu instid0(VALU_DEP_2) | instskip(SKIP_1) | instid1(VALU_DEP_2)
	v_sub_nc_u32_e32 v0, 0x71, v9
	v_cmp_gt_u32_e32 vcc_lo, 0x72, v9
	v_cndmask_b32_e32 v0, 0, v0, vcc_lo
	v_cmp_eq_u32_e32 vcc_lo, 0, v9
	s_delay_alu instid0(VALU_DEP_2) | instskip(NEXT) | instid1(VALU_DEP_1)
	v_cndmask_b32_e64 v82, v0, 0x70, vcc_lo
	v_dual_cndmask_b32 v24, v6, v24, vcc_lo :: v_dual_add_nc_u32 v0, 21, v82
	v_add_nc_u32_e32 v7, 20, v82
	s_delay_alu instid0(VALU_DEP_2) | instskip(NEXT) | instid1(VALU_DEP_2)
	v_lshlrev_b64_e64 v[0:1], v0, -1
	v_lshlrev_b64_e64 v[6:7], v7, 1
	s_delay_alu instid0(VALU_DEP_2) | instskip(NEXT) | instid1(VALU_DEP_3)
	v_bfi_b32 v85, v1, 0, 0
	v_bfi_b32 v84, v0, 0, v24
	v_lshrrev_b64 v[0:1], v82, v[24:25]
	s_delay_alu instid0(VALU_DEP_2) | instskip(NEXT) | instid1(VALU_DEP_2)
	v_cmp_eq_u64_e64 s7, v[84:85], v[6:7]
	v_mov_b64_e32 v[6:7], v[0:1]
	s_and_saveexec_b32 s42, s7
; %bb.9447:                             ;   in Loop: Header=BB6_7543 Depth=2
	v_bfe_u32 v24, v0, 21, 1
	s_delay_alu instid0(VALU_DEP_1) | instskip(NEXT) | instid1(VALU_DEP_1)
	v_add_nc_u64_e32 v[6:7], v[0:1], v[24:25]
	v_add_nc_u64_e32 v[6:7], -1, v[6:7]
; %bb.9448:                             ;   in Loop: Header=BB6_7543 Depth=2
	s_or_b32 exec_lo, exec_lo, s42
	v_add_nc_u32_e32 v1, 0xffffff81, v9
	v_lshrrev_b32_e32 v7, 23, v0
	s_mov_b32 s7, exec_lo
	s_delay_alu instid0(VALU_DEP_2) | instskip(NEXT) | instid1(VALU_DEP_1)
	v_cndmask_b32_e64 v1, v1, 0xffffff82, vcc_lo
	v_add3_u32 v7, v82, v1, v7
	v_and_b32_e32 v1, 0x1fffff, v6
                                        ; implicit-def: $vgpr6
	s_delay_alu instid0(VALU_DEP_1) | instskip(NEXT) | instid1(VALU_DEP_1)
	v_dual_add_nc_u32 v9, 14, v7 :: v_dual_add_nc_u32 v24, v1, v0
                                        ; implicit-def: $vgpr0_vgpr1
	v_cmpx_ne_u32_e32 0, v9
	s_xor_b32 s7, exec_lo, s7
; %bb.9449:                             ;   in Loop: Header=BB6_7543 Depth=2
	s_delay_alu instid0(VALU_DEP_2) | instskip(SKIP_1) | instid1(VALU_DEP_1)
	v_cmp_lt_u64_e32 vcc_lo, 0xffffff, v[24:25]
	v_add_nc_u32_e32 v0, 15, v7
	v_cndmask_b32_e32 v6, v9, v0, vcc_lo
	v_cndmask_b32_e64 v0, 0, 1, vcc_lo
	s_delay_alu instid0(VALU_DEP_1)
	v_lshrrev_b64 v[0:1], v0, v[24:25]
; %bb.9450:                             ;   in Loop: Header=BB6_7543 Depth=2
	s_and_not1_saveexec_b32 s7, s7
; %bb.9451:                             ;   in Loop: Header=BB6_7543 Depth=2
	v_mov_b64_e32 v[0:1], v[24:25]
	v_bfe_u32 v6, v24, 23, 1
; %bb.9452:                             ;   in Loop: Header=BB6_7543 Depth=2
	s_or_b32 exec_lo, exec_lo, s7
	s_delay_alu instid0(VALU_DEP_2) | instskip(NEXT) | instid1(VALU_DEP_2)
	v_lshrrev_b64 v[0:1], 21, v[0:1]
	v_cmp_gt_i32_e32 vcc_lo, 32, v6
	v_min_i32_e32 v7, 31, v6
	v_cmp_eq_u32_e64 s7, 0, v6
	s_delay_alu instid0(VALU_DEP_2) | instskip(SKIP_1) | instid1(VALU_DEP_2)
	v_dual_cndmask_b32 v1, 0, v1, vcc_lo :: v_dual_lshlrev_b32 v7, 2, v7
	v_cndmask_b32_e32 v0, 3, v0, vcc_lo
	v_and_b32_e32 v7, 0xfc, v7
	s_delay_alu instid0(VALU_DEP_2) | instskip(NEXT) | instid1(VALU_DEP_2)
	v_cmp_eq_u64_e32 vcc_lo, 0, v[0:1]
	v_and_or_b32 v0, v0, 3, v7
	s_and_b32 s7, s7, vcc_lo
	s_delay_alu instid0(VALU_DEP_1) | instid1(SALU_CYCLE_1)
	v_cndmask_b32_e64 v0, v0, 0, s7
	s_delay_alu instid0(VALU_DEP_1)
	v_or_b32_e32 v82, v0, v8
.LBB6_9453:                             ;   in Loop: Header=BB6_7543 Depth=2
	s_or_b32 exec_lo, exec_lo, s41
                                        ; implicit-def: $vgpr8
.LBB6_9454:                             ;   in Loop: Header=BB6_7543 Depth=2
	s_and_not1_saveexec_b32 s7, s14
; %bb.9455:                             ;   in Loop: Header=BB6_7543 Depth=2
	v_or_b32_e32 v82, 0x7b, v8
; %bb.9456:                             ;   in Loop: Header=BB6_7543 Depth=2
	s_or_b32 exec_lo, exec_lo, s7
                                        ; implicit-def: $vgpr7
                                        ; implicit-def: $vgpr0
.LBB6_9457:                             ;   in Loop: Header=BB6_7543 Depth=2
	s_and_not1_saveexec_b32 s7, s10
	s_cbranch_execz .LBB6_9463
; %bb.9458:                             ;   in Loop: Header=BB6_7543 Depth=2
	s_mov_b32 s10, exec_lo
                                        ; implicit-def: $vgpr82
	v_cmpx_ne_u64_e32 0, v[24:25]
	s_xor_b32 s10, exec_lo, s10
; %bb.9459:                             ;   in Loop: Header=BB6_7543 Depth=2
	v_or_b32_e32 v82, 0x7f, v0
                                        ; implicit-def: $vgpr7
; %bb.9460:                             ;   in Loop: Header=BB6_7543 Depth=2
	s_and_not1_saveexec_b32 s10, s10
; %bb.9461:                             ;   in Loop: Header=BB6_7543 Depth=2
	v_cmp_lt_i32_e32 vcc_lo, -1, v7
	v_cndmask_b32_e32 v82, 0xfc, v41, vcc_lo
; %bb.9462:                             ;   in Loop: Header=BB6_7543 Depth=2
	s_or_b32 exec_lo, exec_lo, s10
.LBB6_9463:                             ;   in Loop: Header=BB6_7543 Depth=2
	s_delay_alu instid0(SALU_CYCLE_1) | instskip(SKIP_3) | instid1(VALU_DEP_1)
	s_or_b32 exec_lo, exec_lo, s7
	v_dual_lshrrev_b32 v6, 16, v35 :: v_dual_lshrrev_b32 v0, 16, v29
	s_and_not1_b32 vcc_lo, exec_lo, s13
	s_mov_b32 s10, -1
                                        ; implicit-def: $vgpr7
	v_and_b32_e32 v1, 0xff, v6
	s_delay_alu instid0(VALU_DEP_1)
	v_cmp_ne_u16_e64 s7, 0, v1
	s_cbranch_vccnz .LBB6_9485
; %bb.9464:                             ;   in Loop: Header=BB6_7543 Depth=2
	v_dual_mov_b32 v8, 0 :: v_dual_mov_b32 v7, 0
	s_and_saveexec_b32 s10, s7
	s_cbranch_execz .LBB6_9474
; %bb.9465:                             ;   in Loop: Header=BB6_7543 Depth=2
	v_bfrev_b32_e32 v7, 1
	s_mov_b32 s14, exec_lo
	v_cmpx_ne_u16_e32 0x80, v1
	s_cbranch_execz .LBB6_9473
; %bb.9466:                             ;   in Loop: Header=BB6_7543 Depth=2
	v_and_b32_e32 v7, 0x7c0000, v35
	v_bfe_u32 v9, v35, 16, 2
	s_delay_alu instid0(VALU_DEP_2) | instskip(SKIP_1) | instid1(SALU_CYCLE_1)
	v_cmp_ne_u32_e32 vcc_lo, 0x7c0000, v7
                                        ; implicit-def: $vgpr7
	s_and_saveexec_b32 s41, vcc_lo
	s_xor_b32 s41, exec_lo, s41
	s_cbranch_execz .LBB6_9470
; %bb.9467:                             ;   in Loop: Header=BB6_7543 Depth=2
	v_bfe_u32 v7, v35, 18, 5
	s_mov_b32 s42, exec_lo
	s_delay_alu instid0(VALU_DEP_1)
	v_cmpx_eq_u32_e32 0, v7
; %bb.9468:                             ;   in Loop: Header=BB6_7543 Depth=2
	v_clz_i32_u32_e32 v7, v9
	s_delay_alu instid0(VALU_DEP_1) | instskip(NEXT) | instid1(VALU_DEP_1)
	v_min_u32_e32 v7, 32, v7
	v_subrev_nc_u32_e32 v9, 29, v7
	s_delay_alu instid0(VALU_DEP_1) | instskip(NEXT) | instid1(VALU_DEP_1)
	v_lshlrev_b64_e32 v[84:85], v9, v[6:7]
	v_dual_sub_nc_u32 v7, 30, v7 :: v_dual_bitop2_b32 v9, 3, v84 bitop3:0x40
; %bb.9469:                             ;   in Loop: Header=BB6_7543 Depth=2
	s_or_b32 exec_lo, exec_lo, s42
	v_lshlrev_b32_e32 v24, 24, v6
	s_delay_alu instid0(VALU_DEP_1) | instskip(NEXT) | instid1(VALU_DEP_1)
	v_and_b32_e32 v24, 0x80000000, v24
	v_lshl_add_u32 v7, v7, 23, v24
	s_delay_alu instid0(VALU_DEP_1) | instskip(NEXT) | instid1(VALU_DEP_1)
	v_lshl_or_b32 v7, v9, 21, v7
                                        ; implicit-def: $vgpr9
	v_add_nc_u32_e32 v7, 0x38000000, v7
.LBB6_9470:                             ;   in Loop: Header=BB6_7543 Depth=2
	s_and_not1_saveexec_b32 s41, s41
; %bb.9471:                             ;   in Loop: Header=BB6_7543 Depth=2
	v_bfe_i32 v7, v6, 0, 8
	s_delay_alu instid0(VALU_DEP_1) | instskip(SKIP_2) | instid1(VALU_DEP_2)
	v_cmp_lt_i16_e32 vcc_lo, -1, v7
	v_cndmask_b32_e32 v7, 0xff800000, v75, vcc_lo
	v_cmp_eq_u32_e32 vcc_lo, 0, v9
	v_cndmask_b32_e32 v7, 0x7f800001, v7, vcc_lo
; %bb.9472:                             ;   in Loop: Header=BB6_7543 Depth=2
	s_or_b32 exec_lo, exec_lo, s41
.LBB6_9473:                             ;   in Loop: Header=BB6_7543 Depth=2
	s_delay_alu instid0(SALU_CYCLE_1)
	s_or_b32 exec_lo, exec_lo, s14
.LBB6_9474:                             ;   in Loop: Header=BB6_7543 Depth=2
	s_delay_alu instid0(SALU_CYCLE_1) | instskip(SKIP_2) | instid1(VALU_DEP_1)
	s_or_b32 exec_lo, exec_lo, s10
	v_and_b32_e32 v9, 0xff, v0
	s_mov_b32 s10, exec_lo
	v_cmpx_ne_u16_e32 0, v9
	s_cbranch_execz .LBB6_9484
; %bb.9475:                             ;   in Loop: Header=BB6_7543 Depth=2
	v_bfrev_b32_e32 v8, 1
	s_mov_b32 s14, exec_lo
	v_cmpx_ne_u16_e32 0x80, v9
	s_cbranch_execz .LBB6_9483
; %bb.9476:                             ;   in Loop: Header=BB6_7543 Depth=2
	v_and_b32_e32 v8, 0x7c0000, v29
	v_bfe_u32 v9, v29, 16, 2
	s_delay_alu instid0(VALU_DEP_2) | instskip(SKIP_1) | instid1(SALU_CYCLE_1)
	v_cmp_ne_u32_e32 vcc_lo, 0x7c0000, v8
                                        ; implicit-def: $vgpr8
	s_and_saveexec_b32 s41, vcc_lo
	s_xor_b32 s41, exec_lo, s41
	s_cbranch_execz .LBB6_9480
; %bb.9477:                             ;   in Loop: Header=BB6_7543 Depth=2
	v_bfe_u32 v8, v29, 18, 5
	s_mov_b32 s42, exec_lo
	s_delay_alu instid0(VALU_DEP_1)
	v_cmpx_eq_u32_e32 0, v8
; %bb.9478:                             ;   in Loop: Header=BB6_7543 Depth=2
	v_clz_i32_u32_e32 v8, v9
	s_delay_alu instid0(VALU_DEP_1) | instskip(NEXT) | instid1(VALU_DEP_1)
	v_min_u32_e32 v8, 32, v8
	v_subrev_nc_u32_e32 v9, 29, v8
	v_sub_nc_u32_e32 v8, 30, v8
	s_delay_alu instid0(VALU_DEP_2) | instskip(NEXT) | instid1(VALU_DEP_1)
	v_lshlrev_b64_e32 v[84:85], v9, v[0:1]
	v_and_b32_e32 v9, 3, v84
; %bb.9479:                             ;   in Loop: Header=BB6_7543 Depth=2
	s_or_b32 exec_lo, exec_lo, s42
	v_lshlrev_b32_e32 v24, 24, v0
	s_delay_alu instid0(VALU_DEP_1) | instskip(NEXT) | instid1(VALU_DEP_1)
	v_and_b32_e32 v24, 0x80000000, v24
	v_lshl_add_u32 v8, v8, 23, v24
	s_delay_alu instid0(VALU_DEP_1) | instskip(NEXT) | instid1(VALU_DEP_1)
	v_lshl_or_b32 v8, v9, 21, v8
                                        ; implicit-def: $vgpr9
	v_add_nc_u32_e32 v8, 0x38000000, v8
.LBB6_9480:                             ;   in Loop: Header=BB6_7543 Depth=2
	s_and_not1_saveexec_b32 s41, s41
; %bb.9481:                             ;   in Loop: Header=BB6_7543 Depth=2
	v_bfe_i32 v8, v0, 0, 8
	s_delay_alu instid0(VALU_DEP_1) | instskip(SKIP_2) | instid1(VALU_DEP_2)
	v_cmp_lt_i16_e32 vcc_lo, -1, v8
	v_cndmask_b32_e32 v8, 0xff800000, v75, vcc_lo
	v_cmp_eq_u32_e32 vcc_lo, 0, v9
	v_cndmask_b32_e32 v8, 0x7f800001, v8, vcc_lo
; %bb.9482:                             ;   in Loop: Header=BB6_7543 Depth=2
	s_or_b32 exec_lo, exec_lo, s41
.LBB6_9483:                             ;   in Loop: Header=BB6_7543 Depth=2
	s_delay_alu instid0(SALU_CYCLE_1)
	s_or_b32 exec_lo, exec_lo, s14
.LBB6_9484:                             ;   in Loop: Header=BB6_7543 Depth=2
	s_delay_alu instid0(SALU_CYCLE_1) | instskip(NEXT) | instid1(VALU_DEP_1)
	s_or_b32 exec_lo, exec_lo, s10
	v_dual_max_num_f32 v8, v8, v8 :: v_dual_max_num_f32 v7, v7, v7
	s_mov_b32 s10, 0
	s_delay_alu instid0(VALU_DEP_1)
	v_max_num_f32_e32 v7, v7, v8
.LBB6_9485:                             ;   in Loop: Header=BB6_7543 Depth=2
	s_and_b32 vcc_lo, exec_lo, s10
	s_cbranch_vccz .LBB6_9507
; %bb.9486:                             ;   in Loop: Header=BB6_7543 Depth=2
	v_dual_mov_b32 v8, 0 :: v_dual_mov_b32 v7, 0
	s_and_saveexec_b32 s10, s7
	s_cbranch_execz .LBB6_9496
; %bb.9487:                             ;   in Loop: Header=BB6_7543 Depth=2
	v_bfrev_b32_e32 v7, 1
	s_mov_b32 s7, exec_lo
	v_cmpx_ne_u16_e32 0x80, v1
	s_cbranch_execz .LBB6_9495
; %bb.9488:                             ;   in Loop: Header=BB6_7543 Depth=2
	v_and_b32_e32 v7, 0x7c0000, v35
	v_bfe_u32 v1, v35, 16, 2
	s_delay_alu instid0(VALU_DEP_2) | instskip(SKIP_1) | instid1(SALU_CYCLE_1)
	v_cmp_ne_u32_e32 vcc_lo, 0x7c0000, v7
                                        ; implicit-def: $vgpr7
	s_and_saveexec_b32 s14, vcc_lo
	s_xor_b32 s14, exec_lo, s14
	s_cbranch_execz .LBB6_9492
; %bb.9489:                             ;   in Loop: Header=BB6_7543 Depth=2
	v_bfe_u32 v7, v35, 18, 5
	s_mov_b32 s41, exec_lo
	s_delay_alu instid0(VALU_DEP_1)
	v_cmpx_eq_u32_e32 0, v7
; %bb.9490:                             ;   in Loop: Header=BB6_7543 Depth=2
	v_clz_i32_u32_e32 v1, v1
	s_delay_alu instid0(VALU_DEP_1) | instskip(NEXT) | instid1(VALU_DEP_1)
	v_min_u32_e32 v1, 32, v1
	v_subrev_nc_u32_e32 v7, 29, v1
	s_delay_alu instid0(VALU_DEP_1) | instskip(NEXT) | instid1(VALU_DEP_1)
	v_lshlrev_b64_e32 v[84:85], v7, v[6:7]
	v_dual_sub_nc_u32 v7, 30, v1 :: v_dual_bitop2_b32 v1, 3, v84 bitop3:0x40
; %bb.9491:                             ;   in Loop: Header=BB6_7543 Depth=2
	s_or_b32 exec_lo, exec_lo, s41
	v_lshlrev_b32_e32 v6, 24, v6
	s_delay_alu instid0(VALU_DEP_1) | instskip(NEXT) | instid1(VALU_DEP_1)
	v_and_b32_e32 v6, 0x80000000, v6
	v_lshl_add_u32 v6, v7, 23, v6
	s_delay_alu instid0(VALU_DEP_1) | instskip(NEXT) | instid1(VALU_DEP_1)
	v_lshl_or_b32 v1, v1, 21, v6
                                        ; implicit-def: $vgpr6
	v_add_nc_u32_e32 v7, 0x38000000, v1
                                        ; implicit-def: $vgpr1
.LBB6_9492:                             ;   in Loop: Header=BB6_7543 Depth=2
	s_and_not1_saveexec_b32 s14, s14
; %bb.9493:                             ;   in Loop: Header=BB6_7543 Depth=2
	v_bfe_i32 v6, v6, 0, 8
	s_delay_alu instid0(VALU_DEP_1) | instskip(SKIP_2) | instid1(VALU_DEP_2)
	v_cmp_lt_i16_e32 vcc_lo, -1, v6
	v_cndmask_b32_e32 v6, 0xff800000, v75, vcc_lo
	v_cmp_eq_u32_e32 vcc_lo, 0, v1
	v_cndmask_b32_e32 v7, 0x7f800001, v6, vcc_lo
; %bb.9494:                             ;   in Loop: Header=BB6_7543 Depth=2
	s_or_b32 exec_lo, exec_lo, s14
.LBB6_9495:                             ;   in Loop: Header=BB6_7543 Depth=2
	s_delay_alu instid0(SALU_CYCLE_1)
	s_or_b32 exec_lo, exec_lo, s7
.LBB6_9496:                             ;   in Loop: Header=BB6_7543 Depth=2
	s_delay_alu instid0(SALU_CYCLE_1) | instskip(SKIP_2) | instid1(VALU_DEP_1)
	s_or_b32 exec_lo, exec_lo, s10
	v_and_b32_e32 v1, 0xff, v0
	s_mov_b32 s7, exec_lo
	v_cmpx_ne_u16_e32 0, v1
	s_cbranch_execz .LBB6_9506
; %bb.9497:                             ;   in Loop: Header=BB6_7543 Depth=2
	v_bfrev_b32_e32 v8, 1
	s_mov_b32 s10, exec_lo
	v_cmpx_ne_u16_e32 0x80, v1
	s_cbranch_execz .LBB6_9505
; %bb.9498:                             ;   in Loop: Header=BB6_7543 Depth=2
	v_and_b32_e32 v6, 0x7c0000, v29
	v_bfe_u32 v1, v29, 16, 2
	s_mov_b32 s14, exec_lo
                                        ; implicit-def: $vgpr8
	s_delay_alu instid0(VALU_DEP_2)
	v_cmpx_ne_u32_e32 0x7c0000, v6
	s_xor_b32 s14, exec_lo, s14
	s_cbranch_execz .LBB6_9502
; %bb.9499:                             ;   in Loop: Header=BB6_7543 Depth=2
	v_bfe_u32 v6, v29, 18, 5
	s_mov_b32 s41, exec_lo
	s_delay_alu instid0(VALU_DEP_1)
	v_cmpx_eq_u32_e32 0, v6
; %bb.9500:                             ;   in Loop: Header=BB6_7543 Depth=2
	v_clz_i32_u32_e32 v1, v1
	s_delay_alu instid0(VALU_DEP_1) | instskip(NEXT) | instid1(VALU_DEP_1)
	v_min_u32_e32 v1, 32, v1
	v_subrev_nc_u32_e32 v6, 29, v1
	s_delay_alu instid0(VALU_DEP_1) | instskip(NEXT) | instid1(VALU_DEP_1)
	v_lshlrev_b64_e32 v[8:9], v6, v[0:1]
	v_dual_sub_nc_u32 v6, 30, v1 :: v_dual_bitop2_b32 v1, 3, v8 bitop3:0x40
; %bb.9501:                             ;   in Loop: Header=BB6_7543 Depth=2
	s_or_b32 exec_lo, exec_lo, s41
	v_lshlrev_b32_e32 v0, 24, v0
	s_delay_alu instid0(VALU_DEP_1) | instskip(NEXT) | instid1(VALU_DEP_1)
	v_and_b32_e32 v0, 0x80000000, v0
	v_lshl_add_u32 v0, v6, 23, v0
	s_delay_alu instid0(VALU_DEP_1) | instskip(NEXT) | instid1(VALU_DEP_1)
	v_lshl_or_b32 v0, v1, 21, v0
                                        ; implicit-def: $vgpr1
	v_add_nc_u32_e32 v8, 0x38000000, v0
                                        ; implicit-def: $vgpr0
.LBB6_9502:                             ;   in Loop: Header=BB6_7543 Depth=2
	s_and_not1_saveexec_b32 s14, s14
; %bb.9503:                             ;   in Loop: Header=BB6_7543 Depth=2
	v_bfe_i32 v0, v0, 0, 8
	s_delay_alu instid0(VALU_DEP_1) | instskip(SKIP_2) | instid1(VALU_DEP_2)
	v_cmp_lt_i16_e32 vcc_lo, -1, v0
	v_cndmask_b32_e32 v0, 0xff800000, v75, vcc_lo
	v_cmp_eq_u32_e32 vcc_lo, 0, v1
	v_cndmask_b32_e32 v8, 0x7f800001, v0, vcc_lo
; %bb.9504:                             ;   in Loop: Header=BB6_7543 Depth=2
	s_or_b32 exec_lo, exec_lo, s14
.LBB6_9505:                             ;   in Loop: Header=BB6_7543 Depth=2
	s_delay_alu instid0(SALU_CYCLE_1)
	s_or_b32 exec_lo, exec_lo, s10
.LBB6_9506:                             ;   in Loop: Header=BB6_7543 Depth=2
	s_delay_alu instid0(SALU_CYCLE_1) | instskip(NEXT) | instid1(VALU_DEP_1)
	s_or_b32 exec_lo, exec_lo, s7
	v_dual_max_num_f32 v0, v8, v8 :: v_dual_max_num_f32 v1, v7, v7
	s_delay_alu instid0(VALU_DEP_1)
	v_min_num_f32_e32 v7, v1, v0
.LBB6_9507:                             ;   in Loop: Header=BB6_7543 Depth=2
	s_delay_alu instid0(VALU_DEP_1) | instskip(SKIP_2) | instid1(VALU_DEP_2)
	v_and_b32_e32 v0, 0x7f800000, v7
	v_mov_b32_e32 v1, v25
	v_and_b32_e32 v24, 0x7fffff, v7
                                        ; implicit-def: $vgpr83
	v_cmp_ne_u64_e32 vcc_lo, 0x7f800000, v[0:1]
	v_lshrrev_b32_e32 v0, 24, v7
	s_and_saveexec_b32 s7, vcc_lo
	s_delay_alu instid0(SALU_CYCLE_1)
	s_xor_b32 s10, exec_lo, s7
	s_cbranch_execz .LBB6_9521
; %bb.9508:                             ;   in Loop: Header=BB6_7543 Depth=2
	v_and_b32_e32 v8, 0x7fffffff, v7
	v_mov_b32_e32 v9, v25
                                        ; implicit-def: $vgpr83
	s_delay_alu instid0(VALU_DEP_1) | instskip(SKIP_2) | instid1(SALU_CYCLE_1)
	v_cmp_gt_u64_e32 vcc_lo, 0x47600001, v[8:9]
	v_and_b32_e32 v8, 0x80, v0
	s_and_saveexec_b32 s7, vcc_lo
	s_xor_b32 s14, exec_lo, s7
	s_cbranch_execz .LBB6_9518
; %bb.9509:                             ;   in Loop: Header=BB6_7543 Depth=2
	v_mov_b32_e32 v83, 0
	s_mov_b32 s41, exec_lo
	v_cmpx_ne_u32_e32 0, v7
	s_cbranch_execz .LBB6_9517
; %bb.9510:                             ;   in Loop: Header=BB6_7543 Depth=2
	v_bfe_u32 v9, v7, 23, 8
	v_or_b32_e32 v6, 0x800000, v24
	s_delay_alu instid0(VALU_DEP_2) | instskip(SKIP_1) | instid1(VALU_DEP_2)
	v_sub_nc_u32_e32 v0, 0x71, v9
	v_cmp_gt_u32_e32 vcc_lo, 0x72, v9
	v_cndmask_b32_e32 v0, 0, v0, vcc_lo
	v_cmp_eq_u32_e32 vcc_lo, 0, v9
	s_delay_alu instid0(VALU_DEP_2) | instskip(NEXT) | instid1(VALU_DEP_1)
	v_cndmask_b32_e64 v83, v0, 0x70, vcc_lo
	v_dual_cndmask_b32 v24, v6, v24, vcc_lo :: v_dual_add_nc_u32 v0, 21, v83
	v_add_nc_u32_e32 v7, 20, v83
	s_delay_alu instid0(VALU_DEP_2) | instskip(NEXT) | instid1(VALU_DEP_2)
	v_lshlrev_b64_e64 v[0:1], v0, -1
	v_lshlrev_b64_e64 v[6:7], v7, 1
	s_delay_alu instid0(VALU_DEP_2) | instskip(NEXT) | instid1(VALU_DEP_3)
	v_bfi_b32 v85, v1, 0, 0
	v_bfi_b32 v84, v0, 0, v24
	v_lshrrev_b64 v[0:1], v83, v[24:25]
	s_delay_alu instid0(VALU_DEP_2) | instskip(NEXT) | instid1(VALU_DEP_2)
	v_cmp_eq_u64_e64 s7, v[84:85], v[6:7]
	v_mov_b64_e32 v[6:7], v[0:1]
	s_and_saveexec_b32 s42, s7
; %bb.9511:                             ;   in Loop: Header=BB6_7543 Depth=2
	v_bfe_u32 v24, v0, 21, 1
	s_delay_alu instid0(VALU_DEP_1) | instskip(NEXT) | instid1(VALU_DEP_1)
	v_add_nc_u64_e32 v[6:7], v[0:1], v[24:25]
	v_add_nc_u64_e32 v[6:7], -1, v[6:7]
; %bb.9512:                             ;   in Loop: Header=BB6_7543 Depth=2
	s_or_b32 exec_lo, exec_lo, s42
	v_add_nc_u32_e32 v1, 0xffffff81, v9
	v_lshrrev_b32_e32 v7, 23, v0
	s_mov_b32 s7, exec_lo
	s_delay_alu instid0(VALU_DEP_2) | instskip(NEXT) | instid1(VALU_DEP_1)
	v_cndmask_b32_e64 v1, v1, 0xffffff82, vcc_lo
	v_add3_u32 v7, v83, v1, v7
	v_and_b32_e32 v1, 0x1fffff, v6
                                        ; implicit-def: $vgpr6
	s_delay_alu instid0(VALU_DEP_1) | instskip(NEXT) | instid1(VALU_DEP_1)
	v_dual_add_nc_u32 v9, 14, v7 :: v_dual_add_nc_u32 v24, v1, v0
                                        ; implicit-def: $vgpr0_vgpr1
	v_cmpx_ne_u32_e32 0, v9
	s_xor_b32 s7, exec_lo, s7
; %bb.9513:                             ;   in Loop: Header=BB6_7543 Depth=2
	s_delay_alu instid0(VALU_DEP_2) | instskip(SKIP_1) | instid1(VALU_DEP_1)
	v_cmp_lt_u64_e32 vcc_lo, 0xffffff, v[24:25]
	v_add_nc_u32_e32 v0, 15, v7
	v_cndmask_b32_e32 v6, v9, v0, vcc_lo
	v_cndmask_b32_e64 v0, 0, 1, vcc_lo
	s_delay_alu instid0(VALU_DEP_1)
	v_lshrrev_b64 v[0:1], v0, v[24:25]
; %bb.9514:                             ;   in Loop: Header=BB6_7543 Depth=2
	s_and_not1_saveexec_b32 s7, s7
; %bb.9515:                             ;   in Loop: Header=BB6_7543 Depth=2
	v_mov_b64_e32 v[0:1], v[24:25]
	v_bfe_u32 v6, v24, 23, 1
; %bb.9516:                             ;   in Loop: Header=BB6_7543 Depth=2
	s_or_b32 exec_lo, exec_lo, s7
	s_delay_alu instid0(VALU_DEP_2) | instskip(NEXT) | instid1(VALU_DEP_2)
	v_lshrrev_b64 v[0:1], 21, v[0:1]
	v_cmp_gt_i32_e32 vcc_lo, 32, v6
	v_min_i32_e32 v7, 31, v6
	v_cmp_eq_u32_e64 s7, 0, v6
	s_delay_alu instid0(VALU_DEP_2) | instskip(SKIP_1) | instid1(VALU_DEP_2)
	v_dual_cndmask_b32 v1, 0, v1, vcc_lo :: v_dual_lshlrev_b32 v7, 2, v7
	v_cndmask_b32_e32 v0, 3, v0, vcc_lo
	v_and_b32_e32 v7, 0xfc, v7
	s_delay_alu instid0(VALU_DEP_2) | instskip(NEXT) | instid1(VALU_DEP_2)
	v_cmp_eq_u64_e32 vcc_lo, 0, v[0:1]
	v_and_or_b32 v0, v0, 3, v7
	s_and_b32 s7, s7, vcc_lo
	s_delay_alu instid0(VALU_DEP_1) | instid1(SALU_CYCLE_1)
	v_cndmask_b32_e64 v0, v0, 0, s7
	s_delay_alu instid0(VALU_DEP_1)
	v_or_b32_e32 v83, v0, v8
.LBB6_9517:                             ;   in Loop: Header=BB6_7543 Depth=2
	s_or_b32 exec_lo, exec_lo, s41
                                        ; implicit-def: $vgpr8
.LBB6_9518:                             ;   in Loop: Header=BB6_7543 Depth=2
	s_and_not1_saveexec_b32 s7, s14
; %bb.9519:                             ;   in Loop: Header=BB6_7543 Depth=2
	v_or_b32_e32 v83, 0x7b, v8
; %bb.9520:                             ;   in Loop: Header=BB6_7543 Depth=2
	s_or_b32 exec_lo, exec_lo, s7
                                        ; implicit-def: $vgpr7
                                        ; implicit-def: $vgpr0
.LBB6_9521:                             ;   in Loop: Header=BB6_7543 Depth=2
	s_and_not1_saveexec_b32 s7, s10
	s_cbranch_execz .LBB6_9527
; %bb.9522:                             ;   in Loop: Header=BB6_7543 Depth=2
	s_mov_b32 s10, exec_lo
                                        ; implicit-def: $vgpr83
	v_cmpx_ne_u64_e32 0, v[24:25]
	s_xor_b32 s10, exec_lo, s10
; %bb.9523:                             ;   in Loop: Header=BB6_7543 Depth=2
	v_or_b32_e32 v83, 0x7f, v0
                                        ; implicit-def: $vgpr7
; %bb.9524:                             ;   in Loop: Header=BB6_7543 Depth=2
	s_and_not1_saveexec_b32 s10, s10
; %bb.9525:                             ;   in Loop: Header=BB6_7543 Depth=2
	v_cmp_lt_i32_e32 vcc_lo, -1, v7
	v_cndmask_b32_e32 v83, 0xfc, v41, vcc_lo
; %bb.9526:                             ;   in Loop: Header=BB6_7543 Depth=2
	s_or_b32 exec_lo, exec_lo, s10
.LBB6_9527:                             ;   in Loop: Header=BB6_7543 Depth=2
	s_delay_alu instid0(SALU_CYCLE_1)
	s_or_b32 exec_lo, exec_lo, s7
	v_cmp_lt_u64_e64 s7, s[16:17], v[34:35]
	v_dual_lshrrev_b32 v6, 24, v35 :: v_dual_lshrrev_b32 v0, 24, v29
	s_and_not1_b32 vcc_lo, exec_lo, s13
	s_mov_b32 s10, -1
                                        ; implicit-def: $vgpr1
	s_cbranch_vccnz .LBB6_9549
; %bb.9528:                             ;   in Loop: Header=BB6_7543 Depth=2
	v_dual_mov_b32 v7, 0 :: v_dual_mov_b32 v1, 0
	s_and_saveexec_b32 s10, s7
	s_cbranch_execz .LBB6_9538
; %bb.9529:                             ;   in Loop: Header=BB6_7543 Depth=2
	v_bfrev_b32_e32 v1, 1
	s_mov_b32 s14, exec_lo
	v_cmpx_ne_u32_e32 0x80, v6
	s_cbranch_execz .LBB6_9537
; %bb.9530:                             ;   in Loop: Header=BB6_7543 Depth=2
	v_and_b32_e32 v1, 0x7c000000, v35
	v_bfe_u32 v8, v35, 24, 2
	s_delay_alu instid0(VALU_DEP_2) | instskip(SKIP_1) | instid1(SALU_CYCLE_1)
	v_cmp_ne_u32_e32 vcc_lo, 0x7c000000, v1
                                        ; implicit-def: $vgpr1
	s_and_saveexec_b32 s41, vcc_lo
	s_xor_b32 s41, exec_lo, s41
	s_cbranch_execz .LBB6_9534
; %bb.9531:                             ;   in Loop: Header=BB6_7543 Depth=2
	v_bfe_u32 v1, v35, 26, 5
	s_mov_b32 s42, exec_lo
	s_delay_alu instid0(VALU_DEP_1)
	v_cmpx_eq_u32_e32 0, v1
; %bb.9532:                             ;   in Loop: Header=BB6_7543 Depth=2
	v_clz_i32_u32_e32 v1, v8
	s_delay_alu instid0(VALU_DEP_1) | instskip(NEXT) | instid1(VALU_DEP_1)
	v_min_u32_e32 v1, 32, v1
	v_subrev_nc_u32_e32 v8, 29, v1
	s_delay_alu instid0(VALU_DEP_1) | instskip(NEXT) | instid1(VALU_DEP_1)
	v_lshlrev_b64_e32 v[8:9], v8, v[6:7]
	v_dual_sub_nc_u32 v1, 30, v1 :: v_dual_bitop2_b32 v8, 3, v8 bitop3:0x40
; %bb.9533:                             ;   in Loop: Header=BB6_7543 Depth=2
	s_or_b32 exec_lo, exec_lo, s42
	v_and_b32_e32 v9, 0x80000000, v35
	s_delay_alu instid0(VALU_DEP_1) | instskip(NEXT) | instid1(VALU_DEP_1)
	v_lshl_add_u32 v1, v1, 23, v9
	v_lshl_or_b32 v1, v8, 21, v1
                                        ; implicit-def: $vgpr8
	s_delay_alu instid0(VALU_DEP_1)
	v_add_nc_u32_e32 v1, 0x38000000, v1
.LBB6_9534:                             ;   in Loop: Header=BB6_7543 Depth=2
	s_and_not1_saveexec_b32 s41, s41
; %bb.9535:                             ;   in Loop: Header=BB6_7543 Depth=2
	v_cmp_lt_i64_e32 vcc_lo, -1, v[34:35]
	v_cndmask_b32_e32 v1, 0xff800000, v75, vcc_lo
	v_cmp_eq_u32_e32 vcc_lo, 0, v8
	s_delay_alu instid0(VALU_DEP_2)
	v_cndmask_b32_e32 v1, 0x7f800001, v1, vcc_lo
; %bb.9536:                             ;   in Loop: Header=BB6_7543 Depth=2
	s_or_b32 exec_lo, exec_lo, s41
.LBB6_9537:                             ;   in Loop: Header=BB6_7543 Depth=2
	s_delay_alu instid0(SALU_CYCLE_1)
	s_or_b32 exec_lo, exec_lo, s14
.LBB6_9538:                             ;   in Loop: Header=BB6_7543 Depth=2
	s_delay_alu instid0(SALU_CYCLE_1) | instskip(NEXT) | instid1(SALU_CYCLE_1)
	s_or_b32 exec_lo, exec_lo, s10
	s_mov_b32 s10, exec_lo
	v_cmpx_lt_u64_e64 s[16:17], v[28:29]
	s_cbranch_execz .LBB6_9548
; %bb.9539:                             ;   in Loop: Header=BB6_7543 Depth=2
	v_bfrev_b32_e32 v7, 1
	s_mov_b32 s14, exec_lo
	v_cmpx_ne_u32_e32 0x80, v0
	s_cbranch_execz .LBB6_9547
; %bb.9540:                             ;   in Loop: Header=BB6_7543 Depth=2
	v_and_b32_e32 v7, 0x7c000000, v29
	v_bfe_u32 v8, v29, 24, 2
	s_delay_alu instid0(VALU_DEP_2) | instskip(SKIP_1) | instid1(SALU_CYCLE_1)
	v_cmp_ne_u32_e32 vcc_lo, 0x7c000000, v7
                                        ; implicit-def: $vgpr7
	s_and_saveexec_b32 s41, vcc_lo
	s_xor_b32 s41, exec_lo, s41
	s_cbranch_execz .LBB6_9544
; %bb.9541:                             ;   in Loop: Header=BB6_7543 Depth=2
	v_bfe_u32 v7, v29, 26, 5
	s_mov_b32 s42, exec_lo
	s_delay_alu instid0(VALU_DEP_1)
	v_cmpx_eq_u32_e32 0, v7
; %bb.9542:                             ;   in Loop: Header=BB6_7543 Depth=2
	v_clz_i32_u32_e32 v7, v8
	s_delay_alu instid0(VALU_DEP_1) | instskip(NEXT) | instid1(VALU_DEP_1)
	v_min_u32_e32 v7, 32, v7
	v_subrev_nc_u32_e32 v8, 29, v7
	s_delay_alu instid0(VALU_DEP_1) | instskip(NEXT) | instid1(VALU_DEP_1)
	v_lshlrev_b64_e32 v[8:9], v8, v[0:1]
	v_dual_sub_nc_u32 v7, 30, v7 :: v_dual_bitop2_b32 v8, 3, v8 bitop3:0x40
; %bb.9543:                             ;   in Loop: Header=BB6_7543 Depth=2
	s_or_b32 exec_lo, exec_lo, s42
	v_and_b32_e32 v9, 0x80000000, v29
	s_delay_alu instid0(VALU_DEP_1) | instskip(NEXT) | instid1(VALU_DEP_1)
	v_lshl_add_u32 v7, v7, 23, v9
	v_lshl_or_b32 v7, v8, 21, v7
                                        ; implicit-def: $vgpr8
	s_delay_alu instid0(VALU_DEP_1)
	v_add_nc_u32_e32 v7, 0x38000000, v7
.LBB6_9544:                             ;   in Loop: Header=BB6_7543 Depth=2
	s_and_not1_saveexec_b32 s41, s41
; %bb.9545:                             ;   in Loop: Header=BB6_7543 Depth=2
	v_cmp_lt_i64_e32 vcc_lo, -1, v[28:29]
	v_cndmask_b32_e32 v7, 0xff800000, v75, vcc_lo
	v_cmp_eq_u32_e32 vcc_lo, 0, v8
	s_delay_alu instid0(VALU_DEP_2)
	v_cndmask_b32_e32 v7, 0x7f800001, v7, vcc_lo
; %bb.9546:                             ;   in Loop: Header=BB6_7543 Depth=2
	s_or_b32 exec_lo, exec_lo, s41
.LBB6_9547:                             ;   in Loop: Header=BB6_7543 Depth=2
	s_delay_alu instid0(SALU_CYCLE_1)
	s_or_b32 exec_lo, exec_lo, s14
.LBB6_9548:                             ;   in Loop: Header=BB6_7543 Depth=2
	s_delay_alu instid0(SALU_CYCLE_1) | instskip(NEXT) | instid1(VALU_DEP_1)
	s_or_b32 exec_lo, exec_lo, s10
	v_dual_max_num_f32 v7, v7, v7 :: v_dual_max_num_f32 v1, v1, v1
	s_mov_b32 s10, 0
	s_delay_alu instid0(VALU_DEP_1)
	v_max_num_f32_e32 v1, v1, v7
.LBB6_9549:                             ;   in Loop: Header=BB6_7543 Depth=2
	s_and_b32 vcc_lo, exec_lo, s10
	s_cbranch_vccz .LBB6_9571
; %bb.9550:                             ;   in Loop: Header=BB6_7543 Depth=2
	v_dual_mov_b32 v7, 0 :: v_dual_mov_b32 v1, 0
	s_and_saveexec_b32 s10, s7
	s_cbranch_execz .LBB6_9560
; %bb.9551:                             ;   in Loop: Header=BB6_7543 Depth=2
	v_bfrev_b32_e32 v1, 1
	s_mov_b32 s7, exec_lo
	v_cmpx_ne_u32_e32 0x80, v6
	s_cbranch_execz .LBB6_9559
; %bb.9552:                             ;   in Loop: Header=BB6_7543 Depth=2
	v_and_b32_e32 v1, 0x7c000000, v35
	v_bfe_u32 v8, v35, 24, 2
	s_delay_alu instid0(VALU_DEP_2) | instskip(SKIP_1) | instid1(SALU_CYCLE_1)
	v_cmp_ne_u32_e32 vcc_lo, 0x7c000000, v1
                                        ; implicit-def: $vgpr1
	s_and_saveexec_b32 s14, vcc_lo
	s_xor_b32 s14, exec_lo, s14
	s_cbranch_execz .LBB6_9556
; %bb.9553:                             ;   in Loop: Header=BB6_7543 Depth=2
	v_bfe_u32 v1, v35, 26, 5
	s_mov_b32 s41, exec_lo
	s_delay_alu instid0(VALU_DEP_1)
	v_cmpx_eq_u32_e32 0, v1
; %bb.9554:                             ;   in Loop: Header=BB6_7543 Depth=2
	v_clz_i32_u32_e32 v1, v8
	s_delay_alu instid0(VALU_DEP_1) | instskip(NEXT) | instid1(VALU_DEP_1)
	v_min_u32_e32 v1, 32, v1
	v_subrev_nc_u32_e32 v8, 29, v1
	s_delay_alu instid0(VALU_DEP_1) | instskip(NEXT) | instid1(VALU_DEP_1)
	v_lshlrev_b64_e32 v[8:9], v8, v[6:7]
	v_dual_sub_nc_u32 v1, 30, v1 :: v_dual_bitop2_b32 v8, 3, v8 bitop3:0x40
; %bb.9555:                             ;   in Loop: Header=BB6_7543 Depth=2
	s_or_b32 exec_lo, exec_lo, s41
	v_and_b32_e32 v6, 0x80000000, v35
                                        ; implicit-def: $vgpr34_vgpr35
	s_delay_alu instid0(VALU_DEP_1) | instskip(NEXT) | instid1(VALU_DEP_1)
	v_lshl_add_u32 v1, v1, 23, v6
	v_lshl_or_b32 v1, v8, 21, v1
                                        ; implicit-def: $vgpr8
	s_delay_alu instid0(VALU_DEP_1)
	v_add_nc_u32_e32 v1, 0x38000000, v1
.LBB6_9556:                             ;   in Loop: Header=BB6_7543 Depth=2
	s_and_not1_saveexec_b32 s14, s14
; %bb.9557:                             ;   in Loop: Header=BB6_7543 Depth=2
	v_cmp_lt_i64_e32 vcc_lo, -1, v[34:35]
	v_cndmask_b32_e32 v1, 0xff800000, v75, vcc_lo
	v_cmp_eq_u32_e32 vcc_lo, 0, v8
	s_delay_alu instid0(VALU_DEP_2)
	v_cndmask_b32_e32 v1, 0x7f800001, v1, vcc_lo
; %bb.9558:                             ;   in Loop: Header=BB6_7543 Depth=2
	s_or_b32 exec_lo, exec_lo, s14
.LBB6_9559:                             ;   in Loop: Header=BB6_7543 Depth=2
	s_delay_alu instid0(SALU_CYCLE_1)
	s_or_b32 exec_lo, exec_lo, s7
.LBB6_9560:                             ;   in Loop: Header=BB6_7543 Depth=2
	s_delay_alu instid0(SALU_CYCLE_1) | instskip(NEXT) | instid1(SALU_CYCLE_1)
	s_or_b32 exec_lo, exec_lo, s10
	s_mov_b32 s7, exec_lo
	v_cmpx_lt_u64_e64 s[16:17], v[28:29]
	s_cbranch_execz .LBB6_9570
; %bb.9561:                             ;   in Loop: Header=BB6_7543 Depth=2
	v_bfrev_b32_e32 v7, 1
	s_mov_b32 s10, exec_lo
	v_cmpx_ne_u32_e32 0x80, v0
	s_cbranch_execz .LBB6_9569
; %bb.9562:                             ;   in Loop: Header=BB6_7543 Depth=2
	v_and_b32_e32 v7, 0x7c000000, v29
	v_bfe_u32 v6, v29, 24, 2
	s_delay_alu instid0(VALU_DEP_2) | instskip(SKIP_1) | instid1(SALU_CYCLE_1)
	v_cmp_ne_u32_e32 vcc_lo, 0x7c000000, v7
                                        ; implicit-def: $vgpr7
	s_and_saveexec_b32 s14, vcc_lo
	s_xor_b32 s14, exec_lo, s14
	s_cbranch_execz .LBB6_9566
; %bb.9563:                             ;   in Loop: Header=BB6_7543 Depth=2
	v_bfe_u32 v7, v29, 26, 5
	s_mov_b32 s41, exec_lo
	s_delay_alu instid0(VALU_DEP_1)
	v_cmpx_eq_u32_e32 0, v7
; %bb.9564:                             ;   in Loop: Header=BB6_7543 Depth=2
	v_clz_i32_u32_e32 v6, v6
	s_delay_alu instid0(VALU_DEP_1) | instskip(NEXT) | instid1(VALU_DEP_1)
	v_min_u32_e32 v8, 32, v6
	v_subrev_nc_u32_e32 v6, 29, v8
	s_delay_alu instid0(VALU_DEP_1) | instskip(NEXT) | instid1(VALU_DEP_1)
	v_lshlrev_b64_e32 v[6:7], v6, v[0:1]
	v_dual_sub_nc_u32 v7, 30, v8 :: v_dual_bitop2_b32 v6, 3, v6 bitop3:0x40
; %bb.9565:                             ;   in Loop: Header=BB6_7543 Depth=2
	s_or_b32 exec_lo, exec_lo, s41
	v_and_b32_e32 v0, 0x80000000, v29
                                        ; implicit-def: $vgpr28_vgpr29
	s_delay_alu instid0(VALU_DEP_1) | instskip(NEXT) | instid1(VALU_DEP_1)
	v_lshl_add_u32 v0, v7, 23, v0
	v_lshl_or_b32 v0, v6, 21, v0
                                        ; implicit-def: $vgpr6
	s_delay_alu instid0(VALU_DEP_1)
	v_add_nc_u32_e32 v7, 0x38000000, v0
.LBB6_9566:                             ;   in Loop: Header=BB6_7543 Depth=2
	s_and_not1_saveexec_b32 s14, s14
; %bb.9567:                             ;   in Loop: Header=BB6_7543 Depth=2
	v_cmp_lt_i64_e32 vcc_lo, -1, v[28:29]
	v_cndmask_b32_e32 v0, 0xff800000, v75, vcc_lo
	v_cmp_eq_u32_e32 vcc_lo, 0, v6
	s_delay_alu instid0(VALU_DEP_2)
	v_cndmask_b32_e32 v7, 0x7f800001, v0, vcc_lo
; %bb.9568:                             ;   in Loop: Header=BB6_7543 Depth=2
	s_or_b32 exec_lo, exec_lo, s14
.LBB6_9569:                             ;   in Loop: Header=BB6_7543 Depth=2
	s_delay_alu instid0(SALU_CYCLE_1)
	s_or_b32 exec_lo, exec_lo, s10
.LBB6_9570:                             ;   in Loop: Header=BB6_7543 Depth=2
	s_delay_alu instid0(SALU_CYCLE_1) | instskip(NEXT) | instid1(VALU_DEP_1)
	s_or_b32 exec_lo, exec_lo, s7
	v_dual_max_num_f32 v0, v7, v7 :: v_dual_max_num_f32 v1, v1, v1
	s_delay_alu instid0(VALU_DEP_1)
	v_min_num_f32_e32 v1, v1, v0
.LBB6_9571:                             ;   in Loop: Header=BB6_7543 Depth=2
	s_delay_alu instid0(VALU_DEP_1) | instskip(SKIP_3) | instid1(VALU_DEP_2)
	v_and_b32_e32 v6, 0x7f800000, v1
	v_dual_mov_b32 v7, v25 :: v_dual_lshrrev_b32 v0, 24, v1
	v_and_b32_e32 v24, 0x7fffff, v1
                                        ; implicit-def: $vgpr28
	s_mov_b32 s7, exec_lo
	v_cmpx_ne_u64_e32 0x7f800000, v[6:7]
	s_xor_b32 s10, exec_lo, s7
	s_cbranch_execz .LBB6_9585
; %bb.9572:                             ;   in Loop: Header=BB6_7543 Depth=2
	v_and_b32_e32 v6, 0x7fffffff, v1
	v_mov_b32_e32 v7, v25
	v_and_b32_e32 v8, 0x80, v0
                                        ; implicit-def: $vgpr28
	s_mov_b32 s7, exec_lo
	s_delay_alu instid0(VALU_DEP_2)
	v_cmpx_gt_u64_e32 0x47600001, v[6:7]
	s_xor_b32 s14, exec_lo, s7
	s_cbranch_execz .LBB6_9582
; %bb.9573:                             ;   in Loop: Header=BB6_7543 Depth=2
	v_mov_b32_e32 v28, 0
	s_mov_b32 s41, exec_lo
	v_cmpx_ne_u32_e32 0, v1
	s_cbranch_execz .LBB6_9581
; %bb.9574:                             ;   in Loop: Header=BB6_7543 Depth=2
	v_bfe_u32 v9, v1, 23, 8
	v_or_b32_e32 v6, 0x800000, v24
	s_delay_alu instid0(VALU_DEP_2) | instskip(SKIP_1) | instid1(VALU_DEP_2)
	v_sub_nc_u32_e32 v0, 0x71, v9
	v_cmp_gt_u32_e32 vcc_lo, 0x72, v9
	v_cndmask_b32_e32 v0, 0, v0, vcc_lo
	v_cmp_eq_u32_e32 vcc_lo, 0, v9
	s_delay_alu instid0(VALU_DEP_2) | instskip(SKIP_1) | instid1(VALU_DEP_2)
	v_cndmask_b32_e64 v28, v0, 0x70, vcc_lo
	v_cndmask_b32_e32 v24, v6, v24, vcc_lo
	v_dual_add_nc_u32 v0, 21, v28 :: v_dual_add_nc_u32 v7, 20, v28
	s_delay_alu instid0(VALU_DEP_1) | instskip(NEXT) | instid1(VALU_DEP_2)
	v_lshlrev_b64_e64 v[0:1], v0, -1
	v_lshlrev_b64_e64 v[6:7], v7, 1
	s_delay_alu instid0(VALU_DEP_2) | instskip(NEXT) | instid1(VALU_DEP_3)
	v_bfi_b32 v35, v1, 0, 0
	v_bfi_b32 v34, v0, 0, v24
	v_lshrrev_b64 v[0:1], v28, v[24:25]
	s_delay_alu instid0(VALU_DEP_2) | instskip(NEXT) | instid1(VALU_DEP_2)
	v_cmp_eq_u64_e64 s7, v[34:35], v[6:7]
	v_mov_b64_e32 v[6:7], v[0:1]
	s_and_saveexec_b32 s42, s7
; %bb.9575:                             ;   in Loop: Header=BB6_7543 Depth=2
	v_bfe_u32 v24, v0, 21, 1
	s_delay_alu instid0(VALU_DEP_1) | instskip(NEXT) | instid1(VALU_DEP_1)
	v_add_nc_u64_e32 v[6:7], v[0:1], v[24:25]
	v_add_nc_u64_e32 v[6:7], -1, v[6:7]
; %bb.9576:                             ;   in Loop: Header=BB6_7543 Depth=2
	s_or_b32 exec_lo, exec_lo, s42
	v_add_nc_u32_e32 v1, 0xffffff81, v9
	v_lshrrev_b32_e32 v7, 23, v0
	s_mov_b32 s7, exec_lo
	s_delay_alu instid0(VALU_DEP_2) | instskip(NEXT) | instid1(VALU_DEP_1)
	v_cndmask_b32_e64 v1, v1, 0xffffff82, vcc_lo
	v_add3_u32 v7, v28, v1, v7
	v_and_b32_e32 v1, 0x1fffff, v6
                                        ; implicit-def: $vgpr6
	s_delay_alu instid0(VALU_DEP_1) | instskip(NEXT) | instid1(VALU_DEP_1)
	v_dual_add_nc_u32 v9, 14, v7 :: v_dual_add_nc_u32 v24, v1, v0
                                        ; implicit-def: $vgpr0_vgpr1
	v_cmpx_ne_u32_e32 0, v9
	s_xor_b32 s7, exec_lo, s7
; %bb.9577:                             ;   in Loop: Header=BB6_7543 Depth=2
	s_delay_alu instid0(VALU_DEP_2) | instskip(SKIP_1) | instid1(VALU_DEP_1)
	v_cmp_lt_u64_e32 vcc_lo, 0xffffff, v[24:25]
	v_add_nc_u32_e32 v0, 15, v7
	v_cndmask_b32_e32 v6, v9, v0, vcc_lo
	v_cndmask_b32_e64 v0, 0, 1, vcc_lo
	s_delay_alu instid0(VALU_DEP_1)
	v_lshrrev_b64 v[0:1], v0, v[24:25]
; %bb.9578:                             ;   in Loop: Header=BB6_7543 Depth=2
	s_and_not1_saveexec_b32 s7, s7
; %bb.9579:                             ;   in Loop: Header=BB6_7543 Depth=2
	v_mov_b64_e32 v[0:1], v[24:25]
	v_bfe_u32 v6, v24, 23, 1
; %bb.9580:                             ;   in Loop: Header=BB6_7543 Depth=2
	s_or_b32 exec_lo, exec_lo, s7
	s_delay_alu instid0(VALU_DEP_2) | instskip(NEXT) | instid1(VALU_DEP_2)
	v_lshrrev_b64 v[0:1], 21, v[0:1]
	v_cmp_gt_i32_e32 vcc_lo, 32, v6
	v_min_i32_e32 v7, 31, v6
	v_cmp_eq_u32_e64 s7, 0, v6
	s_delay_alu instid0(VALU_DEP_2) | instskip(SKIP_1) | instid1(VALU_DEP_2)
	v_dual_cndmask_b32 v1, 0, v1, vcc_lo :: v_dual_lshlrev_b32 v7, 2, v7
	v_cndmask_b32_e32 v0, 3, v0, vcc_lo
	v_and_b32_e32 v7, 0xfc, v7
	s_delay_alu instid0(VALU_DEP_2) | instskip(NEXT) | instid1(VALU_DEP_2)
	v_cmp_eq_u64_e32 vcc_lo, 0, v[0:1]
	v_and_or_b32 v0, v0, 3, v7
	s_and_b32 s7, s7, vcc_lo
	s_delay_alu instid0(VALU_DEP_1) | instid1(SALU_CYCLE_1)
	v_cndmask_b32_e64 v0, v0, 0, s7
	s_delay_alu instid0(VALU_DEP_1)
	v_or_b32_e32 v28, v0, v8
.LBB6_9581:                             ;   in Loop: Header=BB6_7543 Depth=2
	s_or_b32 exec_lo, exec_lo, s41
                                        ; implicit-def: $vgpr8
.LBB6_9582:                             ;   in Loop: Header=BB6_7543 Depth=2
	s_and_not1_saveexec_b32 s7, s14
; %bb.9583:                             ;   in Loop: Header=BB6_7543 Depth=2
	v_or_b32_e32 v28, 0x7b, v8
; %bb.9584:                             ;   in Loop: Header=BB6_7543 Depth=2
	s_or_b32 exec_lo, exec_lo, s7
                                        ; implicit-def: $vgpr1
                                        ; implicit-def: $vgpr0
.LBB6_9585:                             ;   in Loop: Header=BB6_7543 Depth=2
	s_and_not1_saveexec_b32 s7, s10
	s_cbranch_execz .LBB6_9591
; %bb.9586:                             ;   in Loop: Header=BB6_7543 Depth=2
	s_mov_b32 s10, exec_lo
                                        ; implicit-def: $vgpr28
	v_cmpx_ne_u64_e32 0, v[24:25]
	s_xor_b32 s10, exec_lo, s10
; %bb.9587:                             ;   in Loop: Header=BB6_7543 Depth=2
	v_or_b32_e32 v28, 0x7f, v0
                                        ; implicit-def: $vgpr1
; %bb.9588:                             ;   in Loop: Header=BB6_7543 Depth=2
	s_and_not1_saveexec_b32 s10, s10
; %bb.9589:                             ;   in Loop: Header=BB6_7543 Depth=2
	v_cmp_lt_i32_e32 vcc_lo, -1, v1
	v_cndmask_b32_e32 v28, 0xfc, v41, vcc_lo
; %bb.9590:                             ;   in Loop: Header=BB6_7543 Depth=2
	s_or_b32 exec_lo, exec_lo, s10
.LBB6_9591:                             ;   in Loop: Header=BB6_7543 Depth=2
	s_delay_alu instid0(SALU_CYCLE_1)
	s_or_b32 exec_lo, exec_lo, s7
	v_and_b32_e32 v6, 0xff, v2
	v_bfe_i32 v1, v2, 0, 8
	s_wait_loadcnt 0x1
	v_bfe_i32 v0, v18, 0, 8
	s_and_not1_b32 vcc_lo, exec_lo, s13
	s_mov_b32 s10, -1
	v_cmp_ne_u16_e64 s7, 0, v6
                                        ; implicit-def: $vgpr6
	s_cbranch_vccnz .LBB6_9613
; %bb.9592:                             ;   in Loop: Header=BB6_7543 Depth=2
	v_dual_mov_b32 v7, 0 :: v_dual_mov_b32 v6, 0
	s_and_saveexec_b32 s10, s7
	s_cbranch_execz .LBB6_9602
; %bb.9593:                             ;   in Loop: Header=BB6_7543 Depth=2
	v_bfrev_b32_e32 v6, 1
	s_mov_b32 s14, exec_lo
	v_cmpx_ne_u16_e32 0xff80, v1
	s_cbranch_execz .LBB6_9601
; %bb.9594:                             ;   in Loop: Header=BB6_7543 Depth=2
	v_and_b32_e32 v6, 0x7c, v2
	v_and_b32_e32 v8, 3, v2
	s_delay_alu instid0(VALU_DEP_2) | instskip(SKIP_1) | instid1(SALU_CYCLE_1)
	v_cmp_ne_u32_e32 vcc_lo, 0x7c, v6
                                        ; implicit-def: $vgpr6
	s_and_saveexec_b32 s41, vcc_lo
	s_xor_b32 s41, exec_lo, s41
	s_cbranch_execz .LBB6_9598
; %bb.9595:                             ;   in Loop: Header=BB6_7543 Depth=2
	v_bfe_u32 v6, v2, 2, 5
	s_mov_b32 s42, exec_lo
	s_delay_alu instid0(VALU_DEP_1)
	v_cmpx_eq_u32_e32 0, v6
; %bb.9596:                             ;   in Loop: Header=BB6_7543 Depth=2
	v_clz_i32_u32_e32 v6, v8
	s_delay_alu instid0(VALU_DEP_1) | instskip(NEXT) | instid1(VALU_DEP_1)
	v_min_u32_e32 v6, 32, v6
	v_subrev_nc_u32_e32 v8, 29, v6
	s_delay_alu instid0(VALU_DEP_1) | instskip(NEXT) | instid1(VALU_DEP_1)
	v_lshlrev_b64_e32 v[8:9], v8, v[2:3]
	v_dual_sub_nc_u32 v6, 30, v6 :: v_dual_bitop2_b32 v8, 3, v8 bitop3:0x40
; %bb.9597:                             ;   in Loop: Header=BB6_7543 Depth=2
	s_or_b32 exec_lo, exec_lo, s42
	v_lshlrev_b32_e32 v9, 24, v2
	s_delay_alu instid0(VALU_DEP_1) | instskip(NEXT) | instid1(VALU_DEP_1)
	v_and_b32_e32 v9, 0x80000000, v9
	v_lshl_add_u32 v6, v6, 23, v9
	s_delay_alu instid0(VALU_DEP_1) | instskip(NEXT) | instid1(VALU_DEP_1)
	v_lshl_or_b32 v6, v8, 21, v6
                                        ; implicit-def: $vgpr8
	v_add_nc_u32_e32 v6, 0x38000000, v6
.LBB6_9598:                             ;   in Loop: Header=BB6_7543 Depth=2
	s_and_not1_saveexec_b32 s41, s41
; %bb.9599:                             ;   in Loop: Header=BB6_7543 Depth=2
	v_cmp_lt_i16_e32 vcc_lo, -1, v1
	v_cndmask_b32_e32 v6, 0xff800000, v75, vcc_lo
	v_cmp_eq_u32_e32 vcc_lo, 0, v8
	s_delay_alu instid0(VALU_DEP_2)
	v_cndmask_b32_e32 v6, 0x7f800001, v6, vcc_lo
; %bb.9600:                             ;   in Loop: Header=BB6_7543 Depth=2
	s_or_b32 exec_lo, exec_lo, s41
.LBB6_9601:                             ;   in Loop: Header=BB6_7543 Depth=2
	s_delay_alu instid0(SALU_CYCLE_1)
	s_or_b32 exec_lo, exec_lo, s14
.LBB6_9602:                             ;   in Loop: Header=BB6_7543 Depth=2
	s_delay_alu instid0(SALU_CYCLE_1) | instskip(NEXT) | instid1(SALU_CYCLE_1)
	s_or_b32 exec_lo, exec_lo, s10
	s_mov_b32 s10, exec_lo
	v_cmpx_ne_u16_e32 0, v0
	s_cbranch_execz .LBB6_9612
; %bb.9603:                             ;   in Loop: Header=BB6_7543 Depth=2
	v_bfrev_b32_e32 v7, 1
	s_mov_b32 s14, exec_lo
	v_cmpx_ne_u16_e32 0xff80, v0
	s_cbranch_execz .LBB6_9611
; %bb.9604:                             ;   in Loop: Header=BB6_7543 Depth=2
	v_and_b32_e32 v7, 0x7c, v18
	v_and_b32_e32 v8, 3, v18
	s_delay_alu instid0(VALU_DEP_2) | instskip(SKIP_1) | instid1(SALU_CYCLE_1)
	v_cmp_ne_u32_e32 vcc_lo, 0x7c, v7
                                        ; implicit-def: $vgpr7
	s_and_saveexec_b32 s41, vcc_lo
	s_xor_b32 s41, exec_lo, s41
	s_cbranch_execz .LBB6_9608
; %bb.9605:                             ;   in Loop: Header=BB6_7543 Depth=2
	v_bfe_u32 v7, v18, 2, 5
	s_mov_b32 s42, exec_lo
	s_delay_alu instid0(VALU_DEP_1)
	v_cmpx_eq_u32_e32 0, v7
; %bb.9606:                             ;   in Loop: Header=BB6_7543 Depth=2
	v_clz_i32_u32_e32 v7, v8
	s_delay_alu instid0(VALU_DEP_1) | instskip(NEXT) | instid1(VALU_DEP_1)
	v_min_u32_e32 v7, 32, v7
	v_subrev_nc_u32_e32 v8, 29, v7
	s_delay_alu instid0(VALU_DEP_1) | instskip(NEXT) | instid1(VALU_DEP_1)
	v_lshlrev_b64_e32 v[8:9], v8, v[18:19]
	v_dual_sub_nc_u32 v7, 30, v7 :: v_dual_bitop2_b32 v8, 3, v8 bitop3:0x40
; %bb.9607:                             ;   in Loop: Header=BB6_7543 Depth=2
	s_or_b32 exec_lo, exec_lo, s42
	v_lshlrev_b32_e32 v9, 24, v18
	s_delay_alu instid0(VALU_DEP_1) | instskip(NEXT) | instid1(VALU_DEP_1)
	v_and_b32_e32 v9, 0x80000000, v9
	v_lshl_add_u32 v7, v7, 23, v9
	s_delay_alu instid0(VALU_DEP_1) | instskip(NEXT) | instid1(VALU_DEP_1)
	v_lshl_or_b32 v7, v8, 21, v7
                                        ; implicit-def: $vgpr8
	v_add_nc_u32_e32 v7, 0x38000000, v7
.LBB6_9608:                             ;   in Loop: Header=BB6_7543 Depth=2
	s_and_not1_saveexec_b32 s41, s41
; %bb.9609:                             ;   in Loop: Header=BB6_7543 Depth=2
	v_cmp_lt_i16_e32 vcc_lo, -1, v0
	v_cndmask_b32_e32 v7, 0xff800000, v75, vcc_lo
	v_cmp_eq_u32_e32 vcc_lo, 0, v8
	s_delay_alu instid0(VALU_DEP_2)
	v_cndmask_b32_e32 v7, 0x7f800001, v7, vcc_lo
; %bb.9610:                             ;   in Loop: Header=BB6_7543 Depth=2
	s_or_b32 exec_lo, exec_lo, s41
.LBB6_9611:                             ;   in Loop: Header=BB6_7543 Depth=2
	s_delay_alu instid0(SALU_CYCLE_1)
	s_or_b32 exec_lo, exec_lo, s14
.LBB6_9612:                             ;   in Loop: Header=BB6_7543 Depth=2
	s_delay_alu instid0(SALU_CYCLE_1) | instskip(NEXT) | instid1(VALU_DEP_1)
	s_or_b32 exec_lo, exec_lo, s10
	v_dual_max_num_f32 v7, v7, v7 :: v_dual_max_num_f32 v6, v6, v6
	s_mov_b32 s10, 0
	s_delay_alu instid0(VALU_DEP_1)
	v_max_num_f32_e32 v6, v6, v7
.LBB6_9613:                             ;   in Loop: Header=BB6_7543 Depth=2
	s_and_b32 vcc_lo, exec_lo, s10
	s_cbranch_vccz .LBB6_9635
; %bb.9614:                             ;   in Loop: Header=BB6_7543 Depth=2
	v_dual_mov_b32 v7, 0 :: v_dual_mov_b32 v6, 0
	s_and_saveexec_b32 s10, s7
	s_cbranch_execz .LBB6_9624
; %bb.9615:                             ;   in Loop: Header=BB6_7543 Depth=2
	v_bfrev_b32_e32 v6, 1
	s_mov_b32 s7, exec_lo
	v_cmpx_ne_u16_e32 0xff80, v1
	s_cbranch_execz .LBB6_9623
; %bb.9616:                             ;   in Loop: Header=BB6_7543 Depth=2
	v_and_b32_e32 v6, 0x7c, v2
	v_and_b32_e32 v8, 3, v2
	s_delay_alu instid0(VALU_DEP_2) | instskip(SKIP_1) | instid1(SALU_CYCLE_1)
	v_cmp_ne_u32_e32 vcc_lo, 0x7c, v6
                                        ; implicit-def: $vgpr6
	s_and_saveexec_b32 s14, vcc_lo
	s_xor_b32 s14, exec_lo, s14
	s_cbranch_execz .LBB6_9620
; %bb.9617:                             ;   in Loop: Header=BB6_7543 Depth=2
	v_bfe_u32 v1, v2, 2, 5
	s_mov_b32 s41, exec_lo
	s_delay_alu instid0(VALU_DEP_1)
	v_cmpx_eq_u32_e32 0, v1
; %bb.9618:                             ;   in Loop: Header=BB6_7543 Depth=2
	v_clz_i32_u32_e32 v1, v8
	s_delay_alu instid0(VALU_DEP_1) | instskip(NEXT) | instid1(VALU_DEP_1)
	v_min_u32_e32 v1, 32, v1
	v_subrev_nc_u32_e32 v6, 29, v1
	s_delay_alu instid0(VALU_DEP_1) | instskip(NEXT) | instid1(VALU_DEP_1)
	v_lshlrev_b64_e32 v[8:9], v6, v[2:3]
	v_dual_sub_nc_u32 v1, 30, v1 :: v_dual_bitop2_b32 v8, 3, v8 bitop3:0x40
; %bb.9619:                             ;   in Loop: Header=BB6_7543 Depth=2
	s_or_b32 exec_lo, exec_lo, s41
	v_lshlrev_b32_e32 v6, 24, v2
	s_delay_alu instid0(VALU_DEP_1) | instskip(NEXT) | instid1(VALU_DEP_1)
	v_and_b32_e32 v6, 0x80000000, v6
	v_lshl_add_u32 v1, v1, 23, v6
	s_delay_alu instid0(VALU_DEP_1) | instskip(NEXT) | instid1(VALU_DEP_1)
	v_lshl_or_b32 v1, v8, 21, v1
                                        ; implicit-def: $vgpr8
	v_add_nc_u32_e32 v6, 0x38000000, v1
                                        ; implicit-def: $vgpr1
.LBB6_9620:                             ;   in Loop: Header=BB6_7543 Depth=2
	s_and_not1_saveexec_b32 s14, s14
; %bb.9621:                             ;   in Loop: Header=BB6_7543 Depth=2
	v_cmp_lt_i16_e32 vcc_lo, -1, v1
	v_cndmask_b32_e32 v1, 0xff800000, v75, vcc_lo
	v_cmp_eq_u32_e32 vcc_lo, 0, v8
	s_delay_alu instid0(VALU_DEP_2)
	v_cndmask_b32_e32 v6, 0x7f800001, v1, vcc_lo
; %bb.9622:                             ;   in Loop: Header=BB6_7543 Depth=2
	s_or_b32 exec_lo, exec_lo, s14
.LBB6_9623:                             ;   in Loop: Header=BB6_7543 Depth=2
	s_delay_alu instid0(SALU_CYCLE_1)
	s_or_b32 exec_lo, exec_lo, s7
.LBB6_9624:                             ;   in Loop: Header=BB6_7543 Depth=2
	s_delay_alu instid0(SALU_CYCLE_1) | instskip(NEXT) | instid1(SALU_CYCLE_1)
	s_or_b32 exec_lo, exec_lo, s10
	s_mov_b32 s7, exec_lo
	v_cmpx_ne_u16_e32 0, v0
	s_cbranch_execz .LBB6_9634
; %bb.9625:                             ;   in Loop: Header=BB6_7543 Depth=2
	v_bfrev_b32_e32 v7, 1
	s_mov_b32 s10, exec_lo
	v_cmpx_ne_u16_e32 0xff80, v0
	s_cbranch_execz .LBB6_9633
; %bb.9626:                             ;   in Loop: Header=BB6_7543 Depth=2
	v_and_b32_e32 v7, 0x7c, v18
	v_and_b32_e32 v1, 3, v18
	s_delay_alu instid0(VALU_DEP_2) | instskip(SKIP_1) | instid1(SALU_CYCLE_1)
	v_cmp_ne_u32_e32 vcc_lo, 0x7c, v7
                                        ; implicit-def: $vgpr7
	s_and_saveexec_b32 s14, vcc_lo
	s_xor_b32 s14, exec_lo, s14
	s_cbranch_execz .LBB6_9630
; %bb.9627:                             ;   in Loop: Header=BB6_7543 Depth=2
	v_bfe_u32 v0, v18, 2, 5
	s_mov_b32 s41, exec_lo
	s_delay_alu instid0(VALU_DEP_1)
	v_cmpx_eq_u32_e32 0, v0
; %bb.9628:                             ;   in Loop: Header=BB6_7543 Depth=2
	v_clz_i32_u32_e32 v0, v1
	s_delay_alu instid0(VALU_DEP_1) | instskip(NEXT) | instid1(VALU_DEP_1)
	v_min_u32_e32 v0, 32, v0
	v_subrev_nc_u32_e32 v1, 29, v0
	v_sub_nc_u32_e32 v0, 30, v0
	s_delay_alu instid0(VALU_DEP_2) | instskip(NEXT) | instid1(VALU_DEP_1)
	v_lshlrev_b64_e32 v[8:9], v1, v[18:19]
	v_and_b32_e32 v1, 3, v8
; %bb.9629:                             ;   in Loop: Header=BB6_7543 Depth=2
	s_or_b32 exec_lo, exec_lo, s41
	v_lshlrev_b32_e32 v7, 24, v18
	s_delay_alu instid0(VALU_DEP_1) | instskip(NEXT) | instid1(VALU_DEP_1)
	v_and_b32_e32 v7, 0x80000000, v7
	v_lshl_add_u32 v0, v0, 23, v7
	s_delay_alu instid0(VALU_DEP_1) | instskip(NEXT) | instid1(VALU_DEP_1)
	v_lshl_or_b32 v0, v1, 21, v0
                                        ; implicit-def: $vgpr1
	v_add_nc_u32_e32 v7, 0x38000000, v0
                                        ; implicit-def: $vgpr0
.LBB6_9630:                             ;   in Loop: Header=BB6_7543 Depth=2
	s_and_not1_saveexec_b32 s14, s14
; %bb.9631:                             ;   in Loop: Header=BB6_7543 Depth=2
	v_cmp_lt_i16_e32 vcc_lo, -1, v0
	v_cndmask_b32_e32 v0, 0xff800000, v75, vcc_lo
	v_cmp_eq_u32_e32 vcc_lo, 0, v1
	s_delay_alu instid0(VALU_DEP_2)
	v_cndmask_b32_e32 v7, 0x7f800001, v0, vcc_lo
; %bb.9632:                             ;   in Loop: Header=BB6_7543 Depth=2
	s_or_b32 exec_lo, exec_lo, s14
.LBB6_9633:                             ;   in Loop: Header=BB6_7543 Depth=2
	s_delay_alu instid0(SALU_CYCLE_1)
	s_or_b32 exec_lo, exec_lo, s10
.LBB6_9634:                             ;   in Loop: Header=BB6_7543 Depth=2
	s_delay_alu instid0(SALU_CYCLE_1) | instskip(NEXT) | instid1(VALU_DEP_1)
	s_or_b32 exec_lo, exec_lo, s7
	v_dual_max_num_f32 v0, v7, v7 :: v_dual_max_num_f32 v1, v6, v6
	s_delay_alu instid0(VALU_DEP_1)
	v_min_num_f32_e32 v6, v1, v0
.LBB6_9635:                             ;   in Loop: Header=BB6_7543 Depth=2
	s_delay_alu instid0(VALU_DEP_1) | instskip(SKIP_2) | instid1(VALU_DEP_2)
	v_and_b32_e32 v0, 0x7f800000, v6
	v_mov_b32_e32 v1, v25
	v_and_b32_e32 v24, 0x7fffff, v6
                                        ; implicit-def: $vgpr29
	v_cmp_ne_u64_e32 vcc_lo, 0x7f800000, v[0:1]
	v_lshrrev_b32_e32 v0, 24, v6
	s_and_saveexec_b32 s7, vcc_lo
	s_delay_alu instid0(SALU_CYCLE_1)
	s_xor_b32 s10, exec_lo, s7
	s_cbranch_execz .LBB6_9649
; %bb.9636:                             ;   in Loop: Header=BB6_7543 Depth=2
	v_and_b32_e32 v8, 0x7fffffff, v6
	v_mov_b32_e32 v9, v25
                                        ; implicit-def: $vgpr29
	s_delay_alu instid0(VALU_DEP_1) | instskip(SKIP_2) | instid1(SALU_CYCLE_1)
	v_cmp_gt_u64_e32 vcc_lo, 0x47600001, v[8:9]
	v_and_b32_e32 v8, 0x80, v0
	s_and_saveexec_b32 s7, vcc_lo
	s_xor_b32 s14, exec_lo, s7
	s_cbranch_execz .LBB6_9646
; %bb.9637:                             ;   in Loop: Header=BB6_7543 Depth=2
	v_mov_b32_e32 v29, 0
	s_mov_b32 s41, exec_lo
	v_cmpx_ne_u32_e32 0, v6
	s_cbranch_execz .LBB6_9645
; %bb.9638:                             ;   in Loop: Header=BB6_7543 Depth=2
	v_bfe_u32 v9, v6, 23, 8
	v_or_b32_e32 v6, 0x800000, v24
	s_delay_alu instid0(VALU_DEP_2) | instskip(SKIP_1) | instid1(VALU_DEP_2)
	v_sub_nc_u32_e32 v0, 0x71, v9
	v_cmp_gt_u32_e32 vcc_lo, 0x72, v9
	v_cndmask_b32_e32 v0, 0, v0, vcc_lo
	v_cmp_eq_u32_e32 vcc_lo, 0, v9
	s_delay_alu instid0(VALU_DEP_2) | instskip(NEXT) | instid1(VALU_DEP_1)
	v_cndmask_b32_e64 v29, v0, 0x70, vcc_lo
	v_dual_cndmask_b32 v24, v6, v24, vcc_lo :: v_dual_add_nc_u32 v0, 21, v29
	v_add_nc_u32_e32 v7, 20, v29
	s_delay_alu instid0(VALU_DEP_2) | instskip(NEXT) | instid1(VALU_DEP_2)
	v_lshlrev_b64_e64 v[0:1], v0, -1
	v_lshlrev_b64_e64 v[6:7], v7, 1
	s_delay_alu instid0(VALU_DEP_2) | instskip(NEXT) | instid1(VALU_DEP_3)
	v_bfi_b32 v35, v1, 0, 0
	v_bfi_b32 v34, v0, 0, v24
	v_lshrrev_b64 v[0:1], v29, v[24:25]
	s_delay_alu instid0(VALU_DEP_2) | instskip(NEXT) | instid1(VALU_DEP_2)
	v_cmp_eq_u64_e64 s7, v[34:35], v[6:7]
	v_mov_b64_e32 v[6:7], v[0:1]
	s_and_saveexec_b32 s42, s7
; %bb.9639:                             ;   in Loop: Header=BB6_7543 Depth=2
	v_bfe_u32 v24, v0, 21, 1
	s_delay_alu instid0(VALU_DEP_1) | instskip(NEXT) | instid1(VALU_DEP_1)
	v_add_nc_u64_e32 v[6:7], v[0:1], v[24:25]
	v_add_nc_u64_e32 v[6:7], -1, v[6:7]
; %bb.9640:                             ;   in Loop: Header=BB6_7543 Depth=2
	s_or_b32 exec_lo, exec_lo, s42
	v_add_nc_u32_e32 v1, 0xffffff81, v9
	v_lshrrev_b32_e32 v7, 23, v0
	s_mov_b32 s7, exec_lo
	s_delay_alu instid0(VALU_DEP_2) | instskip(NEXT) | instid1(VALU_DEP_1)
	v_cndmask_b32_e64 v1, v1, 0xffffff82, vcc_lo
	v_add3_u32 v7, v29, v1, v7
	v_and_b32_e32 v1, 0x1fffff, v6
                                        ; implicit-def: $vgpr6
	s_delay_alu instid0(VALU_DEP_1) | instskip(NEXT) | instid1(VALU_DEP_1)
	v_dual_add_nc_u32 v9, 14, v7 :: v_dual_add_nc_u32 v24, v1, v0
                                        ; implicit-def: $vgpr0_vgpr1
	v_cmpx_ne_u32_e32 0, v9
	s_xor_b32 s7, exec_lo, s7
; %bb.9641:                             ;   in Loop: Header=BB6_7543 Depth=2
	s_delay_alu instid0(VALU_DEP_2) | instskip(SKIP_1) | instid1(VALU_DEP_1)
	v_cmp_lt_u64_e32 vcc_lo, 0xffffff, v[24:25]
	v_add_nc_u32_e32 v0, 15, v7
	v_cndmask_b32_e32 v6, v9, v0, vcc_lo
	v_cndmask_b32_e64 v0, 0, 1, vcc_lo
	s_delay_alu instid0(VALU_DEP_1)
	v_lshrrev_b64 v[0:1], v0, v[24:25]
; %bb.9642:                             ;   in Loop: Header=BB6_7543 Depth=2
	s_and_not1_saveexec_b32 s7, s7
; %bb.9643:                             ;   in Loop: Header=BB6_7543 Depth=2
	v_mov_b64_e32 v[0:1], v[24:25]
	v_bfe_u32 v6, v24, 23, 1
; %bb.9644:                             ;   in Loop: Header=BB6_7543 Depth=2
	s_or_b32 exec_lo, exec_lo, s7
	s_delay_alu instid0(VALU_DEP_2) | instskip(NEXT) | instid1(VALU_DEP_2)
	v_lshrrev_b64 v[0:1], 21, v[0:1]
	v_cmp_gt_i32_e32 vcc_lo, 32, v6
	v_min_i32_e32 v7, 31, v6
	v_cmp_eq_u32_e64 s7, 0, v6
	s_delay_alu instid0(VALU_DEP_2) | instskip(SKIP_1) | instid1(VALU_DEP_2)
	v_dual_cndmask_b32 v1, 0, v1, vcc_lo :: v_dual_lshlrev_b32 v7, 2, v7
	v_cndmask_b32_e32 v0, 3, v0, vcc_lo
	v_and_b32_e32 v7, 0xfc, v7
	s_delay_alu instid0(VALU_DEP_2) | instskip(NEXT) | instid1(VALU_DEP_2)
	v_cmp_eq_u64_e32 vcc_lo, 0, v[0:1]
	v_and_or_b32 v0, v0, 3, v7
	s_and_b32 s7, s7, vcc_lo
	s_delay_alu instid0(VALU_DEP_1) | instid1(SALU_CYCLE_1)
	v_cndmask_b32_e64 v0, v0, 0, s7
	s_delay_alu instid0(VALU_DEP_1)
	v_or_b32_e32 v29, v0, v8
.LBB6_9645:                             ;   in Loop: Header=BB6_7543 Depth=2
	s_or_b32 exec_lo, exec_lo, s41
                                        ; implicit-def: $vgpr8
.LBB6_9646:                             ;   in Loop: Header=BB6_7543 Depth=2
	s_and_not1_saveexec_b32 s7, s14
; %bb.9647:                             ;   in Loop: Header=BB6_7543 Depth=2
	v_or_b32_e32 v29, 0x7b, v8
; %bb.9648:                             ;   in Loop: Header=BB6_7543 Depth=2
	s_or_b32 exec_lo, exec_lo, s7
                                        ; implicit-def: $vgpr6
                                        ; implicit-def: $vgpr0
.LBB6_9649:                             ;   in Loop: Header=BB6_7543 Depth=2
	s_and_not1_saveexec_b32 s7, s10
	s_cbranch_execz .LBB6_9655
; %bb.9650:                             ;   in Loop: Header=BB6_7543 Depth=2
	s_mov_b32 s10, exec_lo
                                        ; implicit-def: $vgpr29
	v_cmpx_ne_u64_e32 0, v[24:25]
	s_xor_b32 s10, exec_lo, s10
; %bb.9651:                             ;   in Loop: Header=BB6_7543 Depth=2
	v_or_b32_e32 v29, 0x7f, v0
                                        ; implicit-def: $vgpr6
; %bb.9652:                             ;   in Loop: Header=BB6_7543 Depth=2
	s_and_not1_saveexec_b32 s10, s10
; %bb.9653:                             ;   in Loop: Header=BB6_7543 Depth=2
	v_cmp_lt_i32_e32 vcc_lo, -1, v6
	v_cndmask_b32_e32 v29, 0xfc, v41, vcc_lo
; %bb.9654:                             ;   in Loop: Header=BB6_7543 Depth=2
	s_or_b32 exec_lo, exec_lo, s10
.LBB6_9655:                             ;   in Loop: Header=BB6_7543 Depth=2
	s_delay_alu instid0(SALU_CYCLE_1) | instskip(SKIP_4) | instid1(VALU_DEP_2)
	s_or_b32 exec_lo, exec_lo, s7
	v_lshrrev_b16 v24, 8, v2
	v_lshrrev_b16 v0, 8, v18
	s_and_not1_b32 vcc_lo, exec_lo, s13
	s_mov_b32 s10, -1
                                        ; implicit-def: $vgpr1
	v_and_b32_e32 v6, 0xffff, v24
	v_cmp_ne_u16_e64 s7, 0, v24
	s_cbranch_vccnz .LBB6_9677
; %bb.9656:                             ;   in Loop: Header=BB6_7543 Depth=2
	v_dual_mov_b32 v1, 0 :: v_dual_mov_b32 v7, 0
	s_and_saveexec_b32 s10, s7
	s_cbranch_execz .LBB6_9666
; %bb.9657:                             ;   in Loop: Header=BB6_7543 Depth=2
	v_bfrev_b32_e32 v7, 1
	s_mov_b32 s14, exec_lo
	v_cmpx_ne_u16_e32 0x80, v24
	s_cbranch_execz .LBB6_9665
; %bb.9658:                             ;   in Loop: Header=BB6_7543 Depth=2
	v_and_b32_e32 v7, 0x7c, v6
	v_and_b32_e32 v8, 3, v6
	s_delay_alu instid0(VALU_DEP_2) | instskip(SKIP_1) | instid1(SALU_CYCLE_1)
	v_cmp_ne_u32_e32 vcc_lo, 0x7c, v7
                                        ; implicit-def: $vgpr7
	s_and_saveexec_b32 s41, vcc_lo
	s_xor_b32 s41, exec_lo, s41
	s_cbranch_execz .LBB6_9662
; %bb.9659:                             ;   in Loop: Header=BB6_7543 Depth=2
	v_bfe_u32 v7, v6, 2, 5
	s_mov_b32 s42, exec_lo
	s_delay_alu instid0(VALU_DEP_1)
	v_cmpx_eq_u32_e32 0, v7
; %bb.9660:                             ;   in Loop: Header=BB6_7543 Depth=2
	v_clz_i32_u32_e32 v7, v8
	s_delay_alu instid0(VALU_DEP_1) | instskip(NEXT) | instid1(VALU_DEP_1)
	v_min_u32_e32 v7, 32, v7
	v_subrev_nc_u32_e32 v8, 29, v7
	s_delay_alu instid0(VALU_DEP_1) | instskip(NEXT) | instid1(VALU_DEP_1)
	v_lshlrev_b64_e32 v[8:9], v8, v[24:25]
	v_dual_sub_nc_u32 v7, 30, v7 :: v_dual_bitop2_b32 v8, 3, v8 bitop3:0x40
; %bb.9661:                             ;   in Loop: Header=BB6_7543 Depth=2
	s_or_b32 exec_lo, exec_lo, s42
	v_lshlrev_b32_e32 v9, 16, v2
	s_delay_alu instid0(VALU_DEP_1) | instskip(NEXT) | instid1(VALU_DEP_1)
	v_and_b32_e32 v9, 0x80000000, v9
	v_lshl_add_u32 v7, v7, 23, v9
	s_delay_alu instid0(VALU_DEP_1) | instskip(NEXT) | instid1(VALU_DEP_1)
	v_lshl_or_b32 v7, v8, 21, v7
                                        ; implicit-def: $vgpr8
	v_add_nc_u32_e32 v7, 0x38000000, v7
.LBB6_9662:                             ;   in Loop: Header=BB6_7543 Depth=2
	s_and_not1_saveexec_b32 s41, s41
; %bb.9663:                             ;   in Loop: Header=BB6_7543 Depth=2
	v_cmp_lt_i16_e32 vcc_lo, -1, v2
	v_cndmask_b32_e32 v7, 0xff800000, v75, vcc_lo
	v_cmp_eq_u32_e32 vcc_lo, 0, v8
	s_delay_alu instid0(VALU_DEP_2)
	v_cndmask_b32_e32 v7, 0x7f800001, v7, vcc_lo
; %bb.9664:                             ;   in Loop: Header=BB6_7543 Depth=2
	s_or_b32 exec_lo, exec_lo, s41
.LBB6_9665:                             ;   in Loop: Header=BB6_7543 Depth=2
	s_delay_alu instid0(SALU_CYCLE_1)
	s_or_b32 exec_lo, exec_lo, s14
.LBB6_9666:                             ;   in Loop: Header=BB6_7543 Depth=2
	s_delay_alu instid0(SALU_CYCLE_1) | instskip(NEXT) | instid1(SALU_CYCLE_1)
	s_or_b32 exec_lo, exec_lo, s10
	s_mov_b32 s10, exec_lo
	v_cmpx_ne_u16_e32 0, v0
	s_cbranch_execz .LBB6_9676
; %bb.9667:                             ;   in Loop: Header=BB6_7543 Depth=2
	v_bfrev_b32_e32 v1, 1
	s_mov_b32 s14, exec_lo
	v_cmpx_ne_u16_e32 0x80, v0
	s_cbranch_execz .LBB6_9675
; %bb.9668:                             ;   in Loop: Header=BB6_7543 Depth=2
	v_and_b32_e32 v9, 0xffff, v0
	s_delay_alu instid0(VALU_DEP_1) | instskip(SKIP_1) | instid1(VALU_DEP_2)
	v_and_b32_e32 v1, 0x7c, v9
	v_and_b32_e32 v8, 3, v9
	v_cmp_ne_u32_e32 vcc_lo, 0x7c, v1
                                        ; implicit-def: $vgpr1
	s_and_saveexec_b32 s41, vcc_lo
	s_delay_alu instid0(SALU_CYCLE_1)
	s_xor_b32 s41, exec_lo, s41
	s_cbranch_execz .LBB6_9672
; %bb.9669:                             ;   in Loop: Header=BB6_7543 Depth=2
	v_bfe_u32 v1, v9, 2, 5
	s_mov_b32 s42, exec_lo
	s_delay_alu instid0(VALU_DEP_1)
	v_cmpx_eq_u32_e32 0, v1
; %bb.9670:                             ;   in Loop: Header=BB6_7543 Depth=2
	v_clz_i32_u32_e32 v1, v8
	s_delay_alu instid0(VALU_DEP_1) | instskip(SKIP_1) | instid1(VALU_DEP_2)
	v_min_u32_e32 v34, 32, v1
	v_mov_b32_e32 v1, v25
	v_subrev_nc_u32_e32 v8, 29, v34
	s_delay_alu instid0(VALU_DEP_1) | instskip(NEXT) | instid1(VALU_DEP_1)
	v_lshlrev_b64_e32 v[8:9], v8, v[0:1]
	v_dual_sub_nc_u32 v1, 30, v34 :: v_dual_bitop2_b32 v8, 3, v8 bitop3:0x40
; %bb.9671:                             ;   in Loop: Header=BB6_7543 Depth=2
	s_or_b32 exec_lo, exec_lo, s42
	v_lshlrev_b32_e32 v9, 16, v18
	s_delay_alu instid0(VALU_DEP_1) | instskip(NEXT) | instid1(VALU_DEP_1)
	v_and_b32_e32 v9, 0x80000000, v9
	v_lshl_add_u32 v1, v1, 23, v9
	s_delay_alu instid0(VALU_DEP_1) | instskip(NEXT) | instid1(VALU_DEP_1)
	v_lshl_or_b32 v1, v8, 21, v1
                                        ; implicit-def: $vgpr8
	v_add_nc_u32_e32 v1, 0x38000000, v1
.LBB6_9672:                             ;   in Loop: Header=BB6_7543 Depth=2
	s_and_not1_saveexec_b32 s41, s41
; %bb.9673:                             ;   in Loop: Header=BB6_7543 Depth=2
	v_cmp_lt_i16_e32 vcc_lo, -1, v18
	v_cndmask_b32_e32 v1, 0xff800000, v75, vcc_lo
	v_cmp_eq_u32_e32 vcc_lo, 0, v8
	s_delay_alu instid0(VALU_DEP_2)
	v_cndmask_b32_e32 v1, 0x7f800001, v1, vcc_lo
; %bb.9674:                             ;   in Loop: Header=BB6_7543 Depth=2
	s_or_b32 exec_lo, exec_lo, s41
.LBB6_9675:                             ;   in Loop: Header=BB6_7543 Depth=2
	s_delay_alu instid0(SALU_CYCLE_1)
	s_or_b32 exec_lo, exec_lo, s14
.LBB6_9676:                             ;   in Loop: Header=BB6_7543 Depth=2
	s_delay_alu instid0(SALU_CYCLE_1) | instskip(NEXT) | instid1(VALU_DEP_1)
	s_or_b32 exec_lo, exec_lo, s10
	v_dual_max_num_f32 v1, v1, v1 :: v_dual_max_num_f32 v7, v7, v7
	s_mov_b32 s10, 0
	s_delay_alu instid0(VALU_DEP_1)
	v_max_num_f32_e32 v1, v7, v1
.LBB6_9677:                             ;   in Loop: Header=BB6_7543 Depth=2
	s_and_b32 vcc_lo, exec_lo, s10
	s_cbranch_vccz .LBB6_9699
; %bb.9678:                             ;   in Loop: Header=BB6_7543 Depth=2
	v_dual_mov_b32 v1, 0 :: v_dual_mov_b32 v7, 0
	s_and_saveexec_b32 s10, s7
	s_cbranch_execz .LBB6_9688
; %bb.9679:                             ;   in Loop: Header=BB6_7543 Depth=2
	v_bfrev_b32_e32 v7, 1
	s_mov_b32 s7, exec_lo
	v_cmpx_ne_u16_e32 0x80, v24
	s_cbranch_execz .LBB6_9687
; %bb.9680:                             ;   in Loop: Header=BB6_7543 Depth=2
	v_and_b32_e32 v7, 0x7c, v6
	v_and_b32_e32 v8, 3, v6
	s_delay_alu instid0(VALU_DEP_2) | instskip(SKIP_1) | instid1(SALU_CYCLE_1)
	v_cmp_ne_u32_e32 vcc_lo, 0x7c, v7
                                        ; implicit-def: $vgpr7
	s_and_saveexec_b32 s14, vcc_lo
	s_xor_b32 s14, exec_lo, s14
	s_cbranch_execz .LBB6_9684
; %bb.9681:                             ;   in Loop: Header=BB6_7543 Depth=2
	v_bfe_u32 v6, v6, 2, 5
	s_mov_b32 s41, exec_lo
	s_delay_alu instid0(VALU_DEP_1)
	v_cmpx_eq_u32_e32 0, v6
; %bb.9682:                             ;   in Loop: Header=BB6_7543 Depth=2
	v_clz_i32_u32_e32 v6, v8
	s_delay_alu instid0(VALU_DEP_1) | instskip(NEXT) | instid1(VALU_DEP_1)
	v_min_u32_e32 v6, 32, v6
	v_subrev_nc_u32_e32 v7, 29, v6
	s_delay_alu instid0(VALU_DEP_1) | instskip(NEXT) | instid1(VALU_DEP_1)
	v_lshlrev_b64_e32 v[8:9], v7, v[24:25]
	v_dual_sub_nc_u32 v6, 30, v6 :: v_dual_bitop2_b32 v8, 3, v8 bitop3:0x40
; %bb.9683:                             ;   in Loop: Header=BB6_7543 Depth=2
	s_or_b32 exec_lo, exec_lo, s41
	v_lshlrev_b32_e32 v7, 16, v2
	s_delay_alu instid0(VALU_DEP_1) | instskip(NEXT) | instid1(VALU_DEP_1)
	v_and_b32_e32 v7, 0x80000000, v7
	v_lshl_add_u32 v6, v6, 23, v7
	s_delay_alu instid0(VALU_DEP_1) | instskip(NEXT) | instid1(VALU_DEP_1)
	v_lshl_or_b32 v6, v8, 21, v6
                                        ; implicit-def: $vgpr8
	v_add_nc_u32_e32 v7, 0x38000000, v6
.LBB6_9684:                             ;   in Loop: Header=BB6_7543 Depth=2
	s_and_not1_saveexec_b32 s14, s14
; %bb.9685:                             ;   in Loop: Header=BB6_7543 Depth=2
	v_cmp_lt_i16_e32 vcc_lo, -1, v2
	v_cndmask_b32_e32 v6, 0xff800000, v75, vcc_lo
	v_cmp_eq_u32_e32 vcc_lo, 0, v8
	s_delay_alu instid0(VALU_DEP_2)
	v_cndmask_b32_e32 v7, 0x7f800001, v6, vcc_lo
; %bb.9686:                             ;   in Loop: Header=BB6_7543 Depth=2
	s_or_b32 exec_lo, exec_lo, s14
.LBB6_9687:                             ;   in Loop: Header=BB6_7543 Depth=2
	s_delay_alu instid0(SALU_CYCLE_1)
	s_or_b32 exec_lo, exec_lo, s7
.LBB6_9688:                             ;   in Loop: Header=BB6_7543 Depth=2
	s_delay_alu instid0(SALU_CYCLE_1) | instskip(NEXT) | instid1(SALU_CYCLE_1)
	s_or_b32 exec_lo, exec_lo, s10
	s_mov_b32 s7, exec_lo
	v_cmpx_ne_u16_e32 0, v0
	s_cbranch_execz .LBB6_9698
; %bb.9689:                             ;   in Loop: Header=BB6_7543 Depth=2
	v_bfrev_b32_e32 v1, 1
	s_mov_b32 s10, exec_lo
	v_cmpx_ne_u16_e32 0x80, v0
	s_cbranch_execz .LBB6_9697
; %bb.9690:                             ;   in Loop: Header=BB6_7543 Depth=2
	v_and_b32_e32 v8, 0xffff, v0
	s_delay_alu instid0(VALU_DEP_1) | instskip(SKIP_1) | instid1(VALU_DEP_2)
	v_and_b32_e32 v1, 0x7c, v8
	v_and_b32_e32 v6, 3, v8
	v_cmp_ne_u32_e32 vcc_lo, 0x7c, v1
                                        ; implicit-def: $vgpr1
	s_and_saveexec_b32 s14, vcc_lo
	s_delay_alu instid0(SALU_CYCLE_1)
	s_xor_b32 s14, exec_lo, s14
	s_cbranch_execz .LBB6_9694
; %bb.9691:                             ;   in Loop: Header=BB6_7543 Depth=2
	v_bfe_u32 v1, v8, 2, 5
	s_mov_b32 s41, exec_lo
	s_delay_alu instid0(VALU_DEP_1)
	v_cmpx_eq_u32_e32 0, v1
; %bb.9692:                             ;   in Loop: Header=BB6_7543 Depth=2
	v_clz_i32_u32_e32 v1, v6
	s_delay_alu instid0(VALU_DEP_1) | instskip(SKIP_1) | instid1(VALU_DEP_2)
	v_min_u32_e32 v6, 32, v1
	v_mov_b32_e32 v1, v25
	v_subrev_nc_u32_e32 v8, 29, v6
	s_delay_alu instid0(VALU_DEP_1) | instskip(NEXT) | instid1(VALU_DEP_1)
	v_lshlrev_b64_e32 v[0:1], v8, v[0:1]
	v_dual_sub_nc_u32 v1, 30, v6 :: v_dual_bitop2_b32 v6, 3, v0 bitop3:0x40
; %bb.9693:                             ;   in Loop: Header=BB6_7543 Depth=2
	s_or_b32 exec_lo, exec_lo, s41
	v_lshlrev_b32_e32 v0, 16, v18
	s_delay_alu instid0(VALU_DEP_1) | instskip(NEXT) | instid1(VALU_DEP_1)
	v_and_b32_e32 v0, 0x80000000, v0
	v_lshl_add_u32 v0, v1, 23, v0
	s_delay_alu instid0(VALU_DEP_1) | instskip(NEXT) | instid1(VALU_DEP_1)
	v_lshl_or_b32 v0, v6, 21, v0
                                        ; implicit-def: $vgpr6
	v_add_nc_u32_e32 v1, 0x38000000, v0
.LBB6_9694:                             ;   in Loop: Header=BB6_7543 Depth=2
	s_and_not1_saveexec_b32 s14, s14
; %bb.9695:                             ;   in Loop: Header=BB6_7543 Depth=2
	v_cmp_lt_i16_e32 vcc_lo, -1, v18
	v_cndmask_b32_e32 v0, 0xff800000, v75, vcc_lo
	v_cmp_eq_u32_e32 vcc_lo, 0, v6
	s_delay_alu instid0(VALU_DEP_2)
	v_cndmask_b32_e32 v1, 0x7f800001, v0, vcc_lo
; %bb.9696:                             ;   in Loop: Header=BB6_7543 Depth=2
	s_or_b32 exec_lo, exec_lo, s14
.LBB6_9697:                             ;   in Loop: Header=BB6_7543 Depth=2
	s_delay_alu instid0(SALU_CYCLE_1)
	s_or_b32 exec_lo, exec_lo, s10
.LBB6_9698:                             ;   in Loop: Header=BB6_7543 Depth=2
	s_delay_alu instid0(SALU_CYCLE_1) | instskip(NEXT) | instid1(VALU_DEP_1)
	s_or_b32 exec_lo, exec_lo, s7
	v_dual_max_num_f32 v0, v1, v1 :: v_dual_max_num_f32 v1, v7, v7
	s_delay_alu instid0(VALU_DEP_1)
	v_min_num_f32_e32 v1, v1, v0
.LBB6_9699:                             ;   in Loop: Header=BB6_7543 Depth=2
	s_delay_alu instid0(VALU_DEP_1) | instskip(SKIP_3) | instid1(VALU_DEP_2)
	v_and_b32_e32 v6, 0x7f800000, v1
	v_dual_mov_b32 v7, v25 :: v_dual_lshrrev_b32 v0, 24, v1
	v_and_b32_e32 v24, 0x7fffff, v1
                                        ; implicit-def: $vgpr34
	s_mov_b32 s7, exec_lo
	v_cmpx_ne_u64_e32 0x7f800000, v[6:7]
	s_xor_b32 s10, exec_lo, s7
	s_cbranch_execz .LBB6_9713
; %bb.9700:                             ;   in Loop: Header=BB6_7543 Depth=2
	v_and_b32_e32 v6, 0x7fffffff, v1
	v_mov_b32_e32 v7, v25
	v_and_b32_e32 v8, 0x80, v0
                                        ; implicit-def: $vgpr34
	s_mov_b32 s7, exec_lo
	s_delay_alu instid0(VALU_DEP_2)
	v_cmpx_gt_u64_e32 0x47600001, v[6:7]
	s_xor_b32 s14, exec_lo, s7
	s_cbranch_execz .LBB6_9710
; %bb.9701:                             ;   in Loop: Header=BB6_7543 Depth=2
	v_mov_b32_e32 v34, 0
	s_mov_b32 s41, exec_lo
	v_cmpx_ne_u32_e32 0, v1
	s_cbranch_execz .LBB6_9709
; %bb.9702:                             ;   in Loop: Header=BB6_7543 Depth=2
	v_bfe_u32 v9, v1, 23, 8
	v_or_b32_e32 v6, 0x800000, v24
	s_delay_alu instid0(VALU_DEP_2) | instskip(SKIP_1) | instid1(VALU_DEP_2)
	v_sub_nc_u32_e32 v0, 0x71, v9
	v_cmp_gt_u32_e32 vcc_lo, 0x72, v9
	v_cndmask_b32_e32 v0, 0, v0, vcc_lo
	v_cmp_eq_u32_e32 vcc_lo, 0, v9
	s_delay_alu instid0(VALU_DEP_2) | instskip(NEXT) | instid1(VALU_DEP_1)
	v_cndmask_b32_e64 v34, v0, 0x70, vcc_lo
	v_dual_cndmask_b32 v24, v6, v24, vcc_lo :: v_dual_add_nc_u32 v0, 21, v34
	v_add_nc_u32_e32 v7, 20, v34
	s_delay_alu instid0(VALU_DEP_2) | instskip(NEXT) | instid1(VALU_DEP_2)
	v_lshlrev_b64_e64 v[0:1], v0, -1
	v_lshlrev_b64_e64 v[6:7], v7, 1
	s_delay_alu instid0(VALU_DEP_2) | instskip(NEXT) | instid1(VALU_DEP_3)
	v_bfi_b32 v85, v1, 0, 0
	v_bfi_b32 v84, v0, 0, v24
	v_lshrrev_b64 v[0:1], v34, v[24:25]
	s_delay_alu instid0(VALU_DEP_2) | instskip(NEXT) | instid1(VALU_DEP_2)
	v_cmp_eq_u64_e64 s7, v[84:85], v[6:7]
	v_mov_b64_e32 v[6:7], v[0:1]
	s_and_saveexec_b32 s42, s7
; %bb.9703:                             ;   in Loop: Header=BB6_7543 Depth=2
	v_bfe_u32 v24, v0, 21, 1
	s_delay_alu instid0(VALU_DEP_1) | instskip(NEXT) | instid1(VALU_DEP_1)
	v_add_nc_u64_e32 v[6:7], v[0:1], v[24:25]
	v_add_nc_u64_e32 v[6:7], -1, v[6:7]
; %bb.9704:                             ;   in Loop: Header=BB6_7543 Depth=2
	s_or_b32 exec_lo, exec_lo, s42
	v_add_nc_u32_e32 v1, 0xffffff81, v9
	v_lshrrev_b32_e32 v7, 23, v0
	s_mov_b32 s7, exec_lo
	s_delay_alu instid0(VALU_DEP_2) | instskip(NEXT) | instid1(VALU_DEP_1)
	v_cndmask_b32_e64 v1, v1, 0xffffff82, vcc_lo
	v_add3_u32 v7, v34, v1, v7
	v_and_b32_e32 v1, 0x1fffff, v6
                                        ; implicit-def: $vgpr6
	s_delay_alu instid0(VALU_DEP_1) | instskip(NEXT) | instid1(VALU_DEP_1)
	v_dual_add_nc_u32 v9, 14, v7 :: v_dual_add_nc_u32 v24, v1, v0
                                        ; implicit-def: $vgpr0_vgpr1
	v_cmpx_ne_u32_e32 0, v9
	s_xor_b32 s7, exec_lo, s7
; %bb.9705:                             ;   in Loop: Header=BB6_7543 Depth=2
	s_delay_alu instid0(VALU_DEP_2) | instskip(SKIP_1) | instid1(VALU_DEP_1)
	v_cmp_lt_u64_e32 vcc_lo, 0xffffff, v[24:25]
	v_add_nc_u32_e32 v0, 15, v7
	v_cndmask_b32_e32 v6, v9, v0, vcc_lo
	v_cndmask_b32_e64 v0, 0, 1, vcc_lo
	s_delay_alu instid0(VALU_DEP_1)
	v_lshrrev_b64 v[0:1], v0, v[24:25]
; %bb.9706:                             ;   in Loop: Header=BB6_7543 Depth=2
	s_and_not1_saveexec_b32 s7, s7
; %bb.9707:                             ;   in Loop: Header=BB6_7543 Depth=2
	v_mov_b64_e32 v[0:1], v[24:25]
	v_bfe_u32 v6, v24, 23, 1
; %bb.9708:                             ;   in Loop: Header=BB6_7543 Depth=2
	s_or_b32 exec_lo, exec_lo, s7
	s_delay_alu instid0(VALU_DEP_2) | instskip(NEXT) | instid1(VALU_DEP_2)
	v_lshrrev_b64 v[0:1], 21, v[0:1]
	v_cmp_gt_i32_e32 vcc_lo, 32, v6
	v_min_i32_e32 v7, 31, v6
	v_cmp_eq_u32_e64 s7, 0, v6
	s_delay_alu instid0(VALU_DEP_2) | instskip(SKIP_1) | instid1(VALU_DEP_2)
	v_dual_cndmask_b32 v1, 0, v1, vcc_lo :: v_dual_lshlrev_b32 v7, 2, v7
	v_cndmask_b32_e32 v0, 3, v0, vcc_lo
	v_and_b32_e32 v7, 0xfc, v7
	s_delay_alu instid0(VALU_DEP_2) | instskip(NEXT) | instid1(VALU_DEP_2)
	v_cmp_eq_u64_e32 vcc_lo, 0, v[0:1]
	v_and_or_b32 v0, v0, 3, v7
	s_and_b32 s7, s7, vcc_lo
	s_delay_alu instid0(VALU_DEP_1) | instid1(SALU_CYCLE_1)
	v_cndmask_b32_e64 v0, v0, 0, s7
	s_delay_alu instid0(VALU_DEP_1)
	v_or_b32_e32 v34, v0, v8
.LBB6_9709:                             ;   in Loop: Header=BB6_7543 Depth=2
	s_or_b32 exec_lo, exec_lo, s41
                                        ; implicit-def: $vgpr8
.LBB6_9710:                             ;   in Loop: Header=BB6_7543 Depth=2
	s_and_not1_saveexec_b32 s7, s14
; %bb.9711:                             ;   in Loop: Header=BB6_7543 Depth=2
	v_or_b32_e32 v34, 0x7b, v8
; %bb.9712:                             ;   in Loop: Header=BB6_7543 Depth=2
	s_or_b32 exec_lo, exec_lo, s7
                                        ; implicit-def: $vgpr1
                                        ; implicit-def: $vgpr0
.LBB6_9713:                             ;   in Loop: Header=BB6_7543 Depth=2
	s_and_not1_saveexec_b32 s7, s10
	s_cbranch_execz .LBB6_9719
; %bb.9714:                             ;   in Loop: Header=BB6_7543 Depth=2
	s_mov_b32 s10, exec_lo
                                        ; implicit-def: $vgpr34
	v_cmpx_ne_u64_e32 0, v[24:25]
	s_xor_b32 s10, exec_lo, s10
; %bb.9715:                             ;   in Loop: Header=BB6_7543 Depth=2
	v_or_b32_e32 v34, 0x7f, v0
                                        ; implicit-def: $vgpr1
; %bb.9716:                             ;   in Loop: Header=BB6_7543 Depth=2
	s_and_not1_saveexec_b32 s10, s10
; %bb.9717:                             ;   in Loop: Header=BB6_7543 Depth=2
	v_cmp_lt_i32_e32 vcc_lo, -1, v1
	v_cndmask_b32_e32 v34, 0xfc, v41, vcc_lo
; %bb.9718:                             ;   in Loop: Header=BB6_7543 Depth=2
	s_or_b32 exec_lo, exec_lo, s10
.LBB6_9719:                             ;   in Loop: Header=BB6_7543 Depth=2
	s_delay_alu instid0(SALU_CYCLE_1) | instskip(SKIP_4) | instid1(VALU_DEP_2)
	s_or_b32 exec_lo, exec_lo, s7
	v_lshrrev_b32_e32 v6, 16, v2
	v_lshrrev_b32_e32 v0, 16, v18
	s_and_not1_b32 vcc_lo, exec_lo, s13
	s_mov_b32 s10, -1
                                        ; implicit-def: $vgpr7
	v_and_b32_e32 v1, 0xff, v6
	s_delay_alu instid0(VALU_DEP_1)
	v_cmp_ne_u16_e64 s7, 0, v1
	s_cbranch_vccnz .LBB6_9741
; %bb.9720:                             ;   in Loop: Header=BB6_7543 Depth=2
	v_dual_mov_b32 v8, 0 :: v_dual_mov_b32 v7, 0
	s_and_saveexec_b32 s10, s7
	s_cbranch_execz .LBB6_9730
; %bb.9721:                             ;   in Loop: Header=BB6_7543 Depth=2
	v_bfrev_b32_e32 v7, 1
	s_mov_b32 s14, exec_lo
	v_cmpx_ne_u16_e32 0x80, v1
	s_cbranch_execz .LBB6_9729
; %bb.9722:                             ;   in Loop: Header=BB6_7543 Depth=2
	v_and_b32_e32 v7, 0x7c0000, v2
	v_bfe_u32 v9, v2, 16, 2
	s_delay_alu instid0(VALU_DEP_2) | instskip(SKIP_1) | instid1(SALU_CYCLE_1)
	v_cmp_ne_u32_e32 vcc_lo, 0x7c0000, v7
                                        ; implicit-def: $vgpr7
	s_and_saveexec_b32 s41, vcc_lo
	s_xor_b32 s41, exec_lo, s41
	s_cbranch_execz .LBB6_9726
; %bb.9723:                             ;   in Loop: Header=BB6_7543 Depth=2
	v_bfe_u32 v7, v2, 18, 5
	s_mov_b32 s42, exec_lo
	s_delay_alu instid0(VALU_DEP_1)
	v_cmpx_eq_u32_e32 0, v7
; %bb.9724:                             ;   in Loop: Header=BB6_7543 Depth=2
	v_clz_i32_u32_e32 v7, v9
	s_delay_alu instid0(VALU_DEP_1) | instskip(NEXT) | instid1(VALU_DEP_1)
	v_min_u32_e32 v7, 32, v7
	v_subrev_nc_u32_e32 v9, 29, v7
	s_delay_alu instid0(VALU_DEP_1) | instskip(NEXT) | instid1(VALU_DEP_1)
	v_lshlrev_b64_e32 v[84:85], v9, v[6:7]
	v_dual_sub_nc_u32 v7, 30, v7 :: v_dual_bitop2_b32 v9, 3, v84 bitop3:0x40
; %bb.9725:                             ;   in Loop: Header=BB6_7543 Depth=2
	s_or_b32 exec_lo, exec_lo, s42
	v_lshlrev_b32_e32 v24, 24, v6
	s_delay_alu instid0(VALU_DEP_1) | instskip(NEXT) | instid1(VALU_DEP_1)
	v_and_b32_e32 v24, 0x80000000, v24
	v_lshl_add_u32 v7, v7, 23, v24
	s_delay_alu instid0(VALU_DEP_1) | instskip(NEXT) | instid1(VALU_DEP_1)
	v_lshl_or_b32 v7, v9, 21, v7
                                        ; implicit-def: $vgpr9
	v_add_nc_u32_e32 v7, 0x38000000, v7
.LBB6_9726:                             ;   in Loop: Header=BB6_7543 Depth=2
	s_and_not1_saveexec_b32 s41, s41
; %bb.9727:                             ;   in Loop: Header=BB6_7543 Depth=2
	v_bfe_i32 v7, v6, 0, 8
	s_delay_alu instid0(VALU_DEP_1) | instskip(SKIP_2) | instid1(VALU_DEP_2)
	v_cmp_lt_i16_e32 vcc_lo, -1, v7
	v_cndmask_b32_e32 v7, 0xff800000, v75, vcc_lo
	v_cmp_eq_u32_e32 vcc_lo, 0, v9
	v_cndmask_b32_e32 v7, 0x7f800001, v7, vcc_lo
; %bb.9728:                             ;   in Loop: Header=BB6_7543 Depth=2
	s_or_b32 exec_lo, exec_lo, s41
.LBB6_9729:                             ;   in Loop: Header=BB6_7543 Depth=2
	s_delay_alu instid0(SALU_CYCLE_1)
	s_or_b32 exec_lo, exec_lo, s14
.LBB6_9730:                             ;   in Loop: Header=BB6_7543 Depth=2
	s_delay_alu instid0(SALU_CYCLE_1) | instskip(SKIP_2) | instid1(VALU_DEP_1)
	s_or_b32 exec_lo, exec_lo, s10
	v_and_b32_e32 v9, 0xff, v0
	s_mov_b32 s10, exec_lo
	v_cmpx_ne_u16_e32 0, v9
	s_cbranch_execz .LBB6_9740
; %bb.9731:                             ;   in Loop: Header=BB6_7543 Depth=2
	v_bfrev_b32_e32 v8, 1
	s_mov_b32 s14, exec_lo
	v_cmpx_ne_u16_e32 0x80, v9
	s_cbranch_execz .LBB6_9739
; %bb.9732:                             ;   in Loop: Header=BB6_7543 Depth=2
	v_and_b32_e32 v8, 0x7c0000, v18
	v_bfe_u32 v9, v18, 16, 2
	s_delay_alu instid0(VALU_DEP_2) | instskip(SKIP_1) | instid1(SALU_CYCLE_1)
	v_cmp_ne_u32_e32 vcc_lo, 0x7c0000, v8
                                        ; implicit-def: $vgpr8
	s_and_saveexec_b32 s41, vcc_lo
	s_xor_b32 s41, exec_lo, s41
	s_cbranch_execz .LBB6_9736
; %bb.9733:                             ;   in Loop: Header=BB6_7543 Depth=2
	v_bfe_u32 v8, v18, 18, 5
	s_mov_b32 s42, exec_lo
	s_delay_alu instid0(VALU_DEP_1)
	v_cmpx_eq_u32_e32 0, v8
; %bb.9734:                             ;   in Loop: Header=BB6_7543 Depth=2
	v_clz_i32_u32_e32 v8, v9
	s_delay_alu instid0(VALU_DEP_1) | instskip(NEXT) | instid1(VALU_DEP_1)
	v_min_u32_e32 v8, 32, v8
	v_subrev_nc_u32_e32 v9, 29, v8
	v_sub_nc_u32_e32 v8, 30, v8
	s_delay_alu instid0(VALU_DEP_2) | instskip(NEXT) | instid1(VALU_DEP_1)
	v_lshlrev_b64_e32 v[84:85], v9, v[0:1]
	v_and_b32_e32 v9, 3, v84
; %bb.9735:                             ;   in Loop: Header=BB6_7543 Depth=2
	s_or_b32 exec_lo, exec_lo, s42
	v_lshlrev_b32_e32 v24, 24, v0
	s_delay_alu instid0(VALU_DEP_1) | instskip(NEXT) | instid1(VALU_DEP_1)
	v_and_b32_e32 v24, 0x80000000, v24
	v_lshl_add_u32 v8, v8, 23, v24
	s_delay_alu instid0(VALU_DEP_1) | instskip(NEXT) | instid1(VALU_DEP_1)
	v_lshl_or_b32 v8, v9, 21, v8
                                        ; implicit-def: $vgpr9
	v_add_nc_u32_e32 v8, 0x38000000, v8
.LBB6_9736:                             ;   in Loop: Header=BB6_7543 Depth=2
	s_and_not1_saveexec_b32 s41, s41
; %bb.9737:                             ;   in Loop: Header=BB6_7543 Depth=2
	v_bfe_i32 v8, v0, 0, 8
	s_delay_alu instid0(VALU_DEP_1) | instskip(SKIP_2) | instid1(VALU_DEP_2)
	v_cmp_lt_i16_e32 vcc_lo, -1, v8
	v_cndmask_b32_e32 v8, 0xff800000, v75, vcc_lo
	v_cmp_eq_u32_e32 vcc_lo, 0, v9
	v_cndmask_b32_e32 v8, 0x7f800001, v8, vcc_lo
; %bb.9738:                             ;   in Loop: Header=BB6_7543 Depth=2
	s_or_b32 exec_lo, exec_lo, s41
.LBB6_9739:                             ;   in Loop: Header=BB6_7543 Depth=2
	s_delay_alu instid0(SALU_CYCLE_1)
	s_or_b32 exec_lo, exec_lo, s14
.LBB6_9740:                             ;   in Loop: Header=BB6_7543 Depth=2
	s_delay_alu instid0(SALU_CYCLE_1) | instskip(NEXT) | instid1(VALU_DEP_1)
	s_or_b32 exec_lo, exec_lo, s10
	v_dual_max_num_f32 v8, v8, v8 :: v_dual_max_num_f32 v7, v7, v7
	s_mov_b32 s10, 0
	s_delay_alu instid0(VALU_DEP_1)
	v_max_num_f32_e32 v7, v7, v8
.LBB6_9741:                             ;   in Loop: Header=BB6_7543 Depth=2
	s_and_b32 vcc_lo, exec_lo, s10
	s_cbranch_vccz .LBB6_9763
; %bb.9742:                             ;   in Loop: Header=BB6_7543 Depth=2
	v_dual_mov_b32 v8, 0 :: v_dual_mov_b32 v7, 0
	s_and_saveexec_b32 s10, s7
	s_cbranch_execz .LBB6_9752
; %bb.9743:                             ;   in Loop: Header=BB6_7543 Depth=2
	v_bfrev_b32_e32 v7, 1
	s_mov_b32 s7, exec_lo
	v_cmpx_ne_u16_e32 0x80, v1
	s_cbranch_execz .LBB6_9751
; %bb.9744:                             ;   in Loop: Header=BB6_7543 Depth=2
	v_and_b32_e32 v7, 0x7c0000, v2
	v_bfe_u32 v1, v2, 16, 2
	s_delay_alu instid0(VALU_DEP_2) | instskip(SKIP_1) | instid1(SALU_CYCLE_1)
	v_cmp_ne_u32_e32 vcc_lo, 0x7c0000, v7
                                        ; implicit-def: $vgpr7
	s_and_saveexec_b32 s14, vcc_lo
	s_xor_b32 s14, exec_lo, s14
	s_cbranch_execz .LBB6_9748
; %bb.9745:                             ;   in Loop: Header=BB6_7543 Depth=2
	v_bfe_u32 v7, v2, 18, 5
	s_mov_b32 s41, exec_lo
	s_delay_alu instid0(VALU_DEP_1)
	v_cmpx_eq_u32_e32 0, v7
; %bb.9746:                             ;   in Loop: Header=BB6_7543 Depth=2
	v_clz_i32_u32_e32 v1, v1
	s_delay_alu instid0(VALU_DEP_1) | instskip(NEXT) | instid1(VALU_DEP_1)
	v_min_u32_e32 v1, 32, v1
	v_subrev_nc_u32_e32 v7, 29, v1
	s_delay_alu instid0(VALU_DEP_1) | instskip(NEXT) | instid1(VALU_DEP_1)
	v_lshlrev_b64_e32 v[84:85], v7, v[6:7]
	v_dual_sub_nc_u32 v7, 30, v1 :: v_dual_bitop2_b32 v1, 3, v84 bitop3:0x40
; %bb.9747:                             ;   in Loop: Header=BB6_7543 Depth=2
	s_or_b32 exec_lo, exec_lo, s41
	v_lshlrev_b32_e32 v6, 24, v6
	s_delay_alu instid0(VALU_DEP_1) | instskip(NEXT) | instid1(VALU_DEP_1)
	v_and_b32_e32 v6, 0x80000000, v6
	v_lshl_add_u32 v6, v7, 23, v6
	s_delay_alu instid0(VALU_DEP_1) | instskip(NEXT) | instid1(VALU_DEP_1)
	v_lshl_or_b32 v1, v1, 21, v6
                                        ; implicit-def: $vgpr6
	v_add_nc_u32_e32 v7, 0x38000000, v1
                                        ; implicit-def: $vgpr1
.LBB6_9748:                             ;   in Loop: Header=BB6_7543 Depth=2
	s_and_not1_saveexec_b32 s14, s14
; %bb.9749:                             ;   in Loop: Header=BB6_7543 Depth=2
	v_bfe_i32 v6, v6, 0, 8
	s_delay_alu instid0(VALU_DEP_1) | instskip(SKIP_2) | instid1(VALU_DEP_2)
	v_cmp_lt_i16_e32 vcc_lo, -1, v6
	v_cndmask_b32_e32 v6, 0xff800000, v75, vcc_lo
	v_cmp_eq_u32_e32 vcc_lo, 0, v1
	v_cndmask_b32_e32 v7, 0x7f800001, v6, vcc_lo
; %bb.9750:                             ;   in Loop: Header=BB6_7543 Depth=2
	s_or_b32 exec_lo, exec_lo, s14
.LBB6_9751:                             ;   in Loop: Header=BB6_7543 Depth=2
	s_delay_alu instid0(SALU_CYCLE_1)
	s_or_b32 exec_lo, exec_lo, s7
.LBB6_9752:                             ;   in Loop: Header=BB6_7543 Depth=2
	s_delay_alu instid0(SALU_CYCLE_1) | instskip(SKIP_2) | instid1(VALU_DEP_1)
	s_or_b32 exec_lo, exec_lo, s10
	v_and_b32_e32 v1, 0xff, v0
	s_mov_b32 s7, exec_lo
	v_cmpx_ne_u16_e32 0, v1
	s_cbranch_execz .LBB6_9762
; %bb.9753:                             ;   in Loop: Header=BB6_7543 Depth=2
	v_bfrev_b32_e32 v8, 1
	s_mov_b32 s10, exec_lo
	v_cmpx_ne_u16_e32 0x80, v1
	s_cbranch_execz .LBB6_9761
; %bb.9754:                             ;   in Loop: Header=BB6_7543 Depth=2
	v_and_b32_e32 v6, 0x7c0000, v18
	v_bfe_u32 v1, v18, 16, 2
	s_mov_b32 s14, exec_lo
                                        ; implicit-def: $vgpr8
	s_delay_alu instid0(VALU_DEP_2)
	v_cmpx_ne_u32_e32 0x7c0000, v6
	s_xor_b32 s14, exec_lo, s14
	s_cbranch_execz .LBB6_9758
; %bb.9755:                             ;   in Loop: Header=BB6_7543 Depth=2
	v_bfe_u32 v6, v18, 18, 5
	s_mov_b32 s41, exec_lo
	s_delay_alu instid0(VALU_DEP_1)
	v_cmpx_eq_u32_e32 0, v6
; %bb.9756:                             ;   in Loop: Header=BB6_7543 Depth=2
	v_clz_i32_u32_e32 v1, v1
	s_delay_alu instid0(VALU_DEP_1) | instskip(NEXT) | instid1(VALU_DEP_1)
	v_min_u32_e32 v1, 32, v1
	v_subrev_nc_u32_e32 v6, 29, v1
	s_delay_alu instid0(VALU_DEP_1) | instskip(NEXT) | instid1(VALU_DEP_1)
	v_lshlrev_b64_e32 v[8:9], v6, v[0:1]
	v_dual_sub_nc_u32 v6, 30, v1 :: v_dual_bitop2_b32 v1, 3, v8 bitop3:0x40
; %bb.9757:                             ;   in Loop: Header=BB6_7543 Depth=2
	s_or_b32 exec_lo, exec_lo, s41
	v_lshlrev_b32_e32 v0, 24, v0
	s_delay_alu instid0(VALU_DEP_1) | instskip(NEXT) | instid1(VALU_DEP_1)
	v_and_b32_e32 v0, 0x80000000, v0
	v_lshl_add_u32 v0, v6, 23, v0
	s_delay_alu instid0(VALU_DEP_1) | instskip(NEXT) | instid1(VALU_DEP_1)
	v_lshl_or_b32 v0, v1, 21, v0
                                        ; implicit-def: $vgpr1
	v_add_nc_u32_e32 v8, 0x38000000, v0
                                        ; implicit-def: $vgpr0
.LBB6_9758:                             ;   in Loop: Header=BB6_7543 Depth=2
	s_and_not1_saveexec_b32 s14, s14
; %bb.9759:                             ;   in Loop: Header=BB6_7543 Depth=2
	v_bfe_i32 v0, v0, 0, 8
	s_delay_alu instid0(VALU_DEP_1) | instskip(SKIP_2) | instid1(VALU_DEP_2)
	v_cmp_lt_i16_e32 vcc_lo, -1, v0
	v_cndmask_b32_e32 v0, 0xff800000, v75, vcc_lo
	v_cmp_eq_u32_e32 vcc_lo, 0, v1
	v_cndmask_b32_e32 v8, 0x7f800001, v0, vcc_lo
; %bb.9760:                             ;   in Loop: Header=BB6_7543 Depth=2
	s_or_b32 exec_lo, exec_lo, s14
.LBB6_9761:                             ;   in Loop: Header=BB6_7543 Depth=2
	s_delay_alu instid0(SALU_CYCLE_1)
	s_or_b32 exec_lo, exec_lo, s10
.LBB6_9762:                             ;   in Loop: Header=BB6_7543 Depth=2
	s_delay_alu instid0(SALU_CYCLE_1) | instskip(NEXT) | instid1(VALU_DEP_1)
	s_or_b32 exec_lo, exec_lo, s7
	v_dual_max_num_f32 v0, v8, v8 :: v_dual_max_num_f32 v1, v7, v7
	s_delay_alu instid0(VALU_DEP_1)
	v_min_num_f32_e32 v7, v1, v0
.LBB6_9763:                             ;   in Loop: Header=BB6_7543 Depth=2
	s_delay_alu instid0(VALU_DEP_1) | instskip(SKIP_2) | instid1(VALU_DEP_2)
	v_and_b32_e32 v0, 0x7f800000, v7
	v_mov_b32_e32 v1, v25
	v_and_b32_e32 v24, 0x7fffff, v7
                                        ; implicit-def: $vgpr35
	v_cmp_ne_u64_e32 vcc_lo, 0x7f800000, v[0:1]
	v_lshrrev_b32_e32 v0, 24, v7
	s_and_saveexec_b32 s7, vcc_lo
	s_delay_alu instid0(SALU_CYCLE_1)
	s_xor_b32 s10, exec_lo, s7
	s_cbranch_execz .LBB6_9777
; %bb.9764:                             ;   in Loop: Header=BB6_7543 Depth=2
	v_and_b32_e32 v8, 0x7fffffff, v7
	v_mov_b32_e32 v9, v25
                                        ; implicit-def: $vgpr35
	s_delay_alu instid0(VALU_DEP_1) | instskip(SKIP_2) | instid1(SALU_CYCLE_1)
	v_cmp_gt_u64_e32 vcc_lo, 0x47600001, v[8:9]
	v_and_b32_e32 v8, 0x80, v0
	s_and_saveexec_b32 s7, vcc_lo
	s_xor_b32 s14, exec_lo, s7
	s_cbranch_execz .LBB6_9774
; %bb.9765:                             ;   in Loop: Header=BB6_7543 Depth=2
	v_mov_b32_e32 v35, 0
	s_mov_b32 s41, exec_lo
	v_cmpx_ne_u32_e32 0, v7
	s_cbranch_execz .LBB6_9773
; %bb.9766:                             ;   in Loop: Header=BB6_7543 Depth=2
	v_bfe_u32 v9, v7, 23, 8
	v_or_b32_e32 v6, 0x800000, v24
	s_delay_alu instid0(VALU_DEP_2) | instskip(SKIP_1) | instid1(VALU_DEP_2)
	v_sub_nc_u32_e32 v0, 0x71, v9
	v_cmp_gt_u32_e32 vcc_lo, 0x72, v9
	v_cndmask_b32_e32 v0, 0, v0, vcc_lo
	v_cmp_eq_u32_e32 vcc_lo, 0, v9
	s_delay_alu instid0(VALU_DEP_2) | instskip(NEXT) | instid1(VALU_DEP_1)
	v_cndmask_b32_e64 v35, v0, 0x70, vcc_lo
	v_dual_cndmask_b32 v24, v6, v24, vcc_lo :: v_dual_add_nc_u32 v0, 21, v35
	v_add_nc_u32_e32 v7, 20, v35
	s_delay_alu instid0(VALU_DEP_2) | instskip(NEXT) | instid1(VALU_DEP_2)
	v_lshlrev_b64_e64 v[0:1], v0, -1
	v_lshlrev_b64_e64 v[6:7], v7, 1
	s_delay_alu instid0(VALU_DEP_2) | instskip(NEXT) | instid1(VALU_DEP_3)
	v_bfi_b32 v85, v1, 0, 0
	v_bfi_b32 v84, v0, 0, v24
	v_lshrrev_b64 v[0:1], v35, v[24:25]
	s_delay_alu instid0(VALU_DEP_2) | instskip(NEXT) | instid1(VALU_DEP_2)
	v_cmp_eq_u64_e64 s7, v[84:85], v[6:7]
	v_mov_b64_e32 v[6:7], v[0:1]
	s_and_saveexec_b32 s42, s7
; %bb.9767:                             ;   in Loop: Header=BB6_7543 Depth=2
	v_bfe_u32 v24, v0, 21, 1
	s_delay_alu instid0(VALU_DEP_1) | instskip(NEXT) | instid1(VALU_DEP_1)
	v_add_nc_u64_e32 v[6:7], v[0:1], v[24:25]
	v_add_nc_u64_e32 v[6:7], -1, v[6:7]
; %bb.9768:                             ;   in Loop: Header=BB6_7543 Depth=2
	s_or_b32 exec_lo, exec_lo, s42
	v_add_nc_u32_e32 v1, 0xffffff81, v9
	v_lshrrev_b32_e32 v7, 23, v0
	s_mov_b32 s7, exec_lo
	s_delay_alu instid0(VALU_DEP_2) | instskip(NEXT) | instid1(VALU_DEP_1)
	v_cndmask_b32_e64 v1, v1, 0xffffff82, vcc_lo
	v_add3_u32 v7, v35, v1, v7
	v_and_b32_e32 v1, 0x1fffff, v6
                                        ; implicit-def: $vgpr6
	s_delay_alu instid0(VALU_DEP_1) | instskip(NEXT) | instid1(VALU_DEP_1)
	v_dual_add_nc_u32 v9, 14, v7 :: v_dual_add_nc_u32 v24, v1, v0
                                        ; implicit-def: $vgpr0_vgpr1
	v_cmpx_ne_u32_e32 0, v9
	s_xor_b32 s7, exec_lo, s7
; %bb.9769:                             ;   in Loop: Header=BB6_7543 Depth=2
	s_delay_alu instid0(VALU_DEP_2) | instskip(SKIP_1) | instid1(VALU_DEP_1)
	v_cmp_lt_u64_e32 vcc_lo, 0xffffff, v[24:25]
	v_add_nc_u32_e32 v0, 15, v7
	v_cndmask_b32_e32 v6, v9, v0, vcc_lo
	v_cndmask_b32_e64 v0, 0, 1, vcc_lo
	s_delay_alu instid0(VALU_DEP_1)
	v_lshrrev_b64 v[0:1], v0, v[24:25]
; %bb.9770:                             ;   in Loop: Header=BB6_7543 Depth=2
	s_and_not1_saveexec_b32 s7, s7
; %bb.9771:                             ;   in Loop: Header=BB6_7543 Depth=2
	v_mov_b64_e32 v[0:1], v[24:25]
	v_bfe_u32 v6, v24, 23, 1
; %bb.9772:                             ;   in Loop: Header=BB6_7543 Depth=2
	s_or_b32 exec_lo, exec_lo, s7
	s_delay_alu instid0(VALU_DEP_2) | instskip(NEXT) | instid1(VALU_DEP_2)
	v_lshrrev_b64 v[0:1], 21, v[0:1]
	v_cmp_gt_i32_e32 vcc_lo, 32, v6
	v_min_i32_e32 v7, 31, v6
	v_cmp_eq_u32_e64 s7, 0, v6
	s_delay_alu instid0(VALU_DEP_2) | instskip(SKIP_1) | instid1(VALU_DEP_2)
	v_dual_cndmask_b32 v1, 0, v1, vcc_lo :: v_dual_lshlrev_b32 v7, 2, v7
	v_cndmask_b32_e32 v0, 3, v0, vcc_lo
	v_and_b32_e32 v7, 0xfc, v7
	s_delay_alu instid0(VALU_DEP_2) | instskip(NEXT) | instid1(VALU_DEP_2)
	v_cmp_eq_u64_e32 vcc_lo, 0, v[0:1]
	v_and_or_b32 v0, v0, 3, v7
	s_and_b32 s7, s7, vcc_lo
	s_delay_alu instid0(VALU_DEP_1) | instid1(SALU_CYCLE_1)
	v_cndmask_b32_e64 v0, v0, 0, s7
	s_delay_alu instid0(VALU_DEP_1)
	v_or_b32_e32 v35, v0, v8
.LBB6_9773:                             ;   in Loop: Header=BB6_7543 Depth=2
	s_or_b32 exec_lo, exec_lo, s41
                                        ; implicit-def: $vgpr8
.LBB6_9774:                             ;   in Loop: Header=BB6_7543 Depth=2
	s_and_not1_saveexec_b32 s7, s14
; %bb.9775:                             ;   in Loop: Header=BB6_7543 Depth=2
	v_or_b32_e32 v35, 0x7b, v8
; %bb.9776:                             ;   in Loop: Header=BB6_7543 Depth=2
	s_or_b32 exec_lo, exec_lo, s7
                                        ; implicit-def: $vgpr7
                                        ; implicit-def: $vgpr0
.LBB6_9777:                             ;   in Loop: Header=BB6_7543 Depth=2
	s_and_not1_saveexec_b32 s7, s10
	s_cbranch_execz .LBB6_9783
; %bb.9778:                             ;   in Loop: Header=BB6_7543 Depth=2
	s_mov_b32 s10, exec_lo
                                        ; implicit-def: $vgpr35
	v_cmpx_ne_u64_e32 0, v[24:25]
	s_xor_b32 s10, exec_lo, s10
; %bb.9779:                             ;   in Loop: Header=BB6_7543 Depth=2
	v_or_b32_e32 v35, 0x7f, v0
                                        ; implicit-def: $vgpr7
; %bb.9780:                             ;   in Loop: Header=BB6_7543 Depth=2
	s_and_not1_saveexec_b32 s10, s10
; %bb.9781:                             ;   in Loop: Header=BB6_7543 Depth=2
	v_cmp_lt_i32_e32 vcc_lo, -1, v7
	v_cndmask_b32_e32 v35, 0xfc, v41, vcc_lo
; %bb.9782:                             ;   in Loop: Header=BB6_7543 Depth=2
	s_or_b32 exec_lo, exec_lo, s10
.LBB6_9783:                             ;   in Loop: Header=BB6_7543 Depth=2
	s_delay_alu instid0(SALU_CYCLE_1)
	s_or_b32 exec_lo, exec_lo, s7
	v_lshrrev_b32_e32 v6, 24, v2
	v_lshrrev_b32_e32 v0, 24, v18
	v_cmp_lt_u32_e64 s7, 0xffffff, v2
	s_and_not1_b32 vcc_lo, exec_lo, s13
	s_mov_b32 s10, -1
                                        ; implicit-def: $vgpr1
	s_cbranch_vccnz .LBB6_9805
; %bb.9784:                             ;   in Loop: Header=BB6_7543 Depth=2
	v_dual_mov_b32 v7, 0 :: v_dual_mov_b32 v1, 0
	s_and_saveexec_b32 s10, s7
	s_cbranch_execz .LBB6_9794
; %bb.9785:                             ;   in Loop: Header=BB6_7543 Depth=2
	v_bfrev_b32_e32 v1, 1
	s_mov_b32 s14, exec_lo
	v_cmpx_ne_u32_e32 0x80, v6
	s_cbranch_execz .LBB6_9793
; %bb.9786:                             ;   in Loop: Header=BB6_7543 Depth=2
	v_and_b32_e32 v1, 0x7c000000, v2
	v_bfe_u32 v8, v2, 24, 2
	s_delay_alu instid0(VALU_DEP_2) | instskip(SKIP_1) | instid1(SALU_CYCLE_1)
	v_cmp_ne_u32_e32 vcc_lo, 0x7c000000, v1
                                        ; implicit-def: $vgpr1
	s_and_saveexec_b32 s41, vcc_lo
	s_xor_b32 s41, exec_lo, s41
	s_cbranch_execz .LBB6_9790
; %bb.9787:                             ;   in Loop: Header=BB6_7543 Depth=2
	v_bfe_u32 v1, v2, 26, 5
	s_mov_b32 s42, exec_lo
	s_delay_alu instid0(VALU_DEP_1)
	v_cmpx_eq_u32_e32 0, v1
; %bb.9788:                             ;   in Loop: Header=BB6_7543 Depth=2
	v_clz_i32_u32_e32 v1, v8
	s_delay_alu instid0(VALU_DEP_1) | instskip(NEXT) | instid1(VALU_DEP_1)
	v_min_u32_e32 v1, 32, v1
	v_subrev_nc_u32_e32 v8, 29, v1
	s_delay_alu instid0(VALU_DEP_1) | instskip(NEXT) | instid1(VALU_DEP_1)
	v_lshlrev_b64_e32 v[8:9], v8, v[6:7]
	v_dual_sub_nc_u32 v1, 30, v1 :: v_dual_bitop2_b32 v8, 3, v8 bitop3:0x40
; %bb.9789:                             ;   in Loop: Header=BB6_7543 Depth=2
	s_or_b32 exec_lo, exec_lo, s42
	v_and_b32_e32 v9, 0x80000000, v2
	s_delay_alu instid0(VALU_DEP_1) | instskip(NEXT) | instid1(VALU_DEP_1)
	v_lshl_add_u32 v1, v1, 23, v9
	v_lshl_or_b32 v1, v8, 21, v1
                                        ; implicit-def: $vgpr8
	s_delay_alu instid0(VALU_DEP_1)
	v_add_nc_u32_e32 v1, 0x38000000, v1
.LBB6_9790:                             ;   in Loop: Header=BB6_7543 Depth=2
	s_and_not1_saveexec_b32 s41, s41
; %bb.9791:                             ;   in Loop: Header=BB6_7543 Depth=2
	v_cmp_lt_i32_e32 vcc_lo, -1, v2
	v_cndmask_b32_e32 v1, 0xff800000, v75, vcc_lo
	v_cmp_eq_u32_e32 vcc_lo, 0, v8
	s_delay_alu instid0(VALU_DEP_2)
	v_cndmask_b32_e32 v1, 0x7f800001, v1, vcc_lo
; %bb.9792:                             ;   in Loop: Header=BB6_7543 Depth=2
	s_or_b32 exec_lo, exec_lo, s41
.LBB6_9793:                             ;   in Loop: Header=BB6_7543 Depth=2
	s_delay_alu instid0(SALU_CYCLE_1)
	s_or_b32 exec_lo, exec_lo, s14
.LBB6_9794:                             ;   in Loop: Header=BB6_7543 Depth=2
	s_delay_alu instid0(SALU_CYCLE_1) | instskip(NEXT) | instid1(SALU_CYCLE_1)
	s_or_b32 exec_lo, exec_lo, s10
	s_mov_b32 s10, exec_lo
	v_cmpx_lt_u32_e32 0xffffff, v18
	s_cbranch_execz .LBB6_9804
; %bb.9795:                             ;   in Loop: Header=BB6_7543 Depth=2
	v_bfrev_b32_e32 v7, 1
	s_mov_b32 s14, exec_lo
	v_cmpx_ne_u32_e32 0x80, v0
	s_cbranch_execz .LBB6_9803
; %bb.9796:                             ;   in Loop: Header=BB6_7543 Depth=2
	v_and_b32_e32 v7, 0x7c000000, v18
	v_bfe_u32 v8, v18, 24, 2
	s_delay_alu instid0(VALU_DEP_2) | instskip(SKIP_1) | instid1(SALU_CYCLE_1)
	v_cmp_ne_u32_e32 vcc_lo, 0x7c000000, v7
                                        ; implicit-def: $vgpr7
	s_and_saveexec_b32 s41, vcc_lo
	s_xor_b32 s41, exec_lo, s41
	s_cbranch_execz .LBB6_9800
; %bb.9797:                             ;   in Loop: Header=BB6_7543 Depth=2
	v_bfe_u32 v7, v18, 26, 5
	s_mov_b32 s42, exec_lo
	s_delay_alu instid0(VALU_DEP_1)
	v_cmpx_eq_u32_e32 0, v7
; %bb.9798:                             ;   in Loop: Header=BB6_7543 Depth=2
	v_clz_i32_u32_e32 v7, v8
	s_delay_alu instid0(VALU_DEP_1) | instskip(NEXT) | instid1(VALU_DEP_1)
	v_min_u32_e32 v7, 32, v7
	v_subrev_nc_u32_e32 v8, 29, v7
	s_delay_alu instid0(VALU_DEP_1) | instskip(NEXT) | instid1(VALU_DEP_1)
	v_lshlrev_b64_e32 v[8:9], v8, v[0:1]
	v_dual_sub_nc_u32 v7, 30, v7 :: v_dual_bitop2_b32 v8, 3, v8 bitop3:0x40
; %bb.9799:                             ;   in Loop: Header=BB6_7543 Depth=2
	s_or_b32 exec_lo, exec_lo, s42
	v_and_b32_e32 v9, 0x80000000, v18
	s_delay_alu instid0(VALU_DEP_1) | instskip(NEXT) | instid1(VALU_DEP_1)
	v_lshl_add_u32 v7, v7, 23, v9
	v_lshl_or_b32 v7, v8, 21, v7
                                        ; implicit-def: $vgpr8
	s_delay_alu instid0(VALU_DEP_1)
	v_add_nc_u32_e32 v7, 0x38000000, v7
.LBB6_9800:                             ;   in Loop: Header=BB6_7543 Depth=2
	s_and_not1_saveexec_b32 s41, s41
; %bb.9801:                             ;   in Loop: Header=BB6_7543 Depth=2
	v_cmp_lt_i32_e32 vcc_lo, -1, v18
	v_cndmask_b32_e32 v7, 0xff800000, v75, vcc_lo
	v_cmp_eq_u32_e32 vcc_lo, 0, v8
	s_delay_alu instid0(VALU_DEP_2)
	v_cndmask_b32_e32 v7, 0x7f800001, v7, vcc_lo
; %bb.9802:                             ;   in Loop: Header=BB6_7543 Depth=2
	s_or_b32 exec_lo, exec_lo, s41
.LBB6_9803:                             ;   in Loop: Header=BB6_7543 Depth=2
	s_delay_alu instid0(SALU_CYCLE_1)
	s_or_b32 exec_lo, exec_lo, s14
.LBB6_9804:                             ;   in Loop: Header=BB6_7543 Depth=2
	s_delay_alu instid0(SALU_CYCLE_1) | instskip(NEXT) | instid1(VALU_DEP_1)
	s_or_b32 exec_lo, exec_lo, s10
	v_dual_max_num_f32 v7, v7, v7 :: v_dual_max_num_f32 v1, v1, v1
	s_mov_b32 s10, 0
	s_delay_alu instid0(VALU_DEP_1)
	v_max_num_f32_e32 v1, v1, v7
.LBB6_9805:                             ;   in Loop: Header=BB6_7543 Depth=2
	s_and_b32 vcc_lo, exec_lo, s10
	s_cbranch_vccz .LBB6_9827
; %bb.9806:                             ;   in Loop: Header=BB6_7543 Depth=2
	v_dual_mov_b32 v7, 0 :: v_dual_mov_b32 v1, 0
	s_and_saveexec_b32 s10, s7
	s_cbranch_execz .LBB6_9816
; %bb.9807:                             ;   in Loop: Header=BB6_7543 Depth=2
	v_bfrev_b32_e32 v1, 1
	s_mov_b32 s7, exec_lo
	v_cmpx_ne_u32_e32 0x80, v6
	s_cbranch_execz .LBB6_9815
; %bb.9808:                             ;   in Loop: Header=BB6_7543 Depth=2
	v_and_b32_e32 v1, 0x7c000000, v2
	v_bfe_u32 v8, v2, 24, 2
	s_delay_alu instid0(VALU_DEP_2) | instskip(SKIP_1) | instid1(SALU_CYCLE_1)
	v_cmp_ne_u32_e32 vcc_lo, 0x7c000000, v1
                                        ; implicit-def: $vgpr1
	s_and_saveexec_b32 s14, vcc_lo
	s_xor_b32 s14, exec_lo, s14
	s_cbranch_execz .LBB6_9812
; %bb.9809:                             ;   in Loop: Header=BB6_7543 Depth=2
	v_bfe_u32 v1, v2, 26, 5
	s_mov_b32 s41, exec_lo
	s_delay_alu instid0(VALU_DEP_1)
	v_cmpx_eq_u32_e32 0, v1
; %bb.9810:                             ;   in Loop: Header=BB6_7543 Depth=2
	v_clz_i32_u32_e32 v1, v8
	s_delay_alu instid0(VALU_DEP_1) | instskip(NEXT) | instid1(VALU_DEP_1)
	v_min_u32_e32 v1, 32, v1
	v_subrev_nc_u32_e32 v8, 29, v1
	s_delay_alu instid0(VALU_DEP_1) | instskip(NEXT) | instid1(VALU_DEP_1)
	v_lshlrev_b64_e32 v[8:9], v8, v[6:7]
	v_dual_sub_nc_u32 v1, 30, v1 :: v_dual_bitop2_b32 v8, 3, v8 bitop3:0x40
; %bb.9811:                             ;   in Loop: Header=BB6_7543 Depth=2
	s_or_b32 exec_lo, exec_lo, s41
	v_and_b32_e32 v6, 0x80000000, v2
	s_delay_alu instid0(VALU_DEP_1) | instskip(NEXT) | instid1(VALU_DEP_1)
	v_lshl_add_u32 v1, v1, 23, v6
	v_lshl_or_b32 v1, v8, 21, v1
                                        ; implicit-def: $vgpr8
	s_delay_alu instid0(VALU_DEP_1)
	v_add_nc_u32_e32 v1, 0x38000000, v1
.LBB6_9812:                             ;   in Loop: Header=BB6_7543 Depth=2
	s_and_not1_saveexec_b32 s14, s14
; %bb.9813:                             ;   in Loop: Header=BB6_7543 Depth=2
	v_cmp_lt_i32_e32 vcc_lo, -1, v2
	v_cndmask_b32_e32 v1, 0xff800000, v75, vcc_lo
	v_cmp_eq_u32_e32 vcc_lo, 0, v8
	s_delay_alu instid0(VALU_DEP_2)
	v_cndmask_b32_e32 v1, 0x7f800001, v1, vcc_lo
; %bb.9814:                             ;   in Loop: Header=BB6_7543 Depth=2
	s_or_b32 exec_lo, exec_lo, s14
.LBB6_9815:                             ;   in Loop: Header=BB6_7543 Depth=2
	s_delay_alu instid0(SALU_CYCLE_1)
	s_or_b32 exec_lo, exec_lo, s7
.LBB6_9816:                             ;   in Loop: Header=BB6_7543 Depth=2
	s_delay_alu instid0(SALU_CYCLE_1) | instskip(NEXT) | instid1(SALU_CYCLE_1)
	s_or_b32 exec_lo, exec_lo, s10
	s_mov_b32 s7, exec_lo
	v_cmpx_lt_u32_e32 0xffffff, v18
	s_cbranch_execz .LBB6_9826
; %bb.9817:                             ;   in Loop: Header=BB6_7543 Depth=2
	v_bfrev_b32_e32 v7, 1
	s_mov_b32 s10, exec_lo
	v_cmpx_ne_u32_e32 0x80, v0
	s_cbranch_execz .LBB6_9825
; %bb.9818:                             ;   in Loop: Header=BB6_7543 Depth=2
	v_and_b32_e32 v7, 0x7c000000, v18
	v_bfe_u32 v6, v18, 24, 2
	s_delay_alu instid0(VALU_DEP_2) | instskip(SKIP_1) | instid1(SALU_CYCLE_1)
	v_cmp_ne_u32_e32 vcc_lo, 0x7c000000, v7
                                        ; implicit-def: $vgpr7
	s_and_saveexec_b32 s14, vcc_lo
	s_xor_b32 s14, exec_lo, s14
	s_cbranch_execz .LBB6_9822
; %bb.9819:                             ;   in Loop: Header=BB6_7543 Depth=2
	v_bfe_u32 v7, v18, 26, 5
	s_mov_b32 s41, exec_lo
	s_delay_alu instid0(VALU_DEP_1)
	v_cmpx_eq_u32_e32 0, v7
; %bb.9820:                             ;   in Loop: Header=BB6_7543 Depth=2
	v_clz_i32_u32_e32 v6, v6
	s_delay_alu instid0(VALU_DEP_1) | instskip(NEXT) | instid1(VALU_DEP_1)
	v_min_u32_e32 v8, 32, v6
	v_subrev_nc_u32_e32 v6, 29, v8
	s_delay_alu instid0(VALU_DEP_1) | instskip(NEXT) | instid1(VALU_DEP_1)
	v_lshlrev_b64_e32 v[6:7], v6, v[0:1]
	v_dual_sub_nc_u32 v7, 30, v8 :: v_dual_bitop2_b32 v6, 3, v6 bitop3:0x40
; %bb.9821:                             ;   in Loop: Header=BB6_7543 Depth=2
	s_or_b32 exec_lo, exec_lo, s41
	v_and_b32_e32 v0, 0x80000000, v18
	s_delay_alu instid0(VALU_DEP_1) | instskip(NEXT) | instid1(VALU_DEP_1)
	v_lshl_add_u32 v0, v7, 23, v0
	v_lshl_or_b32 v0, v6, 21, v0
                                        ; implicit-def: $vgpr6
	s_delay_alu instid0(VALU_DEP_1)
	v_add_nc_u32_e32 v7, 0x38000000, v0
.LBB6_9822:                             ;   in Loop: Header=BB6_7543 Depth=2
	s_and_not1_saveexec_b32 s14, s14
; %bb.9823:                             ;   in Loop: Header=BB6_7543 Depth=2
	v_cmp_lt_i32_e32 vcc_lo, -1, v18
	v_cndmask_b32_e32 v0, 0xff800000, v75, vcc_lo
	v_cmp_eq_u32_e32 vcc_lo, 0, v6
	s_delay_alu instid0(VALU_DEP_2)
	v_cndmask_b32_e32 v7, 0x7f800001, v0, vcc_lo
; %bb.9824:                             ;   in Loop: Header=BB6_7543 Depth=2
	s_or_b32 exec_lo, exec_lo, s14
.LBB6_9825:                             ;   in Loop: Header=BB6_7543 Depth=2
	s_delay_alu instid0(SALU_CYCLE_1)
	s_or_b32 exec_lo, exec_lo, s10
.LBB6_9826:                             ;   in Loop: Header=BB6_7543 Depth=2
	s_delay_alu instid0(SALU_CYCLE_1) | instskip(NEXT) | instid1(VALU_DEP_1)
	s_or_b32 exec_lo, exec_lo, s7
	v_dual_max_num_f32 v0, v7, v7 :: v_dual_max_num_f32 v1, v1, v1
	s_delay_alu instid0(VALU_DEP_1)
	v_min_num_f32_e32 v1, v1, v0
.LBB6_9827:                             ;   in Loop: Header=BB6_7543 Depth=2
	s_delay_alu instid0(VALU_DEP_1) | instskip(SKIP_3) | instid1(VALU_DEP_2)
	v_and_b32_e32 v6, 0x7f800000, v1
	v_dual_mov_b32 v7, v25 :: v_dual_lshrrev_b32 v0, 24, v1
	v_and_b32_e32 v24, 0x7fffff, v1
                                        ; implicit-def: $vgpr84
	s_mov_b32 s7, exec_lo
	v_cmpx_ne_u64_e32 0x7f800000, v[6:7]
	s_xor_b32 s10, exec_lo, s7
	s_cbranch_execz .LBB6_9841
; %bb.9828:                             ;   in Loop: Header=BB6_7543 Depth=2
	v_and_b32_e32 v6, 0x7fffffff, v1
	v_mov_b32_e32 v7, v25
	v_and_b32_e32 v8, 0x80, v0
                                        ; implicit-def: $vgpr84
	s_mov_b32 s7, exec_lo
	s_delay_alu instid0(VALU_DEP_2)
	v_cmpx_gt_u64_e32 0x47600001, v[6:7]
	s_xor_b32 s14, exec_lo, s7
	s_cbranch_execz .LBB6_9838
; %bb.9829:                             ;   in Loop: Header=BB6_7543 Depth=2
	v_mov_b32_e32 v84, 0
	s_mov_b32 s41, exec_lo
	v_cmpx_ne_u32_e32 0, v1
	s_cbranch_execz .LBB6_9837
; %bb.9830:                             ;   in Loop: Header=BB6_7543 Depth=2
	v_bfe_u32 v9, v1, 23, 8
	v_or_b32_e32 v6, 0x800000, v24
	s_delay_alu instid0(VALU_DEP_2) | instskip(SKIP_1) | instid1(VALU_DEP_2)
	v_sub_nc_u32_e32 v0, 0x71, v9
	v_cmp_gt_u32_e32 vcc_lo, 0x72, v9
	v_cndmask_b32_e32 v0, 0, v0, vcc_lo
	v_cmp_eq_u32_e32 vcc_lo, 0, v9
	s_delay_alu instid0(VALU_DEP_2) | instskip(SKIP_1) | instid1(VALU_DEP_2)
	v_cndmask_b32_e64 v84, v0, 0x70, vcc_lo
	v_cndmask_b32_e32 v24, v6, v24, vcc_lo
	v_dual_add_nc_u32 v0, 21, v84 :: v_dual_add_nc_u32 v7, 20, v84
	s_delay_alu instid0(VALU_DEP_1) | instskip(NEXT) | instid1(VALU_DEP_2)
	v_lshlrev_b64_e64 v[0:1], v0, -1
	v_lshlrev_b64_e64 v[6:7], v7, 1
	s_delay_alu instid0(VALU_DEP_2) | instskip(NEXT) | instid1(VALU_DEP_3)
	v_bfi_b32 v87, v1, 0, 0
	v_bfi_b32 v86, v0, 0, v24
	v_lshrrev_b64 v[0:1], v84, v[24:25]
	s_delay_alu instid0(VALU_DEP_2) | instskip(NEXT) | instid1(VALU_DEP_2)
	v_cmp_eq_u64_e64 s7, v[86:87], v[6:7]
	v_mov_b64_e32 v[6:7], v[0:1]
	s_and_saveexec_b32 s42, s7
; %bb.9831:                             ;   in Loop: Header=BB6_7543 Depth=2
	v_bfe_u32 v24, v0, 21, 1
	s_delay_alu instid0(VALU_DEP_1) | instskip(NEXT) | instid1(VALU_DEP_1)
	v_add_nc_u64_e32 v[6:7], v[0:1], v[24:25]
	v_add_nc_u64_e32 v[6:7], -1, v[6:7]
; %bb.9832:                             ;   in Loop: Header=BB6_7543 Depth=2
	s_or_b32 exec_lo, exec_lo, s42
	v_add_nc_u32_e32 v1, 0xffffff81, v9
	v_lshrrev_b32_e32 v7, 23, v0
	s_mov_b32 s7, exec_lo
	s_delay_alu instid0(VALU_DEP_2) | instskip(NEXT) | instid1(VALU_DEP_1)
	v_cndmask_b32_e64 v1, v1, 0xffffff82, vcc_lo
	v_add3_u32 v7, v84, v1, v7
	v_and_b32_e32 v1, 0x1fffff, v6
                                        ; implicit-def: $vgpr6
	s_delay_alu instid0(VALU_DEP_1) | instskip(NEXT) | instid1(VALU_DEP_1)
	v_dual_add_nc_u32 v9, 14, v7 :: v_dual_add_nc_u32 v24, v1, v0
                                        ; implicit-def: $vgpr0_vgpr1
	v_cmpx_ne_u32_e32 0, v9
	s_xor_b32 s7, exec_lo, s7
; %bb.9833:                             ;   in Loop: Header=BB6_7543 Depth=2
	s_delay_alu instid0(VALU_DEP_2) | instskip(SKIP_1) | instid1(VALU_DEP_1)
	v_cmp_lt_u64_e32 vcc_lo, 0xffffff, v[24:25]
	v_add_nc_u32_e32 v0, 15, v7
	v_cndmask_b32_e32 v6, v9, v0, vcc_lo
	v_cndmask_b32_e64 v0, 0, 1, vcc_lo
	s_delay_alu instid0(VALU_DEP_1)
	v_lshrrev_b64 v[0:1], v0, v[24:25]
; %bb.9834:                             ;   in Loop: Header=BB6_7543 Depth=2
	s_and_not1_saveexec_b32 s7, s7
; %bb.9835:                             ;   in Loop: Header=BB6_7543 Depth=2
	v_mov_b64_e32 v[0:1], v[24:25]
	v_bfe_u32 v6, v24, 23, 1
; %bb.9836:                             ;   in Loop: Header=BB6_7543 Depth=2
	s_or_b32 exec_lo, exec_lo, s7
	s_delay_alu instid0(VALU_DEP_2) | instskip(NEXT) | instid1(VALU_DEP_2)
	v_lshrrev_b64 v[0:1], 21, v[0:1]
	v_cmp_gt_i32_e32 vcc_lo, 32, v6
	v_min_i32_e32 v7, 31, v6
	v_cmp_eq_u32_e64 s7, 0, v6
	s_delay_alu instid0(VALU_DEP_2) | instskip(SKIP_1) | instid1(VALU_DEP_2)
	v_dual_cndmask_b32 v1, 0, v1, vcc_lo :: v_dual_lshlrev_b32 v7, 2, v7
	v_cndmask_b32_e32 v0, 3, v0, vcc_lo
	v_and_b32_e32 v7, 0xfc, v7
	s_delay_alu instid0(VALU_DEP_2) | instskip(NEXT) | instid1(VALU_DEP_2)
	v_cmp_eq_u64_e32 vcc_lo, 0, v[0:1]
	v_and_or_b32 v0, v0, 3, v7
	s_and_b32 s7, s7, vcc_lo
	s_delay_alu instid0(VALU_DEP_1) | instid1(SALU_CYCLE_1)
	v_cndmask_b32_e64 v0, v0, 0, s7
	s_delay_alu instid0(VALU_DEP_1)
	v_or_b32_e32 v84, v0, v8
.LBB6_9837:                             ;   in Loop: Header=BB6_7543 Depth=2
	s_or_b32 exec_lo, exec_lo, s41
                                        ; implicit-def: $vgpr8
.LBB6_9838:                             ;   in Loop: Header=BB6_7543 Depth=2
	s_and_not1_saveexec_b32 s7, s14
; %bb.9839:                             ;   in Loop: Header=BB6_7543 Depth=2
	v_or_b32_e32 v84, 0x7b, v8
; %bb.9840:                             ;   in Loop: Header=BB6_7543 Depth=2
	s_or_b32 exec_lo, exec_lo, s7
                                        ; implicit-def: $vgpr1
                                        ; implicit-def: $vgpr0
.LBB6_9841:                             ;   in Loop: Header=BB6_7543 Depth=2
	s_and_not1_saveexec_b32 s7, s10
	s_cbranch_execz .LBB6_9847
; %bb.9842:                             ;   in Loop: Header=BB6_7543 Depth=2
	s_mov_b32 s10, exec_lo
                                        ; implicit-def: $vgpr84
	v_cmpx_ne_u64_e32 0, v[24:25]
	s_xor_b32 s10, exec_lo, s10
; %bb.9843:                             ;   in Loop: Header=BB6_7543 Depth=2
	v_or_b32_e32 v84, 0x7f, v0
                                        ; implicit-def: $vgpr1
; %bb.9844:                             ;   in Loop: Header=BB6_7543 Depth=2
	s_and_not1_saveexec_b32 s10, s10
; %bb.9845:                             ;   in Loop: Header=BB6_7543 Depth=2
	v_cmp_lt_i32_e32 vcc_lo, -1, v1
	v_cndmask_b32_e32 v84, 0xfc, v41, vcc_lo
; %bb.9846:                             ;   in Loop: Header=BB6_7543 Depth=2
	s_or_b32 exec_lo, exec_lo, s10
.LBB6_9847:                             ;   in Loop: Header=BB6_7543 Depth=2
	s_delay_alu instid0(SALU_CYCLE_1) | instskip(SKIP_4) | instid1(VALU_DEP_3)
	s_or_b32 exec_lo, exec_lo, s7
	v_and_b32_e32 v6, 0xff, v3
	v_dual_mov_b32 v24, v3 :: v_dual_mov_b32 v0, v19
	v_mov_b32_e32 v1, v25
	s_and_not1_b32 vcc_lo, exec_lo, s13
	v_cmp_ne_u16_e64 s7, 0, v6
	s_mov_b32 s10, -1
                                        ; implicit-def: $vgpr8
	s_cbranch_vccnz .LBB6_9869
; %bb.9848:                             ;   in Loop: Header=BB6_7543 Depth=2
	v_dual_mov_b32 v8, 0 :: v_dual_mov_b32 v7, 0
	s_and_saveexec_b32 s10, s7
	s_cbranch_execz .LBB6_9858
; %bb.9849:                             ;   in Loop: Header=BB6_7543 Depth=2
	v_bfrev_b32_e32 v7, 1
	s_mov_b32 s14, exec_lo
	v_cmpx_ne_u16_e32 0x80, v6
	s_cbranch_execz .LBB6_9857
; %bb.9850:                             ;   in Loop: Header=BB6_7543 Depth=2
	v_and_b32_e32 v7, 0x7c, v3
	v_and_b32_e32 v9, 3, v3
	s_delay_alu instid0(VALU_DEP_2) | instskip(SKIP_1) | instid1(SALU_CYCLE_1)
	v_cmp_ne_u32_e32 vcc_lo, 0x7c, v7
                                        ; implicit-def: $vgpr7
	s_and_saveexec_b32 s41, vcc_lo
	s_xor_b32 s41, exec_lo, s41
	s_cbranch_execz .LBB6_9854
; %bb.9851:                             ;   in Loop: Header=BB6_7543 Depth=2
	v_bfe_u32 v7, v3, 2, 5
	s_mov_b32 s42, exec_lo
	s_delay_alu instid0(VALU_DEP_1)
	v_cmpx_eq_u32_e32 0, v7
; %bb.9852:                             ;   in Loop: Header=BB6_7543 Depth=2
	v_clz_i32_u32_e32 v7, v9
	s_delay_alu instid0(VALU_DEP_1) | instskip(NEXT) | instid1(VALU_DEP_1)
	v_min_u32_e32 v7, 32, v7
	v_subrev_nc_u32_e32 v9, 29, v7
	s_delay_alu instid0(VALU_DEP_1) | instskip(NEXT) | instid1(VALU_DEP_1)
	v_lshlrev_b64_e32 v[86:87], v9, v[24:25]
	v_dual_sub_nc_u32 v7, 30, v7 :: v_dual_bitop2_b32 v9, 3, v86 bitop3:0x40
; %bb.9853:                             ;   in Loop: Header=BB6_7543 Depth=2
	s_or_b32 exec_lo, exec_lo, s42
	v_lshlrev_b32_e32 v85, 24, v3
	s_delay_alu instid0(VALU_DEP_1) | instskip(NEXT) | instid1(VALU_DEP_1)
	v_and_b32_e32 v85, 0x80000000, v85
	v_lshl_add_u32 v7, v7, 23, v85
	s_delay_alu instid0(VALU_DEP_1) | instskip(NEXT) | instid1(VALU_DEP_1)
	v_lshl_or_b32 v7, v9, 21, v7
                                        ; implicit-def: $vgpr9
	v_add_nc_u32_e32 v7, 0x38000000, v7
.LBB6_9854:                             ;   in Loop: Header=BB6_7543 Depth=2
	s_and_not1_saveexec_b32 s41, s41
; %bb.9855:                             ;   in Loop: Header=BB6_7543 Depth=2
	v_bfe_i32 v7, v3, 0, 8
	s_delay_alu instid0(VALU_DEP_1) | instskip(SKIP_2) | instid1(VALU_DEP_2)
	v_cmp_lt_i16_e32 vcc_lo, -1, v7
	v_cndmask_b32_e32 v7, 0xff800000, v75, vcc_lo
	v_cmp_eq_u32_e32 vcc_lo, 0, v9
	v_cndmask_b32_e32 v7, 0x7f800001, v7, vcc_lo
; %bb.9856:                             ;   in Loop: Header=BB6_7543 Depth=2
	s_or_b32 exec_lo, exec_lo, s41
.LBB6_9857:                             ;   in Loop: Header=BB6_7543 Depth=2
	s_delay_alu instid0(SALU_CYCLE_1)
	s_or_b32 exec_lo, exec_lo, s14
.LBB6_9858:                             ;   in Loop: Header=BB6_7543 Depth=2
	s_delay_alu instid0(SALU_CYCLE_1) | instskip(SKIP_2) | instid1(VALU_DEP_1)
	s_or_b32 exec_lo, exec_lo, s10
	v_and_b32_e32 v9, 0xff, v19
	s_mov_b32 s10, exec_lo
	v_cmpx_ne_u16_e32 0, v9
	s_cbranch_execz .LBB6_9868
; %bb.9859:                             ;   in Loop: Header=BB6_7543 Depth=2
	v_bfrev_b32_e32 v8, 1
	s_mov_b32 s14, exec_lo
	v_cmpx_ne_u16_e32 0x80, v9
	s_cbranch_execz .LBB6_9867
; %bb.9860:                             ;   in Loop: Header=BB6_7543 Depth=2
	v_and_b32_e32 v8, 0x7c, v19
	v_and_b32_e32 v9, 3, v19
	s_delay_alu instid0(VALU_DEP_2) | instskip(SKIP_1) | instid1(SALU_CYCLE_1)
	v_cmp_ne_u32_e32 vcc_lo, 0x7c, v8
                                        ; implicit-def: $vgpr8
	s_and_saveexec_b32 s41, vcc_lo
	s_xor_b32 s41, exec_lo, s41
	s_cbranch_execz .LBB6_9864
; %bb.9861:                             ;   in Loop: Header=BB6_7543 Depth=2
	v_bfe_u32 v8, v19, 2, 5
	s_mov_b32 s42, exec_lo
	s_delay_alu instid0(VALU_DEP_1)
	v_cmpx_eq_u32_e32 0, v8
; %bb.9862:                             ;   in Loop: Header=BB6_7543 Depth=2
	v_clz_i32_u32_e32 v8, v9
	s_delay_alu instid0(VALU_DEP_1) | instskip(NEXT) | instid1(VALU_DEP_1)
	v_min_u32_e32 v8, 32, v8
	v_subrev_nc_u32_e32 v9, 29, v8
	s_delay_alu instid0(VALU_DEP_1) | instskip(NEXT) | instid1(VALU_DEP_1)
	v_lshlrev_b64_e32 v[86:87], v9, v[0:1]
	v_dual_sub_nc_u32 v8, 30, v8 :: v_dual_bitop2_b32 v9, 3, v86 bitop3:0x40
; %bb.9863:                             ;   in Loop: Header=BB6_7543 Depth=2
	s_or_b32 exec_lo, exec_lo, s42
	v_lshlrev_b32_e32 v85, 24, v19
	s_delay_alu instid0(VALU_DEP_1) | instskip(NEXT) | instid1(VALU_DEP_1)
	v_and_b32_e32 v85, 0x80000000, v85
	v_lshl_add_u32 v8, v8, 23, v85
	s_delay_alu instid0(VALU_DEP_1) | instskip(NEXT) | instid1(VALU_DEP_1)
	v_lshl_or_b32 v8, v9, 21, v8
                                        ; implicit-def: $vgpr9
	v_add_nc_u32_e32 v8, 0x38000000, v8
.LBB6_9864:                             ;   in Loop: Header=BB6_7543 Depth=2
	s_and_not1_saveexec_b32 s41, s41
; %bb.9865:                             ;   in Loop: Header=BB6_7543 Depth=2
	v_bfe_i32 v8, v19, 0, 8
	s_delay_alu instid0(VALU_DEP_1) | instskip(SKIP_2) | instid1(VALU_DEP_2)
	v_cmp_lt_i16_e32 vcc_lo, -1, v8
	v_cndmask_b32_e32 v8, 0xff800000, v75, vcc_lo
	v_cmp_eq_u32_e32 vcc_lo, 0, v9
	v_cndmask_b32_e32 v8, 0x7f800001, v8, vcc_lo
; %bb.9866:                             ;   in Loop: Header=BB6_7543 Depth=2
	s_or_b32 exec_lo, exec_lo, s41
.LBB6_9867:                             ;   in Loop: Header=BB6_7543 Depth=2
	s_delay_alu instid0(SALU_CYCLE_1)
	s_or_b32 exec_lo, exec_lo, s14
.LBB6_9868:                             ;   in Loop: Header=BB6_7543 Depth=2
	s_delay_alu instid0(SALU_CYCLE_1) | instskip(NEXT) | instid1(VALU_DEP_1)
	s_or_b32 exec_lo, exec_lo, s10
	v_dual_max_num_f32 v8, v8, v8 :: v_dual_max_num_f32 v7, v7, v7
	s_mov_b32 s10, 0
	s_delay_alu instid0(VALU_DEP_1)
	v_max_num_f32_e32 v8, v7, v8
.LBB6_9869:                             ;   in Loop: Header=BB6_7543 Depth=2
	s_and_b32 vcc_lo, exec_lo, s10
	s_cbranch_vccz .LBB6_9891
; %bb.9870:                             ;   in Loop: Header=BB6_7543 Depth=2
	v_dual_mov_b32 v8, 0 :: v_dual_mov_b32 v7, 0
	s_and_saveexec_b32 s10, s7
	s_cbranch_execz .LBB6_9880
; %bb.9871:                             ;   in Loop: Header=BB6_7543 Depth=2
	v_bfrev_b32_e32 v7, 1
	s_mov_b32 s7, exec_lo
	v_cmpx_ne_u16_e32 0x80, v6
	s_cbranch_execz .LBB6_9879
; %bb.9872:                             ;   in Loop: Header=BB6_7543 Depth=2
	v_and_b32_e32 v7, 0x7c, v3
	v_and_b32_e32 v6, 3, v3
	s_delay_alu instid0(VALU_DEP_2) | instskip(SKIP_1) | instid1(SALU_CYCLE_1)
	v_cmp_ne_u32_e32 vcc_lo, 0x7c, v7
                                        ; implicit-def: $vgpr7
	s_and_saveexec_b32 s14, vcc_lo
	s_xor_b32 s14, exec_lo, s14
	s_cbranch_execz .LBB6_9876
; %bb.9873:                             ;   in Loop: Header=BB6_7543 Depth=2
	v_bfe_u32 v7, v3, 2, 5
	s_mov_b32 s41, exec_lo
	s_delay_alu instid0(VALU_DEP_1)
	v_cmpx_eq_u32_e32 0, v7
; %bb.9874:                             ;   in Loop: Header=BB6_7543 Depth=2
	v_clz_i32_u32_e32 v6, v6
	s_delay_alu instid0(VALU_DEP_1) | instskip(NEXT) | instid1(VALU_DEP_1)
	v_min_u32_e32 v9, 32, v6
	v_subrev_nc_u32_e32 v6, 29, v9
	s_delay_alu instid0(VALU_DEP_1) | instskip(NEXT) | instid1(VALU_DEP_1)
	v_lshlrev_b64_e32 v[6:7], v6, v[24:25]
	v_dual_sub_nc_u32 v7, 30, v9 :: v_dual_bitop2_b32 v6, 3, v6 bitop3:0x40
; %bb.9875:                             ;   in Loop: Header=BB6_7543 Depth=2
	s_or_b32 exec_lo, exec_lo, s41
	v_lshlrev_b32_e32 v9, 24, v3
	s_delay_alu instid0(VALU_DEP_1) | instskip(NEXT) | instid1(VALU_DEP_1)
	v_and_b32_e32 v9, 0x80000000, v9
	v_lshl_add_u32 v7, v7, 23, v9
	s_delay_alu instid0(VALU_DEP_1) | instskip(NEXT) | instid1(VALU_DEP_1)
	v_lshl_or_b32 v6, v6, 21, v7
	v_add_nc_u32_e32 v7, 0x38000000, v6
                                        ; implicit-def: $vgpr6
.LBB6_9876:                             ;   in Loop: Header=BB6_7543 Depth=2
	s_and_not1_saveexec_b32 s14, s14
; %bb.9877:                             ;   in Loop: Header=BB6_7543 Depth=2
	v_bfe_i32 v7, v3, 0, 8
	s_delay_alu instid0(VALU_DEP_1) | instskip(SKIP_2) | instid1(VALU_DEP_2)
	v_cmp_lt_i16_e32 vcc_lo, -1, v7
	v_cndmask_b32_e32 v7, 0xff800000, v75, vcc_lo
	v_cmp_eq_u32_e32 vcc_lo, 0, v6
	v_cndmask_b32_e32 v7, 0x7f800001, v7, vcc_lo
; %bb.9878:                             ;   in Loop: Header=BB6_7543 Depth=2
	s_or_b32 exec_lo, exec_lo, s14
.LBB6_9879:                             ;   in Loop: Header=BB6_7543 Depth=2
	s_delay_alu instid0(SALU_CYCLE_1)
	s_or_b32 exec_lo, exec_lo, s7
.LBB6_9880:                             ;   in Loop: Header=BB6_7543 Depth=2
	s_delay_alu instid0(SALU_CYCLE_1) | instskip(SKIP_2) | instid1(VALU_DEP_1)
	s_or_b32 exec_lo, exec_lo, s10
	v_and_b32_e32 v6, 0xff, v19
	s_mov_b32 s7, exec_lo
	v_cmpx_ne_u16_e32 0, v6
	s_cbranch_execz .LBB6_9890
; %bb.9881:                             ;   in Loop: Header=BB6_7543 Depth=2
	v_bfrev_b32_e32 v8, 1
	s_mov_b32 s10, exec_lo
	v_cmpx_ne_u16_e32 0x80, v6
	s_cbranch_execz .LBB6_9889
; %bb.9882:                             ;   in Loop: Header=BB6_7543 Depth=2
	v_and_b32_e32 v8, 0x7c, v19
	v_and_b32_e32 v6, 3, v19
	s_delay_alu instid0(VALU_DEP_2) | instskip(SKIP_1) | instid1(SALU_CYCLE_1)
	v_cmp_ne_u32_e32 vcc_lo, 0x7c, v8
                                        ; implicit-def: $vgpr8
	s_and_saveexec_b32 s14, vcc_lo
	s_xor_b32 s14, exec_lo, s14
	s_cbranch_execz .LBB6_9886
; %bb.9883:                             ;   in Loop: Header=BB6_7543 Depth=2
	v_bfe_u32 v8, v19, 2, 5
	s_mov_b32 s41, exec_lo
	s_delay_alu instid0(VALU_DEP_1)
	v_cmpx_eq_u32_e32 0, v8
; %bb.9884:                             ;   in Loop: Header=BB6_7543 Depth=2
	v_clz_i32_u32_e32 v6, v6
	s_delay_alu instid0(VALU_DEP_1) | instskip(NEXT) | instid1(VALU_DEP_1)
	v_min_u32_e32 v6, 32, v6
	v_subrev_nc_u32_e32 v8, 29, v6
	s_delay_alu instid0(VALU_DEP_1) | instskip(SKIP_1) | instid1(VALU_DEP_2)
	v_lshlrev_b64_e32 v[86:87], v8, v[0:1]
	v_sub_nc_u32_e32 v8, 30, v6
	v_and_b32_e32 v6, 3, v86
; %bb.9885:                             ;   in Loop: Header=BB6_7543 Depth=2
	s_or_b32 exec_lo, exec_lo, s41
	v_lshlrev_b32_e32 v1, 24, v19
	s_delay_alu instid0(VALU_DEP_1) | instskip(NEXT) | instid1(VALU_DEP_1)
	v_and_b32_e32 v1, 0x80000000, v1
	v_lshl_add_u32 v1, v8, 23, v1
	s_delay_alu instid0(VALU_DEP_1) | instskip(NEXT) | instid1(VALU_DEP_1)
	v_lshl_or_b32 v1, v6, 21, v1
                                        ; implicit-def: $vgpr6
	v_add_nc_u32_e32 v8, 0x38000000, v1
.LBB6_9886:                             ;   in Loop: Header=BB6_7543 Depth=2
	s_and_not1_saveexec_b32 s14, s14
; %bb.9887:                             ;   in Loop: Header=BB6_7543 Depth=2
	v_bfe_i32 v1, v19, 0, 8
	s_delay_alu instid0(VALU_DEP_1) | instskip(SKIP_2) | instid1(VALU_DEP_2)
	v_cmp_lt_i16_e32 vcc_lo, -1, v1
	v_cndmask_b32_e32 v1, 0xff800000, v75, vcc_lo
	v_cmp_eq_u32_e32 vcc_lo, 0, v6
	v_cndmask_b32_e32 v8, 0x7f800001, v1, vcc_lo
; %bb.9888:                             ;   in Loop: Header=BB6_7543 Depth=2
	s_or_b32 exec_lo, exec_lo, s14
.LBB6_9889:                             ;   in Loop: Header=BB6_7543 Depth=2
	s_delay_alu instid0(SALU_CYCLE_1)
	s_or_b32 exec_lo, exec_lo, s10
.LBB6_9890:                             ;   in Loop: Header=BB6_7543 Depth=2
	s_delay_alu instid0(SALU_CYCLE_1) | instskip(NEXT) | instid1(VALU_DEP_1)
	s_or_b32 exec_lo, exec_lo, s7
	v_dual_max_num_f32 v1, v8, v8 :: v_dual_max_num_f32 v6, v7, v7
	s_delay_alu instid0(VALU_DEP_1)
	v_min_num_f32_e32 v8, v6, v1
.LBB6_9891:                             ;   in Loop: Header=BB6_7543 Depth=2
	s_delay_alu instid0(VALU_DEP_1) | instskip(SKIP_4) | instid1(VALU_DEP_3)
	v_and_b32_e32 v86, 0x7f800000, v8
	v_dual_mov_b32 v87, v25 :: v_dual_mov_b32 v7, v25
	v_and_b32_e32 v6, 0x7fffff, v8
	v_lshrrev_b32_e32 v1, 24, v8
                                        ; implicit-def: $vgpr85
	s_mov_b32 s7, exec_lo
	v_cmpx_ne_u64_e32 0x7f800000, v[86:87]
	s_xor_b32 s10, exec_lo, s7
	s_cbranch_execz .LBB6_9905
; %bb.9892:                             ;   in Loop: Header=BB6_7543 Depth=2
	v_and_b32_e32 v86, 0x7fffffff, v8
	v_mov_b32_e32 v87, v25
	v_and_b32_e32 v1, 0x80, v1
                                        ; implicit-def: $vgpr85
	s_mov_b32 s7, exec_lo
	s_delay_alu instid0(VALU_DEP_2)
	v_cmpx_gt_u64_e32 0x47600001, v[86:87]
	s_xor_b32 s14, exec_lo, s7
	s_cbranch_execz .LBB6_9902
; %bb.9893:                             ;   in Loop: Header=BB6_7543 Depth=2
	v_mov_b32_e32 v85, 0
	s_mov_b32 s41, exec_lo
	v_cmpx_ne_u32_e32 0, v8
	s_cbranch_execz .LBB6_9901
; %bb.9894:                             ;   in Loop: Header=BB6_7543 Depth=2
	v_bfe_u32 v85, v8, 23, 8
	v_or_b32_e32 v9, 0x800000, v6
	s_delay_alu instid0(VALU_DEP_2) | instskip(SKIP_2) | instid1(VALU_DEP_2)
	v_cmp_gt_u32_e64 s7, 0x72, v85
	v_sub_nc_u32_e32 v8, 0x71, v85
	v_cmp_eq_u32_e32 vcc_lo, 0, v85
	v_dual_cndmask_b32 v8, 0, v8, s7 :: v_dual_cndmask_b32 v6, v9, v6, vcc_lo
	s_delay_alu instid0(VALU_DEP_1) | instskip(NEXT) | instid1(VALU_DEP_1)
	v_cndmask_b32_e64 v86, v8, 0x70, vcc_lo
	v_dual_add_nc_u32 v8, 21, v86 :: v_dual_add_nc_u32 v87, 20, v86
	s_delay_alu instid0(VALU_DEP_1) | instskip(NEXT) | instid1(VALU_DEP_2)
	v_lshlrev_b64_e64 v[8:9], v8, -1
	v_lshlrev_b64_e64 v[96:97], v87, 1
	s_delay_alu instid0(VALU_DEP_2) | instskip(SKIP_1) | instid1(VALU_DEP_4)
	v_bfi_b32 v8, v8, 0, v6
	v_lshrrev_b64 v[6:7], v86, v[6:7]
	v_bfi_b32 v9, v9, 0, 0
	s_delay_alu instid0(VALU_DEP_1) | instskip(NEXT) | instid1(VALU_DEP_3)
	v_cmp_eq_u64_e64 s7, v[8:9], v[96:97]
	v_mov_b64_e32 v[8:9], v[6:7]
	s_and_saveexec_b32 s42, s7
; %bb.9895:                             ;   in Loop: Header=BB6_7543 Depth=2
	v_bfe_u32 v8, v6, 21, 1
	v_mov_b32_e32 v9, v25
	s_delay_alu instid0(VALU_DEP_1) | instskip(NEXT) | instid1(VALU_DEP_1)
	v_add_nc_u64_e32 v[8:9], v[6:7], v[8:9]
	v_add_nc_u64_e32 v[8:9], -1, v[8:9]
; %bb.9896:                             ;   in Loop: Header=BB6_7543 Depth=2
	s_or_b32 exec_lo, exec_lo, s42
	v_add_nc_u32_e32 v7, 0xffffff81, v85
	v_lshrrev_b32_e32 v9, 23, v6
	s_mov_b32 s7, exec_lo
	s_delay_alu instid0(VALU_DEP_2) | instskip(NEXT) | instid1(VALU_DEP_1)
	v_cndmask_b32_e64 v7, v7, 0xffffff82, vcc_lo
	v_add3_u32 v9, v86, v7, v9
	v_and_b32_e32 v7, 0x1fffff, v8
                                        ; implicit-def: $vgpr8
	s_delay_alu instid0(VALU_DEP_1) | instskip(SKIP_1) | instid1(VALU_DEP_2)
	v_dual_add_nc_u32 v85, 14, v9 :: v_dual_add_nc_u32 v6, v7, v6
	v_mov_b32_e32 v7, v25
	v_cmpx_ne_u32_e32 0, v85
	s_xor_b32 s7, exec_lo, s7
; %bb.9897:                             ;   in Loop: Header=BB6_7543 Depth=2
	s_delay_alu instid0(VALU_DEP_2) | instskip(SKIP_2) | instid1(VALU_DEP_2)
	v_cmp_lt_u64_e32 vcc_lo, 0xffffff, v[6:7]
	v_add_nc_u32_e32 v8, 15, v9
	v_cndmask_b32_e64 v9, 0, 1, vcc_lo
	v_cndmask_b32_e32 v8, v85, v8, vcc_lo
	s_delay_alu instid0(VALU_DEP_2)
	v_lshrrev_b64 v[6:7], v9, v[6:7]
; %bb.9898:                             ;   in Loop: Header=BB6_7543 Depth=2
	s_and_not1_saveexec_b32 s7, s7
; %bb.9899:                             ;   in Loop: Header=BB6_7543 Depth=2
	s_delay_alu instid0(VALU_DEP_1)
	v_bfe_u32 v8, v6, 23, 1
; %bb.9900:                             ;   in Loop: Header=BB6_7543 Depth=2
	s_or_b32 exec_lo, exec_lo, s7
	s_delay_alu instid0(VALU_DEP_2) | instskip(NEXT) | instid1(VALU_DEP_2)
	v_lshrrev_b64 v[6:7], 21, v[6:7]
	v_cmp_gt_i32_e32 vcc_lo, 32, v8
	v_min_i32_e32 v9, 31, v8
	v_cmp_eq_u32_e64 s7, 0, v8
	s_delay_alu instid0(VALU_DEP_2) | instskip(SKIP_1) | instid1(VALU_DEP_2)
	v_dual_cndmask_b32 v7, 0, v7, vcc_lo :: v_dual_lshlrev_b32 v9, 2, v9
	v_cndmask_b32_e32 v6, 3, v6, vcc_lo
	v_and_b32_e32 v9, 0xfc, v9
	s_delay_alu instid0(VALU_DEP_2) | instskip(NEXT) | instid1(VALU_DEP_2)
	v_cmp_eq_u64_e32 vcc_lo, 0, v[6:7]
	v_and_or_b32 v6, v6, 3, v9
	s_and_b32 s7, s7, vcc_lo
	s_delay_alu instid0(VALU_DEP_1) | instid1(SALU_CYCLE_1)
	v_cndmask_b32_e64 v6, v6, 0, s7
	s_delay_alu instid0(VALU_DEP_1)
	v_or_b32_e32 v85, v6, v1
.LBB6_9901:                             ;   in Loop: Header=BB6_7543 Depth=2
	s_or_b32 exec_lo, exec_lo, s41
                                        ; implicit-def: $vgpr1
.LBB6_9902:                             ;   in Loop: Header=BB6_7543 Depth=2
	s_and_not1_saveexec_b32 s7, s14
; %bb.9903:                             ;   in Loop: Header=BB6_7543 Depth=2
	v_or_b32_e32 v85, 0x7b, v1
; %bb.9904:                             ;   in Loop: Header=BB6_7543 Depth=2
	s_or_b32 exec_lo, exec_lo, s7
                                        ; implicit-def: $vgpr8
                                        ; implicit-def: $vgpr6_vgpr7
                                        ; implicit-def: $vgpr1
.LBB6_9905:                             ;   in Loop: Header=BB6_7543 Depth=2
	s_and_not1_saveexec_b32 s7, s10
	s_cbranch_execz .LBB6_9911
; %bb.9906:                             ;   in Loop: Header=BB6_7543 Depth=2
	s_mov_b32 s10, exec_lo
                                        ; implicit-def: $vgpr85
	v_cmpx_ne_u64_e32 0, v[6:7]
	s_xor_b32 s10, exec_lo, s10
; %bb.9907:                             ;   in Loop: Header=BB6_7543 Depth=2
	v_or_b32_e32 v85, 0x7f, v1
                                        ; implicit-def: $vgpr8
; %bb.9908:                             ;   in Loop: Header=BB6_7543 Depth=2
	s_and_not1_saveexec_b32 s10, s10
; %bb.9909:                             ;   in Loop: Header=BB6_7543 Depth=2
	v_cmp_lt_i32_e32 vcc_lo, -1, v8
	v_cndmask_b32_e32 v85, 0xfc, v41, vcc_lo
; %bb.9910:                             ;   in Loop: Header=BB6_7543 Depth=2
	s_or_b32 exec_lo, exec_lo, s10
.LBB6_9911:                             ;   in Loop: Header=BB6_7543 Depth=2
	s_delay_alu instid0(SALU_CYCLE_1) | instskip(SKIP_4) | instid1(VALU_DEP_2)
	s_or_b32 exec_lo, exec_lo, s7
	v_lshrrev_b16 v8, 8, v24
	v_lshrrev_b16 v6, 8, v0
	s_and_not1_b32 vcc_lo, exec_lo, s13
	s_mov_b32 s10, -1
                                        ; implicit-def: $vgpr7
	v_and_b32_e32 v1, 0xffff, v8
	v_cmp_ne_u16_e64 s7, 0, v8
	s_cbranch_vccnz .LBB6_9933
; %bb.9912:                             ;   in Loop: Header=BB6_7543 Depth=2
	v_dual_mov_b32 v7, 0 :: v_dual_mov_b32 v9, 0
	s_and_saveexec_b32 s10, s7
	s_cbranch_execz .LBB6_9922
; %bb.9913:                             ;   in Loop: Header=BB6_7543 Depth=2
	v_bfrev_b32_e32 v9, 1
	s_mov_b32 s14, exec_lo
	v_cmpx_ne_u16_e32 0x80, v8
	s_cbranch_execz .LBB6_9921
; %bb.9914:                             ;   in Loop: Header=BB6_7543 Depth=2
	v_and_b32_e32 v9, 0x7c, v1
	v_and_b32_e32 v86, 3, v1
	s_delay_alu instid0(VALU_DEP_2) | instskip(SKIP_1) | instid1(SALU_CYCLE_1)
	v_cmp_ne_u32_e32 vcc_lo, 0x7c, v9
                                        ; implicit-def: $vgpr9
	s_and_saveexec_b32 s41, vcc_lo
	s_xor_b32 s41, exec_lo, s41
	s_cbranch_execz .LBB6_9918
; %bb.9915:                             ;   in Loop: Header=BB6_7543 Depth=2
	v_bfe_u32 v9, v1, 2, 5
	s_mov_b32 s42, exec_lo
	s_delay_alu instid0(VALU_DEP_1)
	v_cmpx_eq_u32_e32 0, v9
; %bb.9916:                             ;   in Loop: Header=BB6_7543 Depth=2
	v_clz_i32_u32_e32 v9, v86
	s_delay_alu instid0(VALU_DEP_1) | instskip(SKIP_1) | instid1(VALU_DEP_2)
	v_min_u32_e32 v96, 32, v9
	v_mov_b32_e32 v9, v25
	v_subrev_nc_u32_e32 v86, 29, v96
	s_delay_alu instid0(VALU_DEP_1) | instskip(NEXT) | instid1(VALU_DEP_1)
	v_lshlrev_b64_e32 v[86:87], v86, v[8:9]
	v_dual_sub_nc_u32 v9, 30, v96 :: v_dual_bitop2_b32 v86, 3, v86 bitop3:0x40
; %bb.9917:                             ;   in Loop: Header=BB6_7543 Depth=2
	s_or_b32 exec_lo, exec_lo, s42
	v_lshlrev_b32_e32 v87, 16, v24
	s_delay_alu instid0(VALU_DEP_1) | instskip(NEXT) | instid1(VALU_DEP_1)
	v_and_b32_e32 v87, 0x80000000, v87
	v_lshl_add_u32 v9, v9, 23, v87
	s_delay_alu instid0(VALU_DEP_1) | instskip(NEXT) | instid1(VALU_DEP_1)
	v_lshl_or_b32 v9, v86, 21, v9
                                        ; implicit-def: $vgpr86
	v_add_nc_u32_e32 v9, 0x38000000, v9
.LBB6_9918:                             ;   in Loop: Header=BB6_7543 Depth=2
	s_and_not1_saveexec_b32 s41, s41
; %bb.9919:                             ;   in Loop: Header=BB6_7543 Depth=2
	v_cmp_lt_i16_e32 vcc_lo, -1, v24
	v_cndmask_b32_e32 v9, 0xff800000, v75, vcc_lo
	v_cmp_eq_u32_e32 vcc_lo, 0, v86
	s_delay_alu instid0(VALU_DEP_2)
	v_cndmask_b32_e32 v9, 0x7f800001, v9, vcc_lo
; %bb.9920:                             ;   in Loop: Header=BB6_7543 Depth=2
	s_or_b32 exec_lo, exec_lo, s41
.LBB6_9921:                             ;   in Loop: Header=BB6_7543 Depth=2
	s_delay_alu instid0(SALU_CYCLE_1)
	s_or_b32 exec_lo, exec_lo, s14
.LBB6_9922:                             ;   in Loop: Header=BB6_7543 Depth=2
	s_delay_alu instid0(SALU_CYCLE_1) | instskip(NEXT) | instid1(SALU_CYCLE_1)
	s_or_b32 exec_lo, exec_lo, s10
	s_mov_b32 s10, exec_lo
	v_cmpx_ne_u16_e32 0, v6
	s_cbranch_execz .LBB6_9932
; %bb.9923:                             ;   in Loop: Header=BB6_7543 Depth=2
	v_bfrev_b32_e32 v7, 1
	s_mov_b32 s14, exec_lo
	v_cmpx_ne_u16_e32 0x80, v6
	s_cbranch_execz .LBB6_9931
; %bb.9924:                             ;   in Loop: Header=BB6_7543 Depth=2
	v_and_b32_e32 v87, 0xffff, v6
	s_delay_alu instid0(VALU_DEP_1) | instskip(SKIP_1) | instid1(VALU_DEP_2)
	v_and_b32_e32 v7, 0x7c, v87
	v_and_b32_e32 v86, 3, v87
	v_cmp_ne_u32_e32 vcc_lo, 0x7c, v7
                                        ; implicit-def: $vgpr7
	s_and_saveexec_b32 s41, vcc_lo
	s_delay_alu instid0(SALU_CYCLE_1)
	s_xor_b32 s41, exec_lo, s41
	s_cbranch_execz .LBB6_9928
; %bb.9925:                             ;   in Loop: Header=BB6_7543 Depth=2
	v_bfe_u32 v7, v87, 2, 5
	s_mov_b32 s42, exec_lo
	s_delay_alu instid0(VALU_DEP_1)
	v_cmpx_eq_u32_e32 0, v7
; %bb.9926:                             ;   in Loop: Header=BB6_7543 Depth=2
	v_clz_i32_u32_e32 v7, v86
	s_delay_alu instid0(VALU_DEP_1) | instskip(SKIP_1) | instid1(VALU_DEP_2)
	v_min_u32_e32 v96, 32, v7
	v_mov_b32_e32 v7, v25
	v_subrev_nc_u32_e32 v86, 29, v96
	s_delay_alu instid0(VALU_DEP_1) | instskip(NEXT) | instid1(VALU_DEP_1)
	v_lshlrev_b64_e32 v[86:87], v86, v[6:7]
	v_dual_sub_nc_u32 v7, 30, v96 :: v_dual_bitop2_b32 v86, 3, v86 bitop3:0x40
; %bb.9927:                             ;   in Loop: Header=BB6_7543 Depth=2
	s_or_b32 exec_lo, exec_lo, s42
	v_lshlrev_b32_e32 v87, 16, v0
	s_delay_alu instid0(VALU_DEP_1) | instskip(NEXT) | instid1(VALU_DEP_1)
	v_and_b32_e32 v87, 0x80000000, v87
	v_lshl_add_u32 v7, v7, 23, v87
	s_delay_alu instid0(VALU_DEP_1) | instskip(NEXT) | instid1(VALU_DEP_1)
	v_lshl_or_b32 v7, v86, 21, v7
                                        ; implicit-def: $vgpr86
	v_add_nc_u32_e32 v7, 0x38000000, v7
.LBB6_9928:                             ;   in Loop: Header=BB6_7543 Depth=2
	s_and_not1_saveexec_b32 s41, s41
; %bb.9929:                             ;   in Loop: Header=BB6_7543 Depth=2
	v_cmp_lt_i16_e32 vcc_lo, -1, v0
	v_cndmask_b32_e32 v7, 0xff800000, v75, vcc_lo
	v_cmp_eq_u32_e32 vcc_lo, 0, v86
	s_delay_alu instid0(VALU_DEP_2)
	v_cndmask_b32_e32 v7, 0x7f800001, v7, vcc_lo
; %bb.9930:                             ;   in Loop: Header=BB6_7543 Depth=2
	s_or_b32 exec_lo, exec_lo, s41
.LBB6_9931:                             ;   in Loop: Header=BB6_7543 Depth=2
	s_delay_alu instid0(SALU_CYCLE_1)
	s_or_b32 exec_lo, exec_lo, s14
.LBB6_9932:                             ;   in Loop: Header=BB6_7543 Depth=2
	s_delay_alu instid0(SALU_CYCLE_1) | instskip(NEXT) | instid1(VALU_DEP_1)
	s_or_b32 exec_lo, exec_lo, s10
	v_dual_max_num_f32 v7, v7, v7 :: v_dual_max_num_f32 v9, v9, v9
	s_mov_b32 s10, 0
	s_delay_alu instid0(VALU_DEP_1)
	v_max_num_f32_e32 v7, v9, v7
.LBB6_9933:                             ;   in Loop: Header=BB6_7543 Depth=2
	s_and_b32 vcc_lo, exec_lo, s10
	s_cbranch_vccz .LBB6_9955
; %bb.9934:                             ;   in Loop: Header=BB6_7543 Depth=2
	v_dual_mov_b32 v7, 0 :: v_dual_mov_b32 v9, 0
	s_and_saveexec_b32 s10, s7
	s_cbranch_execz .LBB6_9944
; %bb.9935:                             ;   in Loop: Header=BB6_7543 Depth=2
	v_bfrev_b32_e32 v9, 1
	s_mov_b32 s7, exec_lo
	v_cmpx_ne_u16_e32 0x80, v8
	s_cbranch_execz .LBB6_9943
; %bb.9936:                             ;   in Loop: Header=BB6_7543 Depth=2
	v_and_b32_e32 v9, 0x7c, v1
	v_and_b32_e32 v86, 3, v1
	s_delay_alu instid0(VALU_DEP_2) | instskip(SKIP_1) | instid1(SALU_CYCLE_1)
	v_cmp_ne_u32_e32 vcc_lo, 0x7c, v9
                                        ; implicit-def: $vgpr9
	s_and_saveexec_b32 s14, vcc_lo
	s_xor_b32 s14, exec_lo, s14
	s_cbranch_execz .LBB6_9940
; %bb.9937:                             ;   in Loop: Header=BB6_7543 Depth=2
	v_bfe_u32 v1, v1, 2, 5
	s_mov_b32 s41, exec_lo
	s_delay_alu instid0(VALU_DEP_1)
	v_cmpx_eq_u32_e32 0, v1
	s_cbranch_execz .LBB6_9939
; %bb.9938:                             ;   in Loop: Header=BB6_7543 Depth=2
	v_clz_i32_u32_e32 v1, v86
	s_delay_alu instid0(VALU_DEP_1) | instskip(SKIP_1) | instid1(VALU_DEP_2)
	v_min_u32_e32 v1, 32, v1
	v_mov_b32_e32 v9, v25
	v_subrev_nc_u32_e32 v86, 29, v1
	v_sub_nc_u32_e32 v1, 30, v1
	s_delay_alu instid0(VALU_DEP_2) | instskip(NEXT) | instid1(VALU_DEP_1)
	v_lshlrev_b64_e32 v[8:9], v86, v[8:9]
	v_and_b32_e32 v86, 3, v8
.LBB6_9939:                             ;   in Loop: Header=BB6_7543 Depth=2
	s_or_b32 exec_lo, exec_lo, s41
	v_lshlrev_b32_e32 v8, 16, v24
	s_delay_alu instid0(VALU_DEP_1) | instskip(NEXT) | instid1(VALU_DEP_1)
	v_and_b32_e32 v8, 0x80000000, v8
	v_lshl_add_u32 v1, v1, 23, v8
	s_delay_alu instid0(VALU_DEP_1) | instskip(NEXT) | instid1(VALU_DEP_1)
	v_lshl_or_b32 v1, v86, 21, v1
                                        ; implicit-def: $vgpr86
	v_add_nc_u32_e32 v9, 0x38000000, v1
.LBB6_9940:                             ;   in Loop: Header=BB6_7543 Depth=2
	s_and_not1_saveexec_b32 s14, s14
; %bb.9941:                             ;   in Loop: Header=BB6_7543 Depth=2
	v_cmp_lt_i16_e32 vcc_lo, -1, v24
	v_cndmask_b32_e32 v1, 0xff800000, v75, vcc_lo
	v_cmp_eq_u32_e32 vcc_lo, 0, v86
	s_delay_alu instid0(VALU_DEP_2)
	v_cndmask_b32_e32 v9, 0x7f800001, v1, vcc_lo
; %bb.9942:                             ;   in Loop: Header=BB6_7543 Depth=2
	s_or_b32 exec_lo, exec_lo, s14
.LBB6_9943:                             ;   in Loop: Header=BB6_7543 Depth=2
	s_delay_alu instid0(SALU_CYCLE_1)
	s_or_b32 exec_lo, exec_lo, s7
.LBB6_9944:                             ;   in Loop: Header=BB6_7543 Depth=2
	s_delay_alu instid0(SALU_CYCLE_1) | instskip(NEXT) | instid1(SALU_CYCLE_1)
	s_or_b32 exec_lo, exec_lo, s10
	s_mov_b32 s7, exec_lo
	v_cmpx_ne_u16_e32 0, v6
	s_cbranch_execz .LBB6_9954
; %bb.9945:                             ;   in Loop: Header=BB6_7543 Depth=2
	v_bfrev_b32_e32 v7, 1
	s_mov_b32 s10, exec_lo
	v_cmpx_ne_u16_e32 0x80, v6
	s_cbranch_execz .LBB6_9953
; %bb.9946:                             ;   in Loop: Header=BB6_7543 Depth=2
	v_and_b32_e32 v1, 0xffff, v6
	s_delay_alu instid0(VALU_DEP_1) | instskip(SKIP_1) | instid1(VALU_DEP_2)
	v_and_b32_e32 v7, 0x7c, v1
	v_and_b32_e32 v8, 3, v1
	v_cmp_ne_u32_e32 vcc_lo, 0x7c, v7
                                        ; implicit-def: $vgpr7
	s_and_saveexec_b32 s14, vcc_lo
	s_delay_alu instid0(SALU_CYCLE_1)
	s_xor_b32 s14, exec_lo, s14
	s_cbranch_execz .LBB6_9950
; %bb.9947:                             ;   in Loop: Header=BB6_7543 Depth=2
	v_bfe_u32 v1, v1, 2, 5
	s_mov_b32 s41, exec_lo
	s_delay_alu instid0(VALU_DEP_1)
	v_cmpx_eq_u32_e32 0, v1
	s_cbranch_execz .LBB6_9949
; %bb.9948:                             ;   in Loop: Header=BB6_7543 Depth=2
	v_clz_i32_u32_e32 v1, v8
	s_delay_alu instid0(VALU_DEP_1) | instskip(SKIP_1) | instid1(VALU_DEP_2)
	v_min_u32_e32 v1, 32, v1
	v_mov_b32_e32 v7, v25
	v_subrev_nc_u32_e32 v8, 29, v1
	v_sub_nc_u32_e32 v1, 30, v1
	s_delay_alu instid0(VALU_DEP_2) | instskip(NEXT) | instid1(VALU_DEP_1)
	v_lshlrev_b64_e32 v[6:7], v8, v[6:7]
	v_and_b32_e32 v8, 3, v6
.LBB6_9949:                             ;   in Loop: Header=BB6_7543 Depth=2
	s_or_b32 exec_lo, exec_lo, s41
	v_lshlrev_b32_e32 v0, 16, v0
	s_delay_alu instid0(VALU_DEP_1) | instskip(NEXT) | instid1(VALU_DEP_1)
	v_and_b32_e32 v0, 0x80000000, v0
	v_lshl_add_u32 v0, v1, 23, v0
	s_delay_alu instid0(VALU_DEP_1) | instskip(NEXT) | instid1(VALU_DEP_1)
	v_lshl_or_b32 v0, v8, 21, v0
                                        ; implicit-def: $vgpr8
	v_add_nc_u32_e32 v7, 0x38000000, v0
                                        ; implicit-def: $vgpr0_vgpr1
.LBB6_9950:                             ;   in Loop: Header=BB6_7543 Depth=2
	s_and_not1_saveexec_b32 s14, s14
; %bb.9951:                             ;   in Loop: Header=BB6_7543 Depth=2
	v_cmp_lt_i16_e32 vcc_lo, -1, v0
	v_cndmask_b32_e32 v0, 0xff800000, v75, vcc_lo
	v_cmp_eq_u32_e32 vcc_lo, 0, v8
	s_delay_alu instid0(VALU_DEP_2)
	v_cndmask_b32_e32 v7, 0x7f800001, v0, vcc_lo
; %bb.9952:                             ;   in Loop: Header=BB6_7543 Depth=2
	s_or_b32 exec_lo, exec_lo, s14
.LBB6_9953:                             ;   in Loop: Header=BB6_7543 Depth=2
	s_delay_alu instid0(SALU_CYCLE_1)
	s_or_b32 exec_lo, exec_lo, s10
.LBB6_9954:                             ;   in Loop: Header=BB6_7543 Depth=2
	s_delay_alu instid0(SALU_CYCLE_1) | instskip(NEXT) | instid1(VALU_DEP_1)
	s_or_b32 exec_lo, exec_lo, s7
	v_dual_max_num_f32 v0, v7, v7 :: v_dual_max_num_f32 v1, v9, v9
	s_delay_alu instid0(VALU_DEP_1)
	v_min_num_f32_e32 v7, v1, v0
.LBB6_9955:                             ;   in Loop: Header=BB6_7543 Depth=2
	s_delay_alu instid0(VALU_DEP_1) | instskip(SKIP_2) | instid1(VALU_DEP_2)
	v_and_b32_e32 v0, 0x7f800000, v7
	v_mov_b32_e32 v1, v25
	v_and_b32_e32 v24, 0x7fffff, v7
                                        ; implicit-def: $vgpr8
	v_cmp_ne_u64_e32 vcc_lo, 0x7f800000, v[0:1]
	v_lshrrev_b32_e32 v0, 24, v7
	s_and_saveexec_b32 s7, vcc_lo
	s_delay_alu instid0(SALU_CYCLE_1)
	s_xor_b32 s10, exec_lo, s7
	s_cbranch_execz .LBB6_9969
; %bb.9956:                             ;   in Loop: Header=BB6_7543 Depth=2
	v_and_b32_e32 v8, 0x7fffffff, v7
	v_mov_b32_e32 v9, v25
	s_delay_alu instid0(VALU_DEP_1) | instskip(SKIP_2) | instid1(SALU_CYCLE_1)
	v_cmp_gt_u64_e32 vcc_lo, 0x47600001, v[8:9]
	v_and_b32_e32 v9, 0x80, v0
                                        ; implicit-def: $vgpr8
	s_and_saveexec_b32 s7, vcc_lo
	s_xor_b32 s14, exec_lo, s7
	s_cbranch_execz .LBB6_9966
; %bb.9957:                             ;   in Loop: Header=BB6_7543 Depth=2
	v_mov_b32_e32 v8, 0
	s_mov_b32 s41, exec_lo
	v_cmpx_ne_u32_e32 0, v7
	s_cbranch_execz .LBB6_9965
; %bb.9958:                             ;   in Loop: Header=BB6_7543 Depth=2
	v_bfe_u32 v8, v7, 23, 8
	v_or_b32_e32 v6, 0x800000, v24
	s_delay_alu instid0(VALU_DEP_2) | instskip(SKIP_1) | instid1(VALU_DEP_2)
	v_sub_nc_u32_e32 v0, 0x71, v8
	v_cmp_gt_u32_e32 vcc_lo, 0x72, v8
	v_cndmask_b32_e32 v0, 0, v0, vcc_lo
	v_cmp_eq_u32_e32 vcc_lo, 0, v8
	s_delay_alu instid0(VALU_DEP_2) | instskip(NEXT) | instid1(VALU_DEP_1)
	v_cndmask_b32_e64 v86, v0, 0x70, vcc_lo
	v_dual_cndmask_b32 v24, v6, v24, vcc_lo :: v_dual_add_nc_u32 v0, 21, v86
	v_add_nc_u32_e32 v7, 20, v86
	s_delay_alu instid0(VALU_DEP_2) | instskip(NEXT) | instid1(VALU_DEP_2)
	v_lshlrev_b64_e64 v[0:1], v0, -1
	v_lshlrev_b64_e64 v[6:7], v7, 1
	s_delay_alu instid0(VALU_DEP_2) | instskip(NEXT) | instid1(VALU_DEP_3)
	v_bfi_b32 v97, v1, 0, 0
	v_bfi_b32 v96, v0, 0, v24
	v_lshrrev_b64 v[0:1], v86, v[24:25]
	s_delay_alu instid0(VALU_DEP_2) | instskip(NEXT) | instid1(VALU_DEP_2)
	v_cmp_eq_u64_e64 s7, v[96:97], v[6:7]
	v_mov_b64_e32 v[6:7], v[0:1]
	s_and_saveexec_b32 s42, s7
; %bb.9959:                             ;   in Loop: Header=BB6_7543 Depth=2
	v_bfe_u32 v24, v0, 21, 1
	s_delay_alu instid0(VALU_DEP_1) | instskip(NEXT) | instid1(VALU_DEP_1)
	v_add_nc_u64_e32 v[6:7], v[0:1], v[24:25]
	v_add_nc_u64_e32 v[6:7], -1, v[6:7]
; %bb.9960:                             ;   in Loop: Header=BB6_7543 Depth=2
	s_or_b32 exec_lo, exec_lo, s42
	v_add_nc_u32_e32 v1, 0xffffff81, v8
	v_lshrrev_b32_e32 v7, 23, v0
	s_mov_b32 s7, exec_lo
	s_delay_alu instid0(VALU_DEP_2) | instskip(NEXT) | instid1(VALU_DEP_1)
	v_cndmask_b32_e64 v1, v1, 0xffffff82, vcc_lo
	v_add3_u32 v7, v86, v1, v7
	v_and_b32_e32 v1, 0x1fffff, v6
                                        ; implicit-def: $vgpr6
	s_delay_alu instid0(VALU_DEP_1) | instskip(NEXT) | instid1(VALU_DEP_1)
	v_dual_add_nc_u32 v8, 14, v7 :: v_dual_add_nc_u32 v24, v1, v0
                                        ; implicit-def: $vgpr0_vgpr1
	v_cmpx_ne_u32_e32 0, v8
	s_xor_b32 s7, exec_lo, s7
; %bb.9961:                             ;   in Loop: Header=BB6_7543 Depth=2
	s_delay_alu instid0(VALU_DEP_2) | instskip(SKIP_1) | instid1(VALU_DEP_1)
	v_cmp_lt_u64_e32 vcc_lo, 0xffffff, v[24:25]
	v_add_nc_u32_e32 v0, 15, v7
	v_cndmask_b32_e32 v6, v8, v0, vcc_lo
	v_cndmask_b32_e64 v0, 0, 1, vcc_lo
	s_delay_alu instid0(VALU_DEP_1)
	v_lshrrev_b64 v[0:1], v0, v[24:25]
; %bb.9962:                             ;   in Loop: Header=BB6_7543 Depth=2
	s_and_not1_saveexec_b32 s7, s7
; %bb.9963:                             ;   in Loop: Header=BB6_7543 Depth=2
	v_mov_b64_e32 v[0:1], v[24:25]
	v_bfe_u32 v6, v24, 23, 1
; %bb.9964:                             ;   in Loop: Header=BB6_7543 Depth=2
	s_or_b32 exec_lo, exec_lo, s7
	s_delay_alu instid0(VALU_DEP_2) | instskip(NEXT) | instid1(VALU_DEP_2)
	v_lshrrev_b64 v[0:1], 21, v[0:1]
	v_cmp_gt_i32_e32 vcc_lo, 32, v6
	v_min_i32_e32 v7, 31, v6
	v_cmp_eq_u32_e64 s7, 0, v6
	s_delay_alu instid0(VALU_DEP_2) | instskip(SKIP_1) | instid1(VALU_DEP_2)
	v_dual_cndmask_b32 v1, 0, v1, vcc_lo :: v_dual_lshlrev_b32 v7, 2, v7
	v_cndmask_b32_e32 v0, 3, v0, vcc_lo
	v_and_b32_e32 v7, 0xfc, v7
	s_delay_alu instid0(VALU_DEP_2) | instskip(NEXT) | instid1(VALU_DEP_2)
	v_cmp_eq_u64_e32 vcc_lo, 0, v[0:1]
	v_and_or_b32 v0, v0, 3, v7
	s_and_b32 s7, s7, vcc_lo
	s_delay_alu instid0(VALU_DEP_1) | instid1(SALU_CYCLE_1)
	v_cndmask_b32_e64 v0, v0, 0, s7
	s_delay_alu instid0(VALU_DEP_1)
	v_or_b32_e32 v8, v0, v9
.LBB6_9965:                             ;   in Loop: Header=BB6_7543 Depth=2
	s_or_b32 exec_lo, exec_lo, s41
                                        ; implicit-def: $vgpr9
.LBB6_9966:                             ;   in Loop: Header=BB6_7543 Depth=2
	s_and_not1_saveexec_b32 s7, s14
; %bb.9967:                             ;   in Loop: Header=BB6_7543 Depth=2
	v_or_b32_e32 v8, 0x7b, v9
; %bb.9968:                             ;   in Loop: Header=BB6_7543 Depth=2
	s_or_b32 exec_lo, exec_lo, s7
                                        ; implicit-def: $vgpr7
                                        ; implicit-def: $vgpr0
.LBB6_9969:                             ;   in Loop: Header=BB6_7543 Depth=2
	s_and_not1_saveexec_b32 s7, s10
	s_cbranch_execz .LBB6_9975
; %bb.9970:                             ;   in Loop: Header=BB6_7543 Depth=2
	s_mov_b32 s10, exec_lo
                                        ; implicit-def: $vgpr8
	v_cmpx_ne_u64_e32 0, v[24:25]
	s_xor_b32 s10, exec_lo, s10
; %bb.9971:                             ;   in Loop: Header=BB6_7543 Depth=2
	v_or_b32_e32 v8, 0x7f, v0
                                        ; implicit-def: $vgpr7
; %bb.9972:                             ;   in Loop: Header=BB6_7543 Depth=2
	s_and_not1_saveexec_b32 s10, s10
; %bb.9973:                             ;   in Loop: Header=BB6_7543 Depth=2
	v_cmp_lt_i32_e32 vcc_lo, -1, v7
	v_cndmask_b32_e32 v8, 0xfc, v41, vcc_lo
; %bb.9974:                             ;   in Loop: Header=BB6_7543 Depth=2
	s_or_b32 exec_lo, exec_lo, s10
.LBB6_9975:                             ;   in Loop: Header=BB6_7543 Depth=2
	s_delay_alu instid0(SALU_CYCLE_1) | instskip(SKIP_4) | instid1(VALU_DEP_2)
	s_or_b32 exec_lo, exec_lo, s7
	v_lshrrev_b32_e32 v6, 16, v3
	v_lshrrev_b32_e32 v0, 16, v19
	s_and_not1_b32 vcc_lo, exec_lo, s13
	s_mov_b32 s10, -1
                                        ; implicit-def: $vgpr7
	v_and_b32_e32 v1, 0xff, v6
	s_delay_alu instid0(VALU_DEP_1)
	v_cmp_ne_u16_e64 s7, 0, v1
	s_cbranch_vccnz .LBB6_9997
; %bb.9976:                             ;   in Loop: Header=BB6_7543 Depth=2
	v_dual_mov_b32 v9, 0 :: v_dual_mov_b32 v7, 0
	s_and_saveexec_b32 s10, s7
	s_cbranch_execz .LBB6_9986
; %bb.9977:                             ;   in Loop: Header=BB6_7543 Depth=2
	v_bfrev_b32_e32 v7, 1
	s_mov_b32 s14, exec_lo
	v_cmpx_ne_u16_e32 0x80, v1
	s_cbranch_execz .LBB6_9985
; %bb.9978:                             ;   in Loop: Header=BB6_7543 Depth=2
	v_and_b32_e32 v7, 0x7c0000, v3
	v_bfe_u32 v24, v3, 16, 2
	s_delay_alu instid0(VALU_DEP_2) | instskip(SKIP_1) | instid1(SALU_CYCLE_1)
	v_cmp_ne_u32_e32 vcc_lo, 0x7c0000, v7
                                        ; implicit-def: $vgpr7
	s_and_saveexec_b32 s41, vcc_lo
	s_xor_b32 s41, exec_lo, s41
	s_cbranch_execz .LBB6_9982
; %bb.9979:                             ;   in Loop: Header=BB6_7543 Depth=2
	v_bfe_u32 v7, v3, 18, 5
	s_mov_b32 s42, exec_lo
	s_delay_alu instid0(VALU_DEP_1)
	v_cmpx_eq_u32_e32 0, v7
; %bb.9980:                             ;   in Loop: Header=BB6_7543 Depth=2
	v_clz_i32_u32_e32 v7, v24
	s_delay_alu instid0(VALU_DEP_1) | instskip(NEXT) | instid1(VALU_DEP_1)
	v_min_u32_e32 v7, 32, v7
	v_subrev_nc_u32_e32 v24, 29, v7
	s_delay_alu instid0(VALU_DEP_1) | instskip(NEXT) | instid1(VALU_DEP_1)
	v_lshlrev_b64_e32 v[86:87], v24, v[6:7]
	v_dual_sub_nc_u32 v7, 30, v7 :: v_dual_bitop2_b32 v24, 3, v86 bitop3:0x40
; %bb.9981:                             ;   in Loop: Header=BB6_7543 Depth=2
	s_or_b32 exec_lo, exec_lo, s42
	v_lshlrev_b32_e32 v86, 24, v6
	s_delay_alu instid0(VALU_DEP_1) | instskip(NEXT) | instid1(VALU_DEP_1)
	v_and_b32_e32 v86, 0x80000000, v86
	v_lshl_add_u32 v7, v7, 23, v86
	s_delay_alu instid0(VALU_DEP_1) | instskip(NEXT) | instid1(VALU_DEP_1)
	v_lshl_or_b32 v7, v24, 21, v7
                                        ; implicit-def: $vgpr24
	v_add_nc_u32_e32 v7, 0x38000000, v7
.LBB6_9982:                             ;   in Loop: Header=BB6_7543 Depth=2
	s_and_not1_saveexec_b32 s41, s41
; %bb.9983:                             ;   in Loop: Header=BB6_7543 Depth=2
	v_bfe_i32 v7, v6, 0, 8
	s_delay_alu instid0(VALU_DEP_1) | instskip(SKIP_2) | instid1(VALU_DEP_2)
	v_cmp_lt_i16_e32 vcc_lo, -1, v7
	v_cndmask_b32_e32 v7, 0xff800000, v75, vcc_lo
	v_cmp_eq_u32_e32 vcc_lo, 0, v24
	v_cndmask_b32_e32 v7, 0x7f800001, v7, vcc_lo
; %bb.9984:                             ;   in Loop: Header=BB6_7543 Depth=2
	s_or_b32 exec_lo, exec_lo, s41
.LBB6_9985:                             ;   in Loop: Header=BB6_7543 Depth=2
	s_delay_alu instid0(SALU_CYCLE_1)
	s_or_b32 exec_lo, exec_lo, s14
.LBB6_9986:                             ;   in Loop: Header=BB6_7543 Depth=2
	s_delay_alu instid0(SALU_CYCLE_1) | instskip(SKIP_2) | instid1(VALU_DEP_1)
	s_or_b32 exec_lo, exec_lo, s10
	v_and_b32_e32 v24, 0xff, v0
	s_mov_b32 s10, exec_lo
	v_cmpx_ne_u16_e32 0, v24
	s_cbranch_execz .LBB6_9996
; %bb.9987:                             ;   in Loop: Header=BB6_7543 Depth=2
	v_bfrev_b32_e32 v9, 1
	s_mov_b32 s14, exec_lo
	v_cmpx_ne_u16_e32 0x80, v24
	s_cbranch_execz .LBB6_9995
; %bb.9988:                             ;   in Loop: Header=BB6_7543 Depth=2
	v_and_b32_e32 v9, 0x7c0000, v19
	v_bfe_u32 v24, v19, 16, 2
	s_delay_alu instid0(VALU_DEP_2) | instskip(SKIP_1) | instid1(SALU_CYCLE_1)
	v_cmp_ne_u32_e32 vcc_lo, 0x7c0000, v9
                                        ; implicit-def: $vgpr9
	s_and_saveexec_b32 s41, vcc_lo
	s_xor_b32 s41, exec_lo, s41
	s_cbranch_execz .LBB6_9992
; %bb.9989:                             ;   in Loop: Header=BB6_7543 Depth=2
	v_bfe_u32 v9, v19, 18, 5
	s_mov_b32 s42, exec_lo
	s_delay_alu instid0(VALU_DEP_1)
	v_cmpx_eq_u32_e32 0, v9
; %bb.9990:                             ;   in Loop: Header=BB6_7543 Depth=2
	v_clz_i32_u32_e32 v9, v24
	s_delay_alu instid0(VALU_DEP_1) | instskip(NEXT) | instid1(VALU_DEP_1)
	v_min_u32_e32 v9, 32, v9
	v_subrev_nc_u32_e32 v24, 29, v9
	s_delay_alu instid0(VALU_DEP_1) | instskip(NEXT) | instid1(VALU_DEP_1)
	v_lshlrev_b64_e32 v[86:87], v24, v[0:1]
	v_dual_sub_nc_u32 v9, 30, v9 :: v_dual_bitop2_b32 v24, 3, v86 bitop3:0x40
; %bb.9991:                             ;   in Loop: Header=BB6_7543 Depth=2
	s_or_b32 exec_lo, exec_lo, s42
	v_lshlrev_b32_e32 v86, 24, v0
	s_delay_alu instid0(VALU_DEP_1) | instskip(NEXT) | instid1(VALU_DEP_1)
	v_and_b32_e32 v86, 0x80000000, v86
	v_lshl_add_u32 v9, v9, 23, v86
	s_delay_alu instid0(VALU_DEP_1) | instskip(NEXT) | instid1(VALU_DEP_1)
	v_lshl_or_b32 v9, v24, 21, v9
                                        ; implicit-def: $vgpr24
	v_add_nc_u32_e32 v9, 0x38000000, v9
.LBB6_9992:                             ;   in Loop: Header=BB6_7543 Depth=2
	s_and_not1_saveexec_b32 s41, s41
; %bb.9993:                             ;   in Loop: Header=BB6_7543 Depth=2
	v_bfe_i32 v9, v0, 0, 8
	s_delay_alu instid0(VALU_DEP_1) | instskip(SKIP_2) | instid1(VALU_DEP_2)
	v_cmp_lt_i16_e32 vcc_lo, -1, v9
	v_cndmask_b32_e32 v9, 0xff800000, v75, vcc_lo
	v_cmp_eq_u32_e32 vcc_lo, 0, v24
	v_cndmask_b32_e32 v9, 0x7f800001, v9, vcc_lo
; %bb.9994:                             ;   in Loop: Header=BB6_7543 Depth=2
	s_or_b32 exec_lo, exec_lo, s41
.LBB6_9995:                             ;   in Loop: Header=BB6_7543 Depth=2
	s_delay_alu instid0(SALU_CYCLE_1)
	s_or_b32 exec_lo, exec_lo, s14
.LBB6_9996:                             ;   in Loop: Header=BB6_7543 Depth=2
	s_delay_alu instid0(SALU_CYCLE_1) | instskip(NEXT) | instid1(VALU_DEP_1)
	s_or_b32 exec_lo, exec_lo, s10
	v_dual_max_num_f32 v9, v9, v9 :: v_dual_max_num_f32 v7, v7, v7
	s_mov_b32 s10, 0
	s_delay_alu instid0(VALU_DEP_1)
	v_max_num_f32_e32 v7, v7, v9
.LBB6_9997:                             ;   in Loop: Header=BB6_7543 Depth=2
	s_and_b32 vcc_lo, exec_lo, s10
	s_cbranch_vccz .LBB6_10019
; %bb.9998:                             ;   in Loop: Header=BB6_7543 Depth=2
	v_dual_mov_b32 v9, 0 :: v_dual_mov_b32 v7, 0
	s_and_saveexec_b32 s10, s7
	s_cbranch_execz .LBB6_10008
; %bb.9999:                             ;   in Loop: Header=BB6_7543 Depth=2
	v_bfrev_b32_e32 v7, 1
	s_mov_b32 s7, exec_lo
	v_cmpx_ne_u16_e32 0x80, v1
	s_cbranch_execz .LBB6_10007
; %bb.10000:                            ;   in Loop: Header=BB6_7543 Depth=2
	v_and_b32_e32 v7, 0x7c0000, v3
	v_bfe_u32 v1, v3, 16, 2
	s_delay_alu instid0(VALU_DEP_2) | instskip(SKIP_1) | instid1(SALU_CYCLE_1)
	v_cmp_ne_u32_e32 vcc_lo, 0x7c0000, v7
                                        ; implicit-def: $vgpr7
	s_and_saveexec_b32 s14, vcc_lo
	s_xor_b32 s14, exec_lo, s14
	s_cbranch_execz .LBB6_10004
; %bb.10001:                            ;   in Loop: Header=BB6_7543 Depth=2
	v_bfe_u32 v7, v3, 18, 5
	s_mov_b32 s41, exec_lo
	s_delay_alu instid0(VALU_DEP_1)
	v_cmpx_eq_u32_e32 0, v7
; %bb.10002:                            ;   in Loop: Header=BB6_7543 Depth=2
	v_clz_i32_u32_e32 v1, v1
	s_delay_alu instid0(VALU_DEP_1) | instskip(NEXT) | instid1(VALU_DEP_1)
	v_min_u32_e32 v1, 32, v1
	v_subrev_nc_u32_e32 v7, 29, v1
	s_delay_alu instid0(VALU_DEP_1) | instskip(NEXT) | instid1(VALU_DEP_1)
	v_lshlrev_b64_e32 v[86:87], v7, v[6:7]
	v_dual_sub_nc_u32 v7, 30, v1 :: v_dual_bitop2_b32 v1, 3, v86 bitop3:0x40
; %bb.10003:                            ;   in Loop: Header=BB6_7543 Depth=2
	s_or_b32 exec_lo, exec_lo, s41
	v_lshlrev_b32_e32 v6, 24, v6
	s_delay_alu instid0(VALU_DEP_1) | instskip(NEXT) | instid1(VALU_DEP_1)
	v_and_b32_e32 v6, 0x80000000, v6
	v_lshl_add_u32 v6, v7, 23, v6
	s_delay_alu instid0(VALU_DEP_1) | instskip(NEXT) | instid1(VALU_DEP_1)
	v_lshl_or_b32 v1, v1, 21, v6
                                        ; implicit-def: $vgpr6
	v_add_nc_u32_e32 v7, 0x38000000, v1
                                        ; implicit-def: $vgpr1
.LBB6_10004:                            ;   in Loop: Header=BB6_7543 Depth=2
	s_and_not1_saveexec_b32 s14, s14
; %bb.10005:                            ;   in Loop: Header=BB6_7543 Depth=2
	v_bfe_i32 v6, v6, 0, 8
	s_delay_alu instid0(VALU_DEP_1) | instskip(SKIP_2) | instid1(VALU_DEP_2)
	v_cmp_lt_i16_e32 vcc_lo, -1, v6
	v_cndmask_b32_e32 v6, 0xff800000, v75, vcc_lo
	v_cmp_eq_u32_e32 vcc_lo, 0, v1
	v_cndmask_b32_e32 v7, 0x7f800001, v6, vcc_lo
; %bb.10006:                            ;   in Loop: Header=BB6_7543 Depth=2
	s_or_b32 exec_lo, exec_lo, s14
.LBB6_10007:                            ;   in Loop: Header=BB6_7543 Depth=2
	s_delay_alu instid0(SALU_CYCLE_1)
	s_or_b32 exec_lo, exec_lo, s7
.LBB6_10008:                            ;   in Loop: Header=BB6_7543 Depth=2
	s_delay_alu instid0(SALU_CYCLE_1) | instskip(SKIP_2) | instid1(VALU_DEP_1)
	s_or_b32 exec_lo, exec_lo, s10
	v_and_b32_e32 v1, 0xff, v0
	s_mov_b32 s7, exec_lo
	v_cmpx_ne_u16_e32 0, v1
	s_cbranch_execz .LBB6_10018
; %bb.10009:                            ;   in Loop: Header=BB6_7543 Depth=2
	v_bfrev_b32_e32 v9, 1
	s_mov_b32 s10, exec_lo
	v_cmpx_ne_u16_e32 0x80, v1
	s_cbranch_execz .LBB6_10017
; %bb.10010:                            ;   in Loop: Header=BB6_7543 Depth=2
	v_and_b32_e32 v6, 0x7c0000, v19
	v_bfe_u32 v1, v19, 16, 2
	s_mov_b32 s14, exec_lo
                                        ; implicit-def: $vgpr9
	s_delay_alu instid0(VALU_DEP_2)
	v_cmpx_ne_u32_e32 0x7c0000, v6
	s_xor_b32 s14, exec_lo, s14
	s_cbranch_execz .LBB6_10014
; %bb.10011:                            ;   in Loop: Header=BB6_7543 Depth=2
	v_bfe_u32 v6, v19, 18, 5
	s_mov_b32 s41, exec_lo
	s_delay_alu instid0(VALU_DEP_1)
	v_cmpx_eq_u32_e32 0, v6
; %bb.10012:                            ;   in Loop: Header=BB6_7543 Depth=2
	v_clz_i32_u32_e32 v1, v1
	s_delay_alu instid0(VALU_DEP_1) | instskip(NEXT) | instid1(VALU_DEP_1)
	v_min_u32_e32 v1, 32, v1
	v_subrev_nc_u32_e32 v6, 29, v1
	s_delay_alu instid0(VALU_DEP_1) | instskip(NEXT) | instid1(VALU_DEP_1)
	v_lshlrev_b64_e32 v[86:87], v6, v[0:1]
	v_dual_sub_nc_u32 v6, 30, v1 :: v_dual_bitop2_b32 v1, 3, v86 bitop3:0x40
; %bb.10013:                            ;   in Loop: Header=BB6_7543 Depth=2
	s_or_b32 exec_lo, exec_lo, s41
	v_lshlrev_b32_e32 v0, 24, v0
	s_delay_alu instid0(VALU_DEP_1) | instskip(NEXT) | instid1(VALU_DEP_1)
	v_and_b32_e32 v0, 0x80000000, v0
	v_lshl_add_u32 v0, v6, 23, v0
	s_delay_alu instid0(VALU_DEP_1) | instskip(NEXT) | instid1(VALU_DEP_1)
	v_lshl_or_b32 v0, v1, 21, v0
                                        ; implicit-def: $vgpr1
	v_add_nc_u32_e32 v9, 0x38000000, v0
                                        ; implicit-def: $vgpr0
.LBB6_10014:                            ;   in Loop: Header=BB6_7543 Depth=2
	s_and_not1_saveexec_b32 s14, s14
; %bb.10015:                            ;   in Loop: Header=BB6_7543 Depth=2
	v_bfe_i32 v0, v0, 0, 8
	s_delay_alu instid0(VALU_DEP_1) | instskip(SKIP_2) | instid1(VALU_DEP_2)
	v_cmp_lt_i16_e32 vcc_lo, -1, v0
	v_cndmask_b32_e32 v0, 0xff800000, v75, vcc_lo
	v_cmp_eq_u32_e32 vcc_lo, 0, v1
	v_cndmask_b32_e32 v9, 0x7f800001, v0, vcc_lo
; %bb.10016:                            ;   in Loop: Header=BB6_7543 Depth=2
	s_or_b32 exec_lo, exec_lo, s14
.LBB6_10017:                            ;   in Loop: Header=BB6_7543 Depth=2
	s_delay_alu instid0(SALU_CYCLE_1)
	s_or_b32 exec_lo, exec_lo, s10
.LBB6_10018:                            ;   in Loop: Header=BB6_7543 Depth=2
	s_delay_alu instid0(SALU_CYCLE_1) | instskip(NEXT) | instid1(VALU_DEP_1)
	s_or_b32 exec_lo, exec_lo, s7
	v_dual_max_num_f32 v0, v9, v9 :: v_dual_max_num_f32 v1, v7, v7
	s_delay_alu instid0(VALU_DEP_1)
	v_min_num_f32_e32 v7, v1, v0
.LBB6_10019:                            ;   in Loop: Header=BB6_7543 Depth=2
	s_delay_alu instid0(VALU_DEP_1) | instskip(SKIP_2) | instid1(VALU_DEP_2)
	v_and_b32_e32 v0, 0x7f800000, v7
	v_mov_b32_e32 v1, v25
	v_and_b32_e32 v24, 0x7fffff, v7
                                        ; implicit-def: $vgpr9
	v_cmp_ne_u64_e32 vcc_lo, 0x7f800000, v[0:1]
	v_lshrrev_b32_e32 v0, 24, v7
	s_and_saveexec_b32 s7, vcc_lo
	s_delay_alu instid0(SALU_CYCLE_1)
	s_xor_b32 s10, exec_lo, s7
	s_cbranch_execz .LBB6_10033
; %bb.10020:                            ;   in Loop: Header=BB6_7543 Depth=2
	v_and_b32_e32 v86, 0x7fffffff, v7
	v_mov_b32_e32 v87, v25
                                        ; implicit-def: $vgpr9
	s_delay_alu instid0(VALU_DEP_1) | instskip(SKIP_2) | instid1(SALU_CYCLE_1)
	v_cmp_gt_u64_e32 vcc_lo, 0x47600001, v[86:87]
	v_and_b32_e32 v86, 0x80, v0
	s_and_saveexec_b32 s7, vcc_lo
	s_xor_b32 s14, exec_lo, s7
	s_cbranch_execz .LBB6_10030
; %bb.10021:                            ;   in Loop: Header=BB6_7543 Depth=2
	v_mov_b32_e32 v9, 0
	s_mov_b32 s41, exec_lo
	v_cmpx_ne_u32_e32 0, v7
	s_cbranch_execz .LBB6_10029
; %bb.10022:                            ;   in Loop: Header=BB6_7543 Depth=2
	v_bfe_u32 v9, v7, 23, 8
	v_or_b32_e32 v6, 0x800000, v24
	s_delay_alu instid0(VALU_DEP_2) | instskip(SKIP_1) | instid1(VALU_DEP_2)
	v_sub_nc_u32_e32 v0, 0x71, v9
	v_cmp_gt_u32_e32 vcc_lo, 0x72, v9
	v_cndmask_b32_e32 v0, 0, v0, vcc_lo
	v_cmp_eq_u32_e32 vcc_lo, 0, v9
	s_delay_alu instid0(VALU_DEP_2) | instskip(NEXT) | instid1(VALU_DEP_1)
	v_cndmask_b32_e64 v87, v0, 0x70, vcc_lo
	v_dual_cndmask_b32 v24, v6, v24, vcc_lo :: v_dual_add_nc_u32 v0, 21, v87
	v_add_nc_u32_e32 v7, 20, v87
	s_delay_alu instid0(VALU_DEP_2) | instskip(NEXT) | instid1(VALU_DEP_2)
	v_lshlrev_b64_e64 v[0:1], v0, -1
	v_lshlrev_b64_e64 v[6:7], v7, 1
	s_delay_alu instid0(VALU_DEP_2) | instskip(NEXT) | instid1(VALU_DEP_3)
	v_bfi_b32 v97, v1, 0, 0
	v_bfi_b32 v96, v0, 0, v24
	v_lshrrev_b64 v[0:1], v87, v[24:25]
	s_delay_alu instid0(VALU_DEP_2) | instskip(NEXT) | instid1(VALU_DEP_2)
	v_cmp_eq_u64_e64 s7, v[96:97], v[6:7]
	v_mov_b64_e32 v[6:7], v[0:1]
	s_and_saveexec_b32 s42, s7
; %bb.10023:                            ;   in Loop: Header=BB6_7543 Depth=2
	v_bfe_u32 v24, v0, 21, 1
	s_delay_alu instid0(VALU_DEP_1) | instskip(NEXT) | instid1(VALU_DEP_1)
	v_add_nc_u64_e32 v[6:7], v[0:1], v[24:25]
	v_add_nc_u64_e32 v[6:7], -1, v[6:7]
; %bb.10024:                            ;   in Loop: Header=BB6_7543 Depth=2
	s_or_b32 exec_lo, exec_lo, s42
	v_add_nc_u32_e32 v1, 0xffffff81, v9
	v_lshrrev_b32_e32 v7, 23, v0
	s_mov_b32 s7, exec_lo
	s_delay_alu instid0(VALU_DEP_2) | instskip(NEXT) | instid1(VALU_DEP_1)
	v_cndmask_b32_e64 v1, v1, 0xffffff82, vcc_lo
	v_add3_u32 v7, v87, v1, v7
	v_and_b32_e32 v1, 0x1fffff, v6
                                        ; implicit-def: $vgpr6
	s_delay_alu instid0(VALU_DEP_1) | instskip(NEXT) | instid1(VALU_DEP_1)
	v_dual_add_nc_u32 v9, 14, v7 :: v_dual_add_nc_u32 v24, v1, v0
                                        ; implicit-def: $vgpr0_vgpr1
	v_cmpx_ne_u32_e32 0, v9
	s_xor_b32 s7, exec_lo, s7
; %bb.10025:                            ;   in Loop: Header=BB6_7543 Depth=2
	s_delay_alu instid0(VALU_DEP_2) | instskip(SKIP_1) | instid1(VALU_DEP_1)
	v_cmp_lt_u64_e32 vcc_lo, 0xffffff, v[24:25]
	v_add_nc_u32_e32 v0, 15, v7
	v_cndmask_b32_e32 v6, v9, v0, vcc_lo
	v_cndmask_b32_e64 v0, 0, 1, vcc_lo
	s_delay_alu instid0(VALU_DEP_1)
	v_lshrrev_b64 v[0:1], v0, v[24:25]
; %bb.10026:                            ;   in Loop: Header=BB6_7543 Depth=2
	s_and_not1_saveexec_b32 s7, s7
; %bb.10027:                            ;   in Loop: Header=BB6_7543 Depth=2
	v_mov_b64_e32 v[0:1], v[24:25]
	v_bfe_u32 v6, v24, 23, 1
; %bb.10028:                            ;   in Loop: Header=BB6_7543 Depth=2
	s_or_b32 exec_lo, exec_lo, s7
	s_delay_alu instid0(VALU_DEP_2) | instskip(NEXT) | instid1(VALU_DEP_2)
	v_lshrrev_b64 v[0:1], 21, v[0:1]
	v_cmp_gt_i32_e32 vcc_lo, 32, v6
	v_min_i32_e32 v7, 31, v6
	v_cmp_eq_u32_e64 s7, 0, v6
	s_delay_alu instid0(VALU_DEP_2) | instskip(SKIP_1) | instid1(VALU_DEP_2)
	v_dual_cndmask_b32 v1, 0, v1, vcc_lo :: v_dual_lshlrev_b32 v7, 2, v7
	v_cndmask_b32_e32 v0, 3, v0, vcc_lo
	v_and_b32_e32 v7, 0xfc, v7
	s_delay_alu instid0(VALU_DEP_2) | instskip(NEXT) | instid1(VALU_DEP_2)
	v_cmp_eq_u64_e32 vcc_lo, 0, v[0:1]
	v_and_or_b32 v0, v0, 3, v7
	s_and_b32 s7, s7, vcc_lo
	s_delay_alu instid0(VALU_DEP_1) | instid1(SALU_CYCLE_1)
	v_cndmask_b32_e64 v0, v0, 0, s7
	s_delay_alu instid0(VALU_DEP_1)
	v_or_b32_e32 v9, v0, v86
.LBB6_10029:                            ;   in Loop: Header=BB6_7543 Depth=2
	s_or_b32 exec_lo, exec_lo, s41
                                        ; implicit-def: $vgpr86
.LBB6_10030:                            ;   in Loop: Header=BB6_7543 Depth=2
	s_and_not1_saveexec_b32 s7, s14
; %bb.10031:                            ;   in Loop: Header=BB6_7543 Depth=2
	v_or_b32_e32 v9, 0x7b, v86
; %bb.10032:                            ;   in Loop: Header=BB6_7543 Depth=2
	s_or_b32 exec_lo, exec_lo, s7
                                        ; implicit-def: $vgpr7
                                        ; implicit-def: $vgpr0
.LBB6_10033:                            ;   in Loop: Header=BB6_7543 Depth=2
	s_and_not1_saveexec_b32 s7, s10
	s_cbranch_execz .LBB6_10039
; %bb.10034:                            ;   in Loop: Header=BB6_7543 Depth=2
	s_mov_b32 s10, exec_lo
                                        ; implicit-def: $vgpr9
	v_cmpx_ne_u64_e32 0, v[24:25]
	s_xor_b32 s10, exec_lo, s10
; %bb.10035:                            ;   in Loop: Header=BB6_7543 Depth=2
	v_or_b32_e32 v9, 0x7f, v0
                                        ; implicit-def: $vgpr7
; %bb.10036:                            ;   in Loop: Header=BB6_7543 Depth=2
	s_and_not1_saveexec_b32 s10, s10
; %bb.10037:                            ;   in Loop: Header=BB6_7543 Depth=2
	v_cmp_lt_i32_e32 vcc_lo, -1, v7
	v_cndmask_b32_e32 v9, 0xfc, v41, vcc_lo
; %bb.10038:                            ;   in Loop: Header=BB6_7543 Depth=2
	s_or_b32 exec_lo, exec_lo, s10
.LBB6_10039:                            ;   in Loop: Header=BB6_7543 Depth=2
	s_delay_alu instid0(SALU_CYCLE_1)
	s_or_b32 exec_lo, exec_lo, s7
	v_cmp_lt_u64_e64 s7, s[16:17], v[2:3]
	v_lshrrev_b32_e32 v6, 24, v3
	v_lshrrev_b32_e32 v0, 24, v19
	s_and_not1_b32 vcc_lo, exec_lo, s13
	s_mov_b32 s10, -1
                                        ; implicit-def: $vgpr1
	s_cbranch_vccnz .LBB6_10061
; %bb.10040:                            ;   in Loop: Header=BB6_7543 Depth=2
	v_dual_mov_b32 v7, 0 :: v_dual_mov_b32 v1, 0
	s_and_saveexec_b32 s10, s7
	s_cbranch_execz .LBB6_10050
; %bb.10041:                            ;   in Loop: Header=BB6_7543 Depth=2
	v_bfrev_b32_e32 v1, 1
	s_mov_b32 s14, exec_lo
	v_cmpx_ne_u32_e32 0x80, v6
	s_cbranch_execz .LBB6_10049
; %bb.10042:                            ;   in Loop: Header=BB6_7543 Depth=2
	v_and_b32_e32 v1, 0x7c000000, v3
	v_bfe_u32 v24, v3, 24, 2
	s_delay_alu instid0(VALU_DEP_2) | instskip(SKIP_1) | instid1(SALU_CYCLE_1)
	v_cmp_ne_u32_e32 vcc_lo, 0x7c000000, v1
                                        ; implicit-def: $vgpr1
	s_and_saveexec_b32 s41, vcc_lo
	s_xor_b32 s41, exec_lo, s41
	s_cbranch_execz .LBB6_10046
; %bb.10043:                            ;   in Loop: Header=BB6_7543 Depth=2
	v_bfe_u32 v1, v3, 26, 5
	s_mov_b32 s42, exec_lo
	s_delay_alu instid0(VALU_DEP_1)
	v_cmpx_eq_u32_e32 0, v1
; %bb.10044:                            ;   in Loop: Header=BB6_7543 Depth=2
	v_clz_i32_u32_e32 v1, v24
	s_delay_alu instid0(VALU_DEP_1) | instskip(NEXT) | instid1(VALU_DEP_1)
	v_min_u32_e32 v1, 32, v1
	v_subrev_nc_u32_e32 v24, 29, v1
	s_delay_alu instid0(VALU_DEP_1) | instskip(NEXT) | instid1(VALU_DEP_1)
	v_lshlrev_b64_e32 v[86:87], v24, v[6:7]
	v_dual_sub_nc_u32 v1, 30, v1 :: v_dual_bitop2_b32 v24, 3, v86 bitop3:0x40
; %bb.10045:                            ;   in Loop: Header=BB6_7543 Depth=2
	s_or_b32 exec_lo, exec_lo, s42
	v_and_b32_e32 v86, 0x80000000, v3
	s_delay_alu instid0(VALU_DEP_1) | instskip(NEXT) | instid1(VALU_DEP_1)
	v_lshl_add_u32 v1, v1, 23, v86
	v_lshl_or_b32 v1, v24, 21, v1
                                        ; implicit-def: $vgpr24
	s_delay_alu instid0(VALU_DEP_1)
	v_add_nc_u32_e32 v1, 0x38000000, v1
.LBB6_10046:                            ;   in Loop: Header=BB6_7543 Depth=2
	s_and_not1_saveexec_b32 s41, s41
; %bb.10047:                            ;   in Loop: Header=BB6_7543 Depth=2
	v_cmp_lt_i64_e32 vcc_lo, -1, v[2:3]
	v_cndmask_b32_e32 v1, 0xff800000, v75, vcc_lo
	v_cmp_eq_u32_e32 vcc_lo, 0, v24
	s_delay_alu instid0(VALU_DEP_2)
	v_cndmask_b32_e32 v1, 0x7f800001, v1, vcc_lo
; %bb.10048:                            ;   in Loop: Header=BB6_7543 Depth=2
	s_or_b32 exec_lo, exec_lo, s41
.LBB6_10049:                            ;   in Loop: Header=BB6_7543 Depth=2
	s_delay_alu instid0(SALU_CYCLE_1)
	s_or_b32 exec_lo, exec_lo, s14
.LBB6_10050:                            ;   in Loop: Header=BB6_7543 Depth=2
	s_delay_alu instid0(SALU_CYCLE_1) | instskip(NEXT) | instid1(SALU_CYCLE_1)
	s_or_b32 exec_lo, exec_lo, s10
	s_mov_b32 s10, exec_lo
	v_cmpx_lt_u64_e64 s[16:17], v[18:19]
	s_cbranch_execz .LBB6_10060
; %bb.10051:                            ;   in Loop: Header=BB6_7543 Depth=2
	v_bfrev_b32_e32 v7, 1
	s_mov_b32 s14, exec_lo
	v_cmpx_ne_u32_e32 0x80, v0
	s_cbranch_execz .LBB6_10059
; %bb.10052:                            ;   in Loop: Header=BB6_7543 Depth=2
	v_and_b32_e32 v7, 0x7c000000, v19
	v_bfe_u32 v24, v19, 24, 2
	s_delay_alu instid0(VALU_DEP_2) | instskip(SKIP_1) | instid1(SALU_CYCLE_1)
	v_cmp_ne_u32_e32 vcc_lo, 0x7c000000, v7
                                        ; implicit-def: $vgpr7
	s_and_saveexec_b32 s41, vcc_lo
	s_xor_b32 s41, exec_lo, s41
	s_cbranch_execz .LBB6_10056
; %bb.10053:                            ;   in Loop: Header=BB6_7543 Depth=2
	v_bfe_u32 v7, v19, 26, 5
	s_mov_b32 s42, exec_lo
	s_delay_alu instid0(VALU_DEP_1)
	v_cmpx_eq_u32_e32 0, v7
; %bb.10054:                            ;   in Loop: Header=BB6_7543 Depth=2
	v_clz_i32_u32_e32 v7, v24
	s_delay_alu instid0(VALU_DEP_1) | instskip(NEXT) | instid1(VALU_DEP_1)
	v_min_u32_e32 v7, 32, v7
	v_subrev_nc_u32_e32 v24, 29, v7
	s_delay_alu instid0(VALU_DEP_1) | instskip(NEXT) | instid1(VALU_DEP_1)
	v_lshlrev_b64_e32 v[86:87], v24, v[0:1]
	v_dual_sub_nc_u32 v7, 30, v7 :: v_dual_bitop2_b32 v24, 3, v86 bitop3:0x40
; %bb.10055:                            ;   in Loop: Header=BB6_7543 Depth=2
	s_or_b32 exec_lo, exec_lo, s42
	v_and_b32_e32 v86, 0x80000000, v19
	s_delay_alu instid0(VALU_DEP_1) | instskip(NEXT) | instid1(VALU_DEP_1)
	v_lshl_add_u32 v7, v7, 23, v86
	v_lshl_or_b32 v7, v24, 21, v7
                                        ; implicit-def: $vgpr24
	s_delay_alu instid0(VALU_DEP_1)
	v_add_nc_u32_e32 v7, 0x38000000, v7
.LBB6_10056:                            ;   in Loop: Header=BB6_7543 Depth=2
	s_and_not1_saveexec_b32 s41, s41
; %bb.10057:                            ;   in Loop: Header=BB6_7543 Depth=2
	v_cmp_lt_i64_e32 vcc_lo, -1, v[18:19]
	v_cndmask_b32_e32 v7, 0xff800000, v75, vcc_lo
	v_cmp_eq_u32_e32 vcc_lo, 0, v24
	s_delay_alu instid0(VALU_DEP_2)
	v_cndmask_b32_e32 v7, 0x7f800001, v7, vcc_lo
; %bb.10058:                            ;   in Loop: Header=BB6_7543 Depth=2
	s_or_b32 exec_lo, exec_lo, s41
.LBB6_10059:                            ;   in Loop: Header=BB6_7543 Depth=2
	s_delay_alu instid0(SALU_CYCLE_1)
	s_or_b32 exec_lo, exec_lo, s14
.LBB6_10060:                            ;   in Loop: Header=BB6_7543 Depth=2
	s_delay_alu instid0(SALU_CYCLE_1) | instskip(NEXT) | instid1(VALU_DEP_1)
	s_or_b32 exec_lo, exec_lo, s10
	v_dual_max_num_f32 v7, v7, v7 :: v_dual_max_num_f32 v1, v1, v1
	s_mov_b32 s10, 0
	s_delay_alu instid0(VALU_DEP_1)
	v_max_num_f32_e32 v1, v1, v7
.LBB6_10061:                            ;   in Loop: Header=BB6_7543 Depth=2
	s_and_b32 vcc_lo, exec_lo, s10
	s_cbranch_vccz .LBB6_10083
; %bb.10062:                            ;   in Loop: Header=BB6_7543 Depth=2
	v_dual_mov_b32 v7, 0 :: v_dual_mov_b32 v1, 0
	s_and_saveexec_b32 s10, s7
	s_cbranch_execz .LBB6_10072
; %bb.10063:                            ;   in Loop: Header=BB6_7543 Depth=2
	v_bfrev_b32_e32 v1, 1
	s_mov_b32 s7, exec_lo
	v_cmpx_ne_u32_e32 0x80, v6
	s_cbranch_execz .LBB6_10071
; %bb.10064:                            ;   in Loop: Header=BB6_7543 Depth=2
	v_and_b32_e32 v1, 0x7c000000, v3
	v_bfe_u32 v24, v3, 24, 2
	s_delay_alu instid0(VALU_DEP_2) | instskip(SKIP_1) | instid1(SALU_CYCLE_1)
	v_cmp_ne_u32_e32 vcc_lo, 0x7c000000, v1
                                        ; implicit-def: $vgpr1
	s_and_saveexec_b32 s14, vcc_lo
	s_xor_b32 s14, exec_lo, s14
	s_cbranch_execz .LBB6_10068
; %bb.10065:                            ;   in Loop: Header=BB6_7543 Depth=2
	v_bfe_u32 v1, v3, 26, 5
	s_mov_b32 s41, exec_lo
	s_delay_alu instid0(VALU_DEP_1)
	v_cmpx_eq_u32_e32 0, v1
; %bb.10066:                            ;   in Loop: Header=BB6_7543 Depth=2
	v_clz_i32_u32_e32 v1, v24
	s_delay_alu instid0(VALU_DEP_1) | instskip(NEXT) | instid1(VALU_DEP_1)
	v_min_u32_e32 v1, 32, v1
	v_subrev_nc_u32_e32 v24, 29, v1
	s_delay_alu instid0(VALU_DEP_1) | instskip(NEXT) | instid1(VALU_DEP_1)
	v_lshlrev_b64_e32 v[86:87], v24, v[6:7]
	v_dual_sub_nc_u32 v1, 30, v1 :: v_dual_bitop2_b32 v24, 3, v86 bitop3:0x40
; %bb.10067:                            ;   in Loop: Header=BB6_7543 Depth=2
	s_or_b32 exec_lo, exec_lo, s41
	v_and_b32_e32 v6, 0x80000000, v3
	s_delay_alu instid0(VALU_DEP_1) | instskip(NEXT) | instid1(VALU_DEP_1)
	v_lshl_add_u32 v1, v1, 23, v6
	v_lshl_or_b32 v1, v24, 21, v1
                                        ; implicit-def: $vgpr24
	s_delay_alu instid0(VALU_DEP_1)
	v_add_nc_u32_e32 v1, 0x38000000, v1
.LBB6_10068:                            ;   in Loop: Header=BB6_7543 Depth=2
	s_and_not1_saveexec_b32 s14, s14
; %bb.10069:                            ;   in Loop: Header=BB6_7543 Depth=2
	v_cmp_lt_i64_e32 vcc_lo, -1, v[2:3]
	v_cndmask_b32_e32 v1, 0xff800000, v75, vcc_lo
	v_cmp_eq_u32_e32 vcc_lo, 0, v24
	s_delay_alu instid0(VALU_DEP_2)
	v_cndmask_b32_e32 v1, 0x7f800001, v1, vcc_lo
; %bb.10070:                            ;   in Loop: Header=BB6_7543 Depth=2
	s_or_b32 exec_lo, exec_lo, s14
.LBB6_10071:                            ;   in Loop: Header=BB6_7543 Depth=2
	s_delay_alu instid0(SALU_CYCLE_1)
	s_or_b32 exec_lo, exec_lo, s7
.LBB6_10072:                            ;   in Loop: Header=BB6_7543 Depth=2
	s_delay_alu instid0(SALU_CYCLE_1) | instskip(NEXT) | instid1(SALU_CYCLE_1)
	s_or_b32 exec_lo, exec_lo, s10
	s_mov_b32 s7, exec_lo
	v_cmpx_lt_u64_e64 s[16:17], v[18:19]
	s_cbranch_execz .LBB6_10082
; %bb.10073:                            ;   in Loop: Header=BB6_7543 Depth=2
	v_bfrev_b32_e32 v7, 1
	s_mov_b32 s10, exec_lo
	v_cmpx_ne_u32_e32 0x80, v0
	s_cbranch_execz .LBB6_10081
; %bb.10074:                            ;   in Loop: Header=BB6_7543 Depth=2
	v_and_b32_e32 v3, 0x7c000000, v19
	v_bfe_u32 v2, v19, 24, 2
	s_mov_b32 s14, exec_lo
                                        ; implicit-def: $vgpr7
	s_delay_alu instid0(VALU_DEP_2)
	v_cmpx_ne_u32_e32 0x7c000000, v3
	s_xor_b32 s14, exec_lo, s14
	s_cbranch_execz .LBB6_10078
; %bb.10075:                            ;   in Loop: Header=BB6_7543 Depth=2
	v_bfe_u32 v3, v19, 26, 5
	s_mov_b32 s41, exec_lo
	s_delay_alu instid0(VALU_DEP_1)
	v_cmpx_eq_u32_e32 0, v3
; %bb.10076:                            ;   in Loop: Header=BB6_7543 Depth=2
	v_clz_i32_u32_e32 v2, v2
	s_delay_alu instid0(VALU_DEP_1) | instskip(NEXT) | instid1(VALU_DEP_1)
	v_min_u32_e32 v6, 32, v2
	v_subrev_nc_u32_e32 v2, 29, v6
	s_delay_alu instid0(VALU_DEP_1) | instskip(SKIP_1) | instid1(VALU_DEP_2)
	v_lshlrev_b64_e32 v[2:3], v2, v[0:1]
	v_sub_nc_u32_e32 v3, 30, v6
	v_and_b32_e32 v2, 3, v2
; %bb.10077:                            ;   in Loop: Header=BB6_7543 Depth=2
	s_or_b32 exec_lo, exec_lo, s41
	v_and_b32_e32 v0, 0x80000000, v19
	s_delay_alu instid0(VALU_DEP_1) | instskip(NEXT) | instid1(VALU_DEP_1)
	v_lshl_add_u32 v0, v3, 23, v0
	v_lshl_or_b32 v0, v2, 21, v0
                                        ; implicit-def: $vgpr2
	s_delay_alu instid0(VALU_DEP_1)
	v_add_nc_u32_e32 v7, 0x38000000, v0
.LBB6_10078:                            ;   in Loop: Header=BB6_7543 Depth=2
	s_and_not1_saveexec_b32 s14, s14
; %bb.10079:                            ;   in Loop: Header=BB6_7543 Depth=2
	v_cmp_lt_i64_e32 vcc_lo, -1, v[18:19]
	v_cndmask_b32_e32 v0, 0xff800000, v75, vcc_lo
	v_cmp_eq_u32_e32 vcc_lo, 0, v2
	s_delay_alu instid0(VALU_DEP_2)
	v_cndmask_b32_e32 v7, 0x7f800001, v0, vcc_lo
; %bb.10080:                            ;   in Loop: Header=BB6_7543 Depth=2
	s_or_b32 exec_lo, exec_lo, s14
.LBB6_10081:                            ;   in Loop: Header=BB6_7543 Depth=2
	s_delay_alu instid0(SALU_CYCLE_1)
	s_or_b32 exec_lo, exec_lo, s10
.LBB6_10082:                            ;   in Loop: Header=BB6_7543 Depth=2
	s_delay_alu instid0(SALU_CYCLE_1) | instskip(NEXT) | instid1(VALU_DEP_1)
	s_or_b32 exec_lo, exec_lo, s7
	v_dual_max_num_f32 v0, v7, v7 :: v_dual_max_num_f32 v1, v1, v1
	s_delay_alu instid0(VALU_DEP_1)
	v_min_num_f32_e32 v1, v1, v0
.LBB6_10083:                            ;   in Loop: Header=BB6_7543 Depth=2
	s_delay_alu instid0(VALU_DEP_1) | instskip(SKIP_3) | instid1(VALU_DEP_2)
	v_and_b32_e32 v2, 0x7f800000, v1
	v_dual_mov_b32 v3, v25 :: v_dual_lshrrev_b32 v0, 24, v1
	v_and_b32_e32 v24, 0x7fffff, v1
                                        ; implicit-def: $vgpr18
	s_mov_b32 s7, exec_lo
	v_cmpx_ne_u64_e32 0x7f800000, v[2:3]
	s_xor_b32 s10, exec_lo, s7
	s_cbranch_execz .LBB6_10097
; %bb.10084:                            ;   in Loop: Header=BB6_7543 Depth=2
	v_and_b32_e32 v2, 0x7fffffff, v1
	v_mov_b32_e32 v3, v25
	v_and_b32_e32 v6, 0x80, v0
                                        ; implicit-def: $vgpr18
	s_mov_b32 s7, exec_lo
	s_delay_alu instid0(VALU_DEP_2)
	v_cmpx_gt_u64_e32 0x47600001, v[2:3]
	s_xor_b32 s14, exec_lo, s7
	s_cbranch_execz .LBB6_10094
; %bb.10085:                            ;   in Loop: Header=BB6_7543 Depth=2
	v_mov_b32_e32 v18, 0
	s_mov_b32 s41, exec_lo
	v_cmpx_ne_u32_e32 0, v1
	s_cbranch_execz .LBB6_10093
; %bb.10086:                            ;   in Loop: Header=BB6_7543 Depth=2
	v_bfe_u32 v7, v1, 23, 8
	v_or_b32_e32 v2, 0x800000, v24
	s_delay_alu instid0(VALU_DEP_2) | instskip(SKIP_1) | instid1(VALU_DEP_2)
	v_sub_nc_u32_e32 v0, 0x71, v7
	v_cmp_gt_u32_e32 vcc_lo, 0x72, v7
	v_cndmask_b32_e32 v0, 0, v0, vcc_lo
	v_cmp_eq_u32_e32 vcc_lo, 0, v7
	s_delay_alu instid0(VALU_DEP_2) | instskip(NEXT) | instid1(VALU_DEP_1)
	v_cndmask_b32_e64 v18, v0, 0x70, vcc_lo
	v_dual_cndmask_b32 v24, v2, v24, vcc_lo :: v_dual_add_nc_u32 v0, 21, v18
	v_add_nc_u32_e32 v3, 20, v18
	s_delay_alu instid0(VALU_DEP_2) | instskip(NEXT) | instid1(VALU_DEP_2)
	v_lshlrev_b64_e64 v[0:1], v0, -1
	v_lshlrev_b64_e64 v[2:3], v3, 1
	s_delay_alu instid0(VALU_DEP_2) | instskip(NEXT) | instid1(VALU_DEP_3)
	v_bfi_b32 v87, v1, 0, 0
	v_bfi_b32 v86, v0, 0, v24
	v_lshrrev_b64 v[0:1], v18, v[24:25]
	s_delay_alu instid0(VALU_DEP_2) | instskip(NEXT) | instid1(VALU_DEP_2)
	v_cmp_eq_u64_e64 s7, v[86:87], v[2:3]
	v_mov_b64_e32 v[2:3], v[0:1]
	s_and_saveexec_b32 s42, s7
; %bb.10087:                            ;   in Loop: Header=BB6_7543 Depth=2
	v_bfe_u32 v24, v0, 21, 1
	s_delay_alu instid0(VALU_DEP_1) | instskip(NEXT) | instid1(VALU_DEP_1)
	v_add_nc_u64_e32 v[2:3], v[0:1], v[24:25]
	v_add_nc_u64_e32 v[2:3], -1, v[2:3]
; %bb.10088:                            ;   in Loop: Header=BB6_7543 Depth=2
	s_or_b32 exec_lo, exec_lo, s42
	v_add_nc_u32_e32 v1, 0xffffff81, v7
	v_lshrrev_b32_e32 v3, 23, v0
	s_mov_b32 s7, exec_lo
	s_delay_alu instid0(VALU_DEP_2) | instskip(NEXT) | instid1(VALU_DEP_1)
	v_cndmask_b32_e64 v1, v1, 0xffffff82, vcc_lo
	v_add3_u32 v3, v18, v1, v3
	v_and_b32_e32 v1, 0x1fffff, v2
                                        ; implicit-def: $vgpr2
	s_delay_alu instid0(VALU_DEP_1) | instskip(NEXT) | instid1(VALU_DEP_1)
	v_dual_add_nc_u32 v7, 14, v3 :: v_dual_add_nc_u32 v24, v1, v0
                                        ; implicit-def: $vgpr0_vgpr1
	v_cmpx_ne_u32_e32 0, v7
	s_xor_b32 s7, exec_lo, s7
; %bb.10089:                            ;   in Loop: Header=BB6_7543 Depth=2
	s_delay_alu instid0(VALU_DEP_2) | instskip(SKIP_1) | instid1(VALU_DEP_1)
	v_cmp_lt_u64_e32 vcc_lo, 0xffffff, v[24:25]
	v_add_nc_u32_e32 v0, 15, v3
	v_cndmask_b32_e32 v2, v7, v0, vcc_lo
	v_cndmask_b32_e64 v0, 0, 1, vcc_lo
	s_delay_alu instid0(VALU_DEP_1)
	v_lshrrev_b64 v[0:1], v0, v[24:25]
; %bb.10090:                            ;   in Loop: Header=BB6_7543 Depth=2
	s_and_not1_saveexec_b32 s7, s7
; %bb.10091:                            ;   in Loop: Header=BB6_7543 Depth=2
	v_mov_b64_e32 v[0:1], v[24:25]
	v_bfe_u32 v2, v24, 23, 1
; %bb.10092:                            ;   in Loop: Header=BB6_7543 Depth=2
	s_or_b32 exec_lo, exec_lo, s7
	s_delay_alu instid0(VALU_DEP_2) | instskip(NEXT) | instid1(VALU_DEP_2)
	v_lshrrev_b64 v[0:1], 21, v[0:1]
	v_cmp_gt_i32_e32 vcc_lo, 32, v2
	v_min_i32_e32 v3, 31, v2
	v_cmp_eq_u32_e64 s7, 0, v2
	s_delay_alu instid0(VALU_DEP_2) | instskip(SKIP_1) | instid1(VALU_DEP_2)
	v_dual_cndmask_b32 v1, 0, v1, vcc_lo :: v_dual_lshlrev_b32 v3, 2, v3
	v_cndmask_b32_e32 v0, 3, v0, vcc_lo
	v_and_b32_e32 v3, 0xfc, v3
	s_delay_alu instid0(VALU_DEP_2) | instskip(NEXT) | instid1(VALU_DEP_2)
	v_cmp_eq_u64_e32 vcc_lo, 0, v[0:1]
	v_and_or_b32 v0, v0, 3, v3
	s_and_b32 s7, s7, vcc_lo
	s_delay_alu instid0(VALU_DEP_1) | instid1(SALU_CYCLE_1)
	v_cndmask_b32_e64 v0, v0, 0, s7
	s_delay_alu instid0(VALU_DEP_1)
	v_or_b32_e32 v18, v0, v6
.LBB6_10093:                            ;   in Loop: Header=BB6_7543 Depth=2
	s_or_b32 exec_lo, exec_lo, s41
                                        ; implicit-def: $vgpr6
.LBB6_10094:                            ;   in Loop: Header=BB6_7543 Depth=2
	s_and_not1_saveexec_b32 s7, s14
; %bb.10095:                            ;   in Loop: Header=BB6_7543 Depth=2
	v_or_b32_e32 v18, 0x7b, v6
; %bb.10096:                            ;   in Loop: Header=BB6_7543 Depth=2
	s_or_b32 exec_lo, exec_lo, s7
                                        ; implicit-def: $vgpr1
                                        ; implicit-def: $vgpr0
.LBB6_10097:                            ;   in Loop: Header=BB6_7543 Depth=2
	s_and_not1_saveexec_b32 s7, s10
	s_cbranch_execz .LBB6_10103
; %bb.10098:                            ;   in Loop: Header=BB6_7543 Depth=2
	s_mov_b32 s10, exec_lo
                                        ; implicit-def: $vgpr18
	v_cmpx_ne_u64_e32 0, v[24:25]
	s_xor_b32 s10, exec_lo, s10
; %bb.10099:                            ;   in Loop: Header=BB6_7543 Depth=2
	v_or_b32_e32 v18, 0x7f, v0
                                        ; implicit-def: $vgpr1
; %bb.10100:                            ;   in Loop: Header=BB6_7543 Depth=2
	s_and_not1_saveexec_b32 s10, s10
; %bb.10101:                            ;   in Loop: Header=BB6_7543 Depth=2
	v_cmp_lt_i32_e32 vcc_lo, -1, v1
	v_cndmask_b32_e32 v18, 0xfc, v41, vcc_lo
; %bb.10102:                            ;   in Loop: Header=BB6_7543 Depth=2
	s_or_b32 exec_lo, exec_lo, s10
.LBB6_10103:                            ;   in Loop: Header=BB6_7543 Depth=2
	s_delay_alu instid0(SALU_CYCLE_1)
	s_or_b32 exec_lo, exec_lo, s7
	v_and_b32_e32 v2, 0xff, v4
	v_bfe_i32 v1, v4, 0, 8
	v_bfe_i32 v0, v20, 0, 8
	s_and_not1_b32 vcc_lo, exec_lo, s13
	s_mov_b32 s10, -1
	v_cmp_ne_u16_e64 s7, 0, v2
                                        ; implicit-def: $vgpr2
	s_cbranch_vccnz .LBB6_10125
; %bb.10104:                            ;   in Loop: Header=BB6_7543 Depth=2
	v_dual_mov_b32 v3, 0 :: v_dual_mov_b32 v2, 0
	s_and_saveexec_b32 s10, s7
	s_cbranch_execz .LBB6_10114
; %bb.10105:                            ;   in Loop: Header=BB6_7543 Depth=2
	v_bfrev_b32_e32 v2, 1
	s_mov_b32 s14, exec_lo
	v_cmpx_ne_u16_e32 0xff80, v1
	s_cbranch_execz .LBB6_10113
; %bb.10106:                            ;   in Loop: Header=BB6_7543 Depth=2
	v_and_b32_e32 v2, 0x7c, v4
	v_and_b32_e32 v6, 3, v4
	s_delay_alu instid0(VALU_DEP_2) | instskip(SKIP_1) | instid1(SALU_CYCLE_1)
	v_cmp_ne_u32_e32 vcc_lo, 0x7c, v2
                                        ; implicit-def: $vgpr2
	s_and_saveexec_b32 s41, vcc_lo
	s_xor_b32 s41, exec_lo, s41
	s_cbranch_execz .LBB6_10110
; %bb.10107:                            ;   in Loop: Header=BB6_7543 Depth=2
	v_bfe_u32 v2, v4, 2, 5
	s_mov_b32 s42, exec_lo
	s_delay_alu instid0(VALU_DEP_1)
	v_cmpx_eq_u32_e32 0, v2
; %bb.10108:                            ;   in Loop: Header=BB6_7543 Depth=2
	v_clz_i32_u32_e32 v2, v6
	s_delay_alu instid0(VALU_DEP_1) | instskip(NEXT) | instid1(VALU_DEP_1)
	v_min_u32_e32 v2, 32, v2
	v_subrev_nc_u32_e32 v6, 29, v2
	v_sub_nc_u32_e32 v2, 30, v2
	s_delay_alu instid0(VALU_DEP_2) | instskip(NEXT) | instid1(VALU_DEP_1)
	v_lshlrev_b64_e32 v[6:7], v6, v[4:5]
	v_and_b32_e32 v6, 3, v6
; %bb.10109:                            ;   in Loop: Header=BB6_7543 Depth=2
	s_or_b32 exec_lo, exec_lo, s42
	v_lshlrev_b32_e32 v7, 24, v4
	s_delay_alu instid0(VALU_DEP_1) | instskip(NEXT) | instid1(VALU_DEP_1)
	v_and_b32_e32 v7, 0x80000000, v7
	v_lshl_add_u32 v2, v2, 23, v7
	s_delay_alu instid0(VALU_DEP_1) | instskip(NEXT) | instid1(VALU_DEP_1)
	v_lshl_or_b32 v2, v6, 21, v2
                                        ; implicit-def: $vgpr6
	v_add_nc_u32_e32 v2, 0x38000000, v2
.LBB6_10110:                            ;   in Loop: Header=BB6_7543 Depth=2
	s_and_not1_saveexec_b32 s41, s41
; %bb.10111:                            ;   in Loop: Header=BB6_7543 Depth=2
	v_cmp_lt_i16_e32 vcc_lo, -1, v1
	v_cndmask_b32_e32 v2, 0xff800000, v75, vcc_lo
	v_cmp_eq_u32_e32 vcc_lo, 0, v6
	s_delay_alu instid0(VALU_DEP_2)
	v_cndmask_b32_e32 v2, 0x7f800001, v2, vcc_lo
; %bb.10112:                            ;   in Loop: Header=BB6_7543 Depth=2
	s_or_b32 exec_lo, exec_lo, s41
.LBB6_10113:                            ;   in Loop: Header=BB6_7543 Depth=2
	s_delay_alu instid0(SALU_CYCLE_1)
	s_or_b32 exec_lo, exec_lo, s14
.LBB6_10114:                            ;   in Loop: Header=BB6_7543 Depth=2
	s_delay_alu instid0(SALU_CYCLE_1) | instskip(NEXT) | instid1(SALU_CYCLE_1)
	s_or_b32 exec_lo, exec_lo, s10
	s_mov_b32 s10, exec_lo
	v_cmpx_ne_u16_e32 0, v0
	s_cbranch_execz .LBB6_10124
; %bb.10115:                            ;   in Loop: Header=BB6_7543 Depth=2
	v_bfrev_b32_e32 v3, 1
	s_mov_b32 s14, exec_lo
	v_cmpx_ne_u16_e32 0xff80, v0
	s_cbranch_execz .LBB6_10123
; %bb.10116:                            ;   in Loop: Header=BB6_7543 Depth=2
	v_and_b32_e32 v3, 0x7c, v20
	v_and_b32_e32 v6, 3, v20
	s_delay_alu instid0(VALU_DEP_2) | instskip(SKIP_1) | instid1(SALU_CYCLE_1)
	v_cmp_ne_u32_e32 vcc_lo, 0x7c, v3
                                        ; implicit-def: $vgpr3
	s_and_saveexec_b32 s41, vcc_lo
	s_xor_b32 s41, exec_lo, s41
	s_cbranch_execz .LBB6_10120
; %bb.10117:                            ;   in Loop: Header=BB6_7543 Depth=2
	v_bfe_u32 v3, v20, 2, 5
	s_mov_b32 s42, exec_lo
	s_delay_alu instid0(VALU_DEP_1)
	v_cmpx_eq_u32_e32 0, v3
; %bb.10118:                            ;   in Loop: Header=BB6_7543 Depth=2
	v_clz_i32_u32_e32 v3, v6
	s_delay_alu instid0(VALU_DEP_1) | instskip(NEXT) | instid1(VALU_DEP_1)
	v_min_u32_e32 v3, 32, v3
	v_subrev_nc_u32_e32 v6, 29, v3
	s_delay_alu instid0(VALU_DEP_1) | instskip(NEXT) | instid1(VALU_DEP_1)
	v_lshlrev_b64_e32 v[6:7], v6, v[20:21]
	v_dual_sub_nc_u32 v3, 30, v3 :: v_dual_bitop2_b32 v6, 3, v6 bitop3:0x40
; %bb.10119:                            ;   in Loop: Header=BB6_7543 Depth=2
	s_or_b32 exec_lo, exec_lo, s42
	v_lshlrev_b32_e32 v7, 24, v20
	s_delay_alu instid0(VALU_DEP_1) | instskip(NEXT) | instid1(VALU_DEP_1)
	v_and_b32_e32 v7, 0x80000000, v7
	v_lshl_add_u32 v3, v3, 23, v7
	s_delay_alu instid0(VALU_DEP_1) | instskip(NEXT) | instid1(VALU_DEP_1)
	v_lshl_or_b32 v3, v6, 21, v3
                                        ; implicit-def: $vgpr6
	v_add_nc_u32_e32 v3, 0x38000000, v3
.LBB6_10120:                            ;   in Loop: Header=BB6_7543 Depth=2
	s_and_not1_saveexec_b32 s41, s41
; %bb.10121:                            ;   in Loop: Header=BB6_7543 Depth=2
	v_cmp_lt_i16_e32 vcc_lo, -1, v0
	v_cndmask_b32_e32 v3, 0xff800000, v75, vcc_lo
	v_cmp_eq_u32_e32 vcc_lo, 0, v6
	s_delay_alu instid0(VALU_DEP_2)
	v_cndmask_b32_e32 v3, 0x7f800001, v3, vcc_lo
; %bb.10122:                            ;   in Loop: Header=BB6_7543 Depth=2
	s_or_b32 exec_lo, exec_lo, s41
.LBB6_10123:                            ;   in Loop: Header=BB6_7543 Depth=2
	s_delay_alu instid0(SALU_CYCLE_1)
	s_or_b32 exec_lo, exec_lo, s14
.LBB6_10124:                            ;   in Loop: Header=BB6_7543 Depth=2
	s_delay_alu instid0(SALU_CYCLE_1) | instskip(NEXT) | instid1(VALU_DEP_1)
	s_or_b32 exec_lo, exec_lo, s10
	v_dual_max_num_f32 v3, v3, v3 :: v_dual_max_num_f32 v2, v2, v2
	s_mov_b32 s10, 0
	s_delay_alu instid0(VALU_DEP_1)
	v_max_num_f32_e32 v2, v2, v3
.LBB6_10125:                            ;   in Loop: Header=BB6_7543 Depth=2
	s_and_b32 vcc_lo, exec_lo, s10
	s_cbranch_vccz .LBB6_10147
; %bb.10126:                            ;   in Loop: Header=BB6_7543 Depth=2
	v_dual_mov_b32 v3, 0 :: v_dual_mov_b32 v2, 0
	s_and_saveexec_b32 s10, s7
	s_cbranch_execz .LBB6_10136
; %bb.10127:                            ;   in Loop: Header=BB6_7543 Depth=2
	v_bfrev_b32_e32 v2, 1
	s_mov_b32 s7, exec_lo
	v_cmpx_ne_u16_e32 0xff80, v1
	s_cbranch_execz .LBB6_10135
; %bb.10128:                            ;   in Loop: Header=BB6_7543 Depth=2
	v_and_b32_e32 v2, 0x7c, v4
	v_and_b32_e32 v6, 3, v4
	s_delay_alu instid0(VALU_DEP_2) | instskip(SKIP_1) | instid1(SALU_CYCLE_1)
	v_cmp_ne_u32_e32 vcc_lo, 0x7c, v2
                                        ; implicit-def: $vgpr2
	s_and_saveexec_b32 s14, vcc_lo
	s_xor_b32 s14, exec_lo, s14
	s_cbranch_execz .LBB6_10132
; %bb.10129:                            ;   in Loop: Header=BB6_7543 Depth=2
	v_bfe_u32 v1, v4, 2, 5
	s_mov_b32 s41, exec_lo
	s_delay_alu instid0(VALU_DEP_1)
	v_cmpx_eq_u32_e32 0, v1
; %bb.10130:                            ;   in Loop: Header=BB6_7543 Depth=2
	v_clz_i32_u32_e32 v1, v6
	s_delay_alu instid0(VALU_DEP_1) | instskip(NEXT) | instid1(VALU_DEP_1)
	v_min_u32_e32 v1, 32, v1
	v_subrev_nc_u32_e32 v2, 29, v1
	s_delay_alu instid0(VALU_DEP_1) | instskip(NEXT) | instid1(VALU_DEP_1)
	v_lshlrev_b64_e32 v[6:7], v2, v[4:5]
	v_dual_sub_nc_u32 v1, 30, v1 :: v_dual_bitop2_b32 v6, 3, v6 bitop3:0x40
; %bb.10131:                            ;   in Loop: Header=BB6_7543 Depth=2
	s_or_b32 exec_lo, exec_lo, s41
	v_lshlrev_b32_e32 v2, 24, v4
	s_delay_alu instid0(VALU_DEP_1) | instskip(NEXT) | instid1(VALU_DEP_1)
	v_and_b32_e32 v2, 0x80000000, v2
	v_lshl_add_u32 v1, v1, 23, v2
	s_delay_alu instid0(VALU_DEP_1) | instskip(NEXT) | instid1(VALU_DEP_1)
	v_lshl_or_b32 v1, v6, 21, v1
                                        ; implicit-def: $vgpr6
	v_add_nc_u32_e32 v2, 0x38000000, v1
                                        ; implicit-def: $vgpr1
.LBB6_10132:                            ;   in Loop: Header=BB6_7543 Depth=2
	s_and_not1_saveexec_b32 s14, s14
; %bb.10133:                            ;   in Loop: Header=BB6_7543 Depth=2
	v_cmp_lt_i16_e32 vcc_lo, -1, v1
	v_cndmask_b32_e32 v1, 0xff800000, v75, vcc_lo
	v_cmp_eq_u32_e32 vcc_lo, 0, v6
	s_delay_alu instid0(VALU_DEP_2)
	v_cndmask_b32_e32 v2, 0x7f800001, v1, vcc_lo
; %bb.10134:                            ;   in Loop: Header=BB6_7543 Depth=2
	s_or_b32 exec_lo, exec_lo, s14
.LBB6_10135:                            ;   in Loop: Header=BB6_7543 Depth=2
	s_delay_alu instid0(SALU_CYCLE_1)
	s_or_b32 exec_lo, exec_lo, s7
.LBB6_10136:                            ;   in Loop: Header=BB6_7543 Depth=2
	s_delay_alu instid0(SALU_CYCLE_1) | instskip(NEXT) | instid1(SALU_CYCLE_1)
	s_or_b32 exec_lo, exec_lo, s10
	s_mov_b32 s7, exec_lo
	v_cmpx_ne_u16_e32 0, v0
	s_cbranch_execz .LBB6_10146
; %bb.10137:                            ;   in Loop: Header=BB6_7543 Depth=2
	v_bfrev_b32_e32 v3, 1
	s_mov_b32 s10, exec_lo
	v_cmpx_ne_u16_e32 0xff80, v0
	s_cbranch_execz .LBB6_10145
; %bb.10138:                            ;   in Loop: Header=BB6_7543 Depth=2
	v_and_b32_e32 v3, 0x7c, v20
	v_and_b32_e32 v1, 3, v20
	s_delay_alu instid0(VALU_DEP_2) | instskip(SKIP_1) | instid1(SALU_CYCLE_1)
	v_cmp_ne_u32_e32 vcc_lo, 0x7c, v3
                                        ; implicit-def: $vgpr3
	s_and_saveexec_b32 s14, vcc_lo
	s_xor_b32 s14, exec_lo, s14
	s_cbranch_execz .LBB6_10142
; %bb.10139:                            ;   in Loop: Header=BB6_7543 Depth=2
	v_bfe_u32 v0, v20, 2, 5
	s_mov_b32 s41, exec_lo
	s_delay_alu instid0(VALU_DEP_1)
	v_cmpx_eq_u32_e32 0, v0
; %bb.10140:                            ;   in Loop: Header=BB6_7543 Depth=2
	v_clz_i32_u32_e32 v0, v1
	s_delay_alu instid0(VALU_DEP_1) | instskip(NEXT) | instid1(VALU_DEP_1)
	v_min_u32_e32 v0, 32, v0
	v_subrev_nc_u32_e32 v1, 29, v0
	s_delay_alu instid0(VALU_DEP_1) | instskip(NEXT) | instid1(VALU_DEP_1)
	v_lshlrev_b64_e32 v[6:7], v1, v[20:21]
	v_dual_sub_nc_u32 v0, 30, v0 :: v_dual_bitop2_b32 v1, 3, v6 bitop3:0x40
; %bb.10141:                            ;   in Loop: Header=BB6_7543 Depth=2
	s_or_b32 exec_lo, exec_lo, s41
	v_lshlrev_b32_e32 v3, 24, v20
	s_delay_alu instid0(VALU_DEP_1) | instskip(NEXT) | instid1(VALU_DEP_1)
	v_and_b32_e32 v3, 0x80000000, v3
	v_lshl_add_u32 v0, v0, 23, v3
	s_delay_alu instid0(VALU_DEP_1) | instskip(NEXT) | instid1(VALU_DEP_1)
	v_lshl_or_b32 v0, v1, 21, v0
                                        ; implicit-def: $vgpr1
	v_add_nc_u32_e32 v3, 0x38000000, v0
                                        ; implicit-def: $vgpr0
.LBB6_10142:                            ;   in Loop: Header=BB6_7543 Depth=2
	s_and_not1_saveexec_b32 s14, s14
; %bb.10143:                            ;   in Loop: Header=BB6_7543 Depth=2
	v_cmp_lt_i16_e32 vcc_lo, -1, v0
	v_cndmask_b32_e32 v0, 0xff800000, v75, vcc_lo
	v_cmp_eq_u32_e32 vcc_lo, 0, v1
	s_delay_alu instid0(VALU_DEP_2)
	v_cndmask_b32_e32 v3, 0x7f800001, v0, vcc_lo
; %bb.10144:                            ;   in Loop: Header=BB6_7543 Depth=2
	s_or_b32 exec_lo, exec_lo, s14
.LBB6_10145:                            ;   in Loop: Header=BB6_7543 Depth=2
	s_delay_alu instid0(SALU_CYCLE_1)
	s_or_b32 exec_lo, exec_lo, s10
.LBB6_10146:                            ;   in Loop: Header=BB6_7543 Depth=2
	s_delay_alu instid0(SALU_CYCLE_1) | instskip(NEXT) | instid1(VALU_DEP_1)
	s_or_b32 exec_lo, exec_lo, s7
	v_dual_max_num_f32 v0, v3, v3 :: v_dual_max_num_f32 v1, v2, v2
	s_delay_alu instid0(VALU_DEP_1)
	v_min_num_f32_e32 v2, v1, v0
.LBB6_10147:                            ;   in Loop: Header=BB6_7543 Depth=2
	s_delay_alu instid0(VALU_DEP_1) | instskip(SKIP_2) | instid1(VALU_DEP_2)
	v_and_b32_e32 v0, 0x7f800000, v2
	v_mov_b32_e32 v1, v25
	v_and_b32_e32 v24, 0x7fffff, v2
                                        ; implicit-def: $vgpr19
	v_cmp_ne_u64_e32 vcc_lo, 0x7f800000, v[0:1]
	v_lshrrev_b32_e32 v0, 24, v2
	s_and_saveexec_b32 s7, vcc_lo
	s_delay_alu instid0(SALU_CYCLE_1)
	s_xor_b32 s10, exec_lo, s7
	s_cbranch_execz .LBB6_10161
; %bb.10148:                            ;   in Loop: Header=BB6_7543 Depth=2
	v_and_b32_e32 v6, 0x7fffffff, v2
	v_mov_b32_e32 v7, v25
                                        ; implicit-def: $vgpr19
	s_delay_alu instid0(VALU_DEP_1) | instskip(SKIP_2) | instid1(SALU_CYCLE_1)
	v_cmp_gt_u64_e32 vcc_lo, 0x47600001, v[6:7]
	v_and_b32_e32 v6, 0x80, v0
	s_and_saveexec_b32 s7, vcc_lo
	s_xor_b32 s14, exec_lo, s7
	s_cbranch_execz .LBB6_10158
; %bb.10149:                            ;   in Loop: Header=BB6_7543 Depth=2
	v_mov_b32_e32 v19, 0
	s_mov_b32 s41, exec_lo
	v_cmpx_ne_u32_e32 0, v2
	s_cbranch_execz .LBB6_10157
; %bb.10150:                            ;   in Loop: Header=BB6_7543 Depth=2
	v_bfe_u32 v7, v2, 23, 8
	v_or_b32_e32 v2, 0x800000, v24
	s_delay_alu instid0(VALU_DEP_2) | instskip(SKIP_1) | instid1(VALU_DEP_2)
	v_sub_nc_u32_e32 v0, 0x71, v7
	v_cmp_gt_u32_e32 vcc_lo, 0x72, v7
	v_cndmask_b32_e32 v0, 0, v0, vcc_lo
	v_cmp_eq_u32_e32 vcc_lo, 0, v7
	s_delay_alu instid0(VALU_DEP_2) | instskip(NEXT) | instid1(VALU_DEP_1)
	v_cndmask_b32_e64 v19, v0, 0x70, vcc_lo
	v_dual_cndmask_b32 v24, v2, v24, vcc_lo :: v_dual_add_nc_u32 v0, 21, v19
	v_add_nc_u32_e32 v3, 20, v19
	s_delay_alu instid0(VALU_DEP_2) | instskip(NEXT) | instid1(VALU_DEP_2)
	v_lshlrev_b64_e64 v[0:1], v0, -1
	v_lshlrev_b64_e64 v[2:3], v3, 1
	s_delay_alu instid0(VALU_DEP_2) | instskip(NEXT) | instid1(VALU_DEP_3)
	v_bfi_b32 v87, v1, 0, 0
	v_bfi_b32 v86, v0, 0, v24
	v_lshrrev_b64 v[0:1], v19, v[24:25]
	s_delay_alu instid0(VALU_DEP_2) | instskip(NEXT) | instid1(VALU_DEP_2)
	v_cmp_eq_u64_e64 s7, v[86:87], v[2:3]
	v_mov_b64_e32 v[2:3], v[0:1]
	s_and_saveexec_b32 s42, s7
; %bb.10151:                            ;   in Loop: Header=BB6_7543 Depth=2
	v_bfe_u32 v24, v0, 21, 1
	s_delay_alu instid0(VALU_DEP_1) | instskip(NEXT) | instid1(VALU_DEP_1)
	v_add_nc_u64_e32 v[2:3], v[0:1], v[24:25]
	v_add_nc_u64_e32 v[2:3], -1, v[2:3]
; %bb.10152:                            ;   in Loop: Header=BB6_7543 Depth=2
	s_or_b32 exec_lo, exec_lo, s42
	v_add_nc_u32_e32 v1, 0xffffff81, v7
	v_lshrrev_b32_e32 v3, 23, v0
	s_mov_b32 s7, exec_lo
	s_delay_alu instid0(VALU_DEP_2) | instskip(NEXT) | instid1(VALU_DEP_1)
	v_cndmask_b32_e64 v1, v1, 0xffffff82, vcc_lo
	v_add3_u32 v3, v19, v1, v3
	v_and_b32_e32 v1, 0x1fffff, v2
                                        ; implicit-def: $vgpr2
	s_delay_alu instid0(VALU_DEP_1) | instskip(NEXT) | instid1(VALU_DEP_1)
	v_dual_add_nc_u32 v7, 14, v3 :: v_dual_add_nc_u32 v24, v1, v0
                                        ; implicit-def: $vgpr0_vgpr1
	v_cmpx_ne_u32_e32 0, v7
	s_xor_b32 s7, exec_lo, s7
; %bb.10153:                            ;   in Loop: Header=BB6_7543 Depth=2
	s_delay_alu instid0(VALU_DEP_2) | instskip(SKIP_1) | instid1(VALU_DEP_1)
	v_cmp_lt_u64_e32 vcc_lo, 0xffffff, v[24:25]
	v_add_nc_u32_e32 v0, 15, v3
	v_cndmask_b32_e32 v2, v7, v0, vcc_lo
	v_cndmask_b32_e64 v0, 0, 1, vcc_lo
	s_delay_alu instid0(VALU_DEP_1)
	v_lshrrev_b64 v[0:1], v0, v[24:25]
; %bb.10154:                            ;   in Loop: Header=BB6_7543 Depth=2
	s_and_not1_saveexec_b32 s7, s7
; %bb.10155:                            ;   in Loop: Header=BB6_7543 Depth=2
	v_mov_b64_e32 v[0:1], v[24:25]
	v_bfe_u32 v2, v24, 23, 1
; %bb.10156:                            ;   in Loop: Header=BB6_7543 Depth=2
	s_or_b32 exec_lo, exec_lo, s7
	s_delay_alu instid0(VALU_DEP_2) | instskip(NEXT) | instid1(VALU_DEP_2)
	v_lshrrev_b64 v[0:1], 21, v[0:1]
	v_cmp_gt_i32_e32 vcc_lo, 32, v2
	v_min_i32_e32 v3, 31, v2
	v_cmp_eq_u32_e64 s7, 0, v2
	s_delay_alu instid0(VALU_DEP_2) | instskip(SKIP_1) | instid1(VALU_DEP_2)
	v_dual_cndmask_b32 v1, 0, v1, vcc_lo :: v_dual_lshlrev_b32 v3, 2, v3
	v_cndmask_b32_e32 v0, 3, v0, vcc_lo
	v_and_b32_e32 v3, 0xfc, v3
	s_delay_alu instid0(VALU_DEP_2) | instskip(NEXT) | instid1(VALU_DEP_2)
	v_cmp_eq_u64_e32 vcc_lo, 0, v[0:1]
	v_and_or_b32 v0, v0, 3, v3
	s_and_b32 s7, s7, vcc_lo
	s_delay_alu instid0(VALU_DEP_1) | instid1(SALU_CYCLE_1)
	v_cndmask_b32_e64 v0, v0, 0, s7
	s_delay_alu instid0(VALU_DEP_1)
	v_or_b32_e32 v19, v0, v6
.LBB6_10157:                            ;   in Loop: Header=BB6_7543 Depth=2
	s_or_b32 exec_lo, exec_lo, s41
                                        ; implicit-def: $vgpr6
.LBB6_10158:                            ;   in Loop: Header=BB6_7543 Depth=2
	s_and_not1_saveexec_b32 s7, s14
; %bb.10159:                            ;   in Loop: Header=BB6_7543 Depth=2
	v_or_b32_e32 v19, 0x7b, v6
; %bb.10160:                            ;   in Loop: Header=BB6_7543 Depth=2
	s_or_b32 exec_lo, exec_lo, s7
                                        ; implicit-def: $vgpr2
                                        ; implicit-def: $vgpr0
.LBB6_10161:                            ;   in Loop: Header=BB6_7543 Depth=2
	s_and_not1_saveexec_b32 s7, s10
	s_cbranch_execz .LBB6_10167
; %bb.10162:                            ;   in Loop: Header=BB6_7543 Depth=2
	s_mov_b32 s10, exec_lo
                                        ; implicit-def: $vgpr19
	v_cmpx_ne_u64_e32 0, v[24:25]
	s_xor_b32 s10, exec_lo, s10
; %bb.10163:                            ;   in Loop: Header=BB6_7543 Depth=2
	v_or_b32_e32 v19, 0x7f, v0
                                        ; implicit-def: $vgpr2
; %bb.10164:                            ;   in Loop: Header=BB6_7543 Depth=2
	s_and_not1_saveexec_b32 s10, s10
; %bb.10165:                            ;   in Loop: Header=BB6_7543 Depth=2
	v_cmp_lt_i32_e32 vcc_lo, -1, v2
	v_cndmask_b32_e32 v19, 0xfc, v41, vcc_lo
; %bb.10166:                            ;   in Loop: Header=BB6_7543 Depth=2
	s_or_b32 exec_lo, exec_lo, s10
.LBB6_10167:                            ;   in Loop: Header=BB6_7543 Depth=2
	s_delay_alu instid0(SALU_CYCLE_1) | instskip(SKIP_4) | instid1(VALU_DEP_2)
	s_or_b32 exec_lo, exec_lo, s7
	v_lshrrev_b16 v24, 8, v4
	v_lshrrev_b16 v0, 8, v20
	s_and_not1_b32 vcc_lo, exec_lo, s13
	s_mov_b32 s10, -1
                                        ; implicit-def: $vgpr1
	v_and_b32_e32 v2, 0xffff, v24
	v_cmp_ne_u16_e64 s7, 0, v24
	s_cbranch_vccnz .LBB6_10189
; %bb.10168:                            ;   in Loop: Header=BB6_7543 Depth=2
	v_dual_mov_b32 v1, 0 :: v_dual_mov_b32 v3, 0
	s_and_saveexec_b32 s10, s7
	s_cbranch_execz .LBB6_10178
; %bb.10169:                            ;   in Loop: Header=BB6_7543 Depth=2
	v_bfrev_b32_e32 v3, 1
	s_mov_b32 s14, exec_lo
	v_cmpx_ne_u16_e32 0x80, v24
	s_cbranch_execz .LBB6_10177
; %bb.10170:                            ;   in Loop: Header=BB6_7543 Depth=2
	v_and_b32_e32 v3, 0x7c, v2
	v_and_b32_e32 v6, 3, v2
	s_delay_alu instid0(VALU_DEP_2) | instskip(SKIP_1) | instid1(SALU_CYCLE_1)
	v_cmp_ne_u32_e32 vcc_lo, 0x7c, v3
                                        ; implicit-def: $vgpr3
	s_and_saveexec_b32 s41, vcc_lo
	s_xor_b32 s41, exec_lo, s41
	s_cbranch_execz .LBB6_10174
; %bb.10171:                            ;   in Loop: Header=BB6_7543 Depth=2
	v_bfe_u32 v3, v2, 2, 5
	s_mov_b32 s42, exec_lo
	s_delay_alu instid0(VALU_DEP_1)
	v_cmpx_eq_u32_e32 0, v3
; %bb.10172:                            ;   in Loop: Header=BB6_7543 Depth=2
	v_clz_i32_u32_e32 v3, v6
	s_delay_alu instid0(VALU_DEP_1) | instskip(NEXT) | instid1(VALU_DEP_1)
	v_min_u32_e32 v3, 32, v3
	v_subrev_nc_u32_e32 v6, 29, v3
	s_delay_alu instid0(VALU_DEP_1) | instskip(NEXT) | instid1(VALU_DEP_1)
	v_lshlrev_b64_e32 v[6:7], v6, v[24:25]
	v_dual_sub_nc_u32 v3, 30, v3 :: v_dual_bitop2_b32 v6, 3, v6 bitop3:0x40
; %bb.10173:                            ;   in Loop: Header=BB6_7543 Depth=2
	s_or_b32 exec_lo, exec_lo, s42
	v_lshlrev_b32_e32 v7, 16, v4
	s_delay_alu instid0(VALU_DEP_1) | instskip(NEXT) | instid1(VALU_DEP_1)
	v_and_b32_e32 v7, 0x80000000, v7
	v_lshl_add_u32 v3, v3, 23, v7
	s_delay_alu instid0(VALU_DEP_1) | instskip(NEXT) | instid1(VALU_DEP_1)
	v_lshl_or_b32 v3, v6, 21, v3
                                        ; implicit-def: $vgpr6
	v_add_nc_u32_e32 v3, 0x38000000, v3
.LBB6_10174:                            ;   in Loop: Header=BB6_7543 Depth=2
	s_and_not1_saveexec_b32 s41, s41
; %bb.10175:                            ;   in Loop: Header=BB6_7543 Depth=2
	v_cmp_lt_i16_e32 vcc_lo, -1, v4
	v_cndmask_b32_e32 v3, 0xff800000, v75, vcc_lo
	v_cmp_eq_u32_e32 vcc_lo, 0, v6
	s_delay_alu instid0(VALU_DEP_2)
	v_cndmask_b32_e32 v3, 0x7f800001, v3, vcc_lo
; %bb.10176:                            ;   in Loop: Header=BB6_7543 Depth=2
	s_or_b32 exec_lo, exec_lo, s41
.LBB6_10177:                            ;   in Loop: Header=BB6_7543 Depth=2
	s_delay_alu instid0(SALU_CYCLE_1)
	s_or_b32 exec_lo, exec_lo, s14
.LBB6_10178:                            ;   in Loop: Header=BB6_7543 Depth=2
	s_delay_alu instid0(SALU_CYCLE_1) | instskip(NEXT) | instid1(SALU_CYCLE_1)
	s_or_b32 exec_lo, exec_lo, s10
	s_mov_b32 s10, exec_lo
	v_cmpx_ne_u16_e32 0, v0
	s_cbranch_execz .LBB6_10188
; %bb.10179:                            ;   in Loop: Header=BB6_7543 Depth=2
	v_bfrev_b32_e32 v1, 1
	s_mov_b32 s14, exec_lo
	v_cmpx_ne_u16_e32 0x80, v0
	s_cbranch_execz .LBB6_10187
; %bb.10180:                            ;   in Loop: Header=BB6_7543 Depth=2
	v_and_b32_e32 v7, 0xffff, v0
	s_delay_alu instid0(VALU_DEP_1) | instskip(SKIP_1) | instid1(VALU_DEP_2)
	v_and_b32_e32 v1, 0x7c, v7
	v_and_b32_e32 v6, 3, v7
	v_cmp_ne_u32_e32 vcc_lo, 0x7c, v1
                                        ; implicit-def: $vgpr1
	s_and_saveexec_b32 s41, vcc_lo
	s_delay_alu instid0(SALU_CYCLE_1)
	s_xor_b32 s41, exec_lo, s41
	s_cbranch_execz .LBB6_10184
; %bb.10181:                            ;   in Loop: Header=BB6_7543 Depth=2
	v_bfe_u32 v1, v7, 2, 5
	s_mov_b32 s42, exec_lo
	s_delay_alu instid0(VALU_DEP_1)
	v_cmpx_eq_u32_e32 0, v1
	s_cbranch_execz .LBB6_10183
; %bb.10182:                            ;   in Loop: Header=BB6_7543 Depth=2
	v_clz_i32_u32_e32 v1, v6
	s_delay_alu instid0(VALU_DEP_1) | instskip(SKIP_1) | instid1(VALU_DEP_2)
	v_min_u32_e32 v86, 32, v1
	v_mov_b32_e32 v1, v25
	v_subrev_nc_u32_e32 v6, 29, v86
	s_delay_alu instid0(VALU_DEP_1) | instskip(SKIP_1) | instid1(VALU_DEP_2)
	v_lshlrev_b64_e32 v[6:7], v6, v[0:1]
	v_sub_nc_u32_e32 v1, 30, v86
	v_and_b32_e32 v6, 3, v6
.LBB6_10183:                            ;   in Loop: Header=BB6_7543 Depth=2
	s_or_b32 exec_lo, exec_lo, s42
	v_lshlrev_b32_e32 v7, 16, v20
	s_delay_alu instid0(VALU_DEP_1) | instskip(NEXT) | instid1(VALU_DEP_1)
	v_and_b32_e32 v7, 0x80000000, v7
	v_lshl_add_u32 v1, v1, 23, v7
	s_delay_alu instid0(VALU_DEP_1) | instskip(NEXT) | instid1(VALU_DEP_1)
	v_lshl_or_b32 v1, v6, 21, v1
                                        ; implicit-def: $vgpr6
	v_add_nc_u32_e32 v1, 0x38000000, v1
.LBB6_10184:                            ;   in Loop: Header=BB6_7543 Depth=2
	s_and_not1_saveexec_b32 s41, s41
; %bb.10185:                            ;   in Loop: Header=BB6_7543 Depth=2
	v_cmp_lt_i16_e32 vcc_lo, -1, v20
	v_cndmask_b32_e32 v1, 0xff800000, v75, vcc_lo
	v_cmp_eq_u32_e32 vcc_lo, 0, v6
	s_delay_alu instid0(VALU_DEP_2)
	v_cndmask_b32_e32 v1, 0x7f800001, v1, vcc_lo
; %bb.10186:                            ;   in Loop: Header=BB6_7543 Depth=2
	s_or_b32 exec_lo, exec_lo, s41
.LBB6_10187:                            ;   in Loop: Header=BB6_7543 Depth=2
	s_delay_alu instid0(SALU_CYCLE_1)
	s_or_b32 exec_lo, exec_lo, s14
.LBB6_10188:                            ;   in Loop: Header=BB6_7543 Depth=2
	s_delay_alu instid0(SALU_CYCLE_1) | instskip(NEXT) | instid1(VALU_DEP_1)
	s_or_b32 exec_lo, exec_lo, s10
	v_dual_max_num_f32 v1, v1, v1 :: v_dual_max_num_f32 v3, v3, v3
	s_mov_b32 s10, 0
	s_delay_alu instid0(VALU_DEP_1)
	v_max_num_f32_e32 v1, v3, v1
.LBB6_10189:                            ;   in Loop: Header=BB6_7543 Depth=2
	s_and_b32 vcc_lo, exec_lo, s10
	s_cbranch_vccz .LBB6_10211
; %bb.10190:                            ;   in Loop: Header=BB6_7543 Depth=2
	v_dual_mov_b32 v1, 0 :: v_dual_mov_b32 v3, 0
	s_and_saveexec_b32 s10, s7
	s_cbranch_execz .LBB6_10200
; %bb.10191:                            ;   in Loop: Header=BB6_7543 Depth=2
	v_bfrev_b32_e32 v3, 1
	s_mov_b32 s7, exec_lo
	v_cmpx_ne_u16_e32 0x80, v24
	s_cbranch_execz .LBB6_10199
; %bb.10192:                            ;   in Loop: Header=BB6_7543 Depth=2
	v_and_b32_e32 v3, 0x7c, v2
	v_and_b32_e32 v6, 3, v2
	s_delay_alu instid0(VALU_DEP_2) | instskip(SKIP_1) | instid1(SALU_CYCLE_1)
	v_cmp_ne_u32_e32 vcc_lo, 0x7c, v3
                                        ; implicit-def: $vgpr3
	s_and_saveexec_b32 s14, vcc_lo
	s_xor_b32 s14, exec_lo, s14
	s_cbranch_execz .LBB6_10196
; %bb.10193:                            ;   in Loop: Header=BB6_7543 Depth=2
	v_bfe_u32 v2, v2, 2, 5
	s_mov_b32 s41, exec_lo
	s_delay_alu instid0(VALU_DEP_1)
	v_cmpx_eq_u32_e32 0, v2
; %bb.10194:                            ;   in Loop: Header=BB6_7543 Depth=2
	v_clz_i32_u32_e32 v2, v6
	s_delay_alu instid0(VALU_DEP_1) | instskip(NEXT) | instid1(VALU_DEP_1)
	v_min_u32_e32 v2, 32, v2
	v_subrev_nc_u32_e32 v3, 29, v2
	v_sub_nc_u32_e32 v2, 30, v2
	s_delay_alu instid0(VALU_DEP_2) | instskip(NEXT) | instid1(VALU_DEP_1)
	v_lshlrev_b64_e32 v[6:7], v3, v[24:25]
	v_and_b32_e32 v6, 3, v6
; %bb.10195:                            ;   in Loop: Header=BB6_7543 Depth=2
	s_or_b32 exec_lo, exec_lo, s41
	v_lshlrev_b32_e32 v3, 16, v4
	s_delay_alu instid0(VALU_DEP_1) | instskip(NEXT) | instid1(VALU_DEP_1)
	v_and_b32_e32 v3, 0x80000000, v3
	v_lshl_add_u32 v2, v2, 23, v3
	s_delay_alu instid0(VALU_DEP_1) | instskip(NEXT) | instid1(VALU_DEP_1)
	v_lshl_or_b32 v2, v6, 21, v2
                                        ; implicit-def: $vgpr6
	v_add_nc_u32_e32 v3, 0x38000000, v2
.LBB6_10196:                            ;   in Loop: Header=BB6_7543 Depth=2
	s_and_not1_saveexec_b32 s14, s14
; %bb.10197:                            ;   in Loop: Header=BB6_7543 Depth=2
	v_cmp_lt_i16_e32 vcc_lo, -1, v4
	v_cndmask_b32_e32 v2, 0xff800000, v75, vcc_lo
	v_cmp_eq_u32_e32 vcc_lo, 0, v6
	s_delay_alu instid0(VALU_DEP_2)
	v_cndmask_b32_e32 v3, 0x7f800001, v2, vcc_lo
; %bb.10198:                            ;   in Loop: Header=BB6_7543 Depth=2
	s_or_b32 exec_lo, exec_lo, s14
.LBB6_10199:                            ;   in Loop: Header=BB6_7543 Depth=2
	s_delay_alu instid0(SALU_CYCLE_1)
	s_or_b32 exec_lo, exec_lo, s7
.LBB6_10200:                            ;   in Loop: Header=BB6_7543 Depth=2
	s_delay_alu instid0(SALU_CYCLE_1) | instskip(NEXT) | instid1(SALU_CYCLE_1)
	s_or_b32 exec_lo, exec_lo, s10
	s_mov_b32 s7, exec_lo
	v_cmpx_ne_u16_e32 0, v0
	s_cbranch_execz .LBB6_10210
; %bb.10201:                            ;   in Loop: Header=BB6_7543 Depth=2
	v_bfrev_b32_e32 v1, 1
	s_mov_b32 s10, exec_lo
	v_cmpx_ne_u16_e32 0x80, v0
	s_cbranch_execz .LBB6_10209
; %bb.10202:                            ;   in Loop: Header=BB6_7543 Depth=2
	v_and_b32_e32 v6, 0xffff, v0
	s_delay_alu instid0(VALU_DEP_1) | instskip(SKIP_1) | instid1(VALU_DEP_2)
	v_and_b32_e32 v1, 0x7c, v6
	v_and_b32_e32 v2, 3, v6
	v_cmp_ne_u32_e32 vcc_lo, 0x7c, v1
                                        ; implicit-def: $vgpr1
	s_and_saveexec_b32 s14, vcc_lo
	s_delay_alu instid0(SALU_CYCLE_1)
	s_xor_b32 s14, exec_lo, s14
	s_cbranch_execz .LBB6_10206
; %bb.10203:                            ;   in Loop: Header=BB6_7543 Depth=2
	v_bfe_u32 v1, v6, 2, 5
	s_mov_b32 s41, exec_lo
	s_delay_alu instid0(VALU_DEP_1)
	v_cmpx_eq_u32_e32 0, v1
; %bb.10204:                            ;   in Loop: Header=BB6_7543 Depth=2
	v_clz_i32_u32_e32 v1, v2
	s_delay_alu instid0(VALU_DEP_1) | instskip(SKIP_1) | instid1(VALU_DEP_2)
	v_min_u32_e32 v2, 32, v1
	v_mov_b32_e32 v1, v25
	v_subrev_nc_u32_e32 v6, 29, v2
	s_delay_alu instid0(VALU_DEP_1) | instskip(NEXT) | instid1(VALU_DEP_1)
	v_lshlrev_b64_e32 v[0:1], v6, v[0:1]
	v_dual_sub_nc_u32 v1, 30, v2 :: v_dual_bitop2_b32 v2, 3, v0 bitop3:0x40
; %bb.10205:                            ;   in Loop: Header=BB6_7543 Depth=2
	s_or_b32 exec_lo, exec_lo, s41
	v_lshlrev_b32_e32 v0, 16, v20
	s_delay_alu instid0(VALU_DEP_1) | instskip(NEXT) | instid1(VALU_DEP_1)
	v_and_b32_e32 v0, 0x80000000, v0
	v_lshl_add_u32 v0, v1, 23, v0
	s_delay_alu instid0(VALU_DEP_1) | instskip(NEXT) | instid1(VALU_DEP_1)
	v_lshl_or_b32 v0, v2, 21, v0
                                        ; implicit-def: $vgpr2
	v_add_nc_u32_e32 v1, 0x38000000, v0
.LBB6_10206:                            ;   in Loop: Header=BB6_7543 Depth=2
	s_and_not1_saveexec_b32 s14, s14
; %bb.10207:                            ;   in Loop: Header=BB6_7543 Depth=2
	v_cmp_lt_i16_e32 vcc_lo, -1, v20
	v_cndmask_b32_e32 v0, 0xff800000, v75, vcc_lo
	v_cmp_eq_u32_e32 vcc_lo, 0, v2
	s_delay_alu instid0(VALU_DEP_2)
	v_cndmask_b32_e32 v1, 0x7f800001, v0, vcc_lo
; %bb.10208:                            ;   in Loop: Header=BB6_7543 Depth=2
	s_or_b32 exec_lo, exec_lo, s14
.LBB6_10209:                            ;   in Loop: Header=BB6_7543 Depth=2
	s_delay_alu instid0(SALU_CYCLE_1)
	s_or_b32 exec_lo, exec_lo, s10
.LBB6_10210:                            ;   in Loop: Header=BB6_7543 Depth=2
	s_delay_alu instid0(SALU_CYCLE_1) | instskip(NEXT) | instid1(VALU_DEP_1)
	s_or_b32 exec_lo, exec_lo, s7
	v_dual_max_num_f32 v0, v1, v1 :: v_dual_max_num_f32 v1, v3, v3
	s_delay_alu instid0(VALU_DEP_1)
	v_min_num_f32_e32 v1, v1, v0
.LBB6_10211:                            ;   in Loop: Header=BB6_7543 Depth=2
	s_delay_alu instid0(VALU_DEP_1) | instskip(SKIP_3) | instid1(VALU_DEP_2)
	v_and_b32_e32 v2, 0x7f800000, v1
	v_dual_mov_b32 v3, v25 :: v_dual_lshrrev_b32 v0, 24, v1
	v_and_b32_e32 v24, 0x7fffff, v1
                                        ; implicit-def: $vgpr86
	s_mov_b32 s7, exec_lo
	v_cmpx_ne_u64_e32 0x7f800000, v[2:3]
	s_xor_b32 s10, exec_lo, s7
	s_cbranch_execz .LBB6_10225
; %bb.10212:                            ;   in Loop: Header=BB6_7543 Depth=2
	v_and_b32_e32 v2, 0x7fffffff, v1
	v_mov_b32_e32 v3, v25
	v_and_b32_e32 v6, 0x80, v0
                                        ; implicit-def: $vgpr86
	s_mov_b32 s7, exec_lo
	s_delay_alu instid0(VALU_DEP_2)
	v_cmpx_gt_u64_e32 0x47600001, v[2:3]
	s_xor_b32 s14, exec_lo, s7
	s_cbranch_execz .LBB6_10222
; %bb.10213:                            ;   in Loop: Header=BB6_7543 Depth=2
	v_mov_b32_e32 v86, 0
	s_mov_b32 s41, exec_lo
	v_cmpx_ne_u32_e32 0, v1
	s_cbranch_execz .LBB6_10221
; %bb.10214:                            ;   in Loop: Header=BB6_7543 Depth=2
	v_bfe_u32 v7, v1, 23, 8
	v_or_b32_e32 v2, 0x800000, v24
	s_delay_alu instid0(VALU_DEP_2) | instskip(SKIP_1) | instid1(VALU_DEP_2)
	v_sub_nc_u32_e32 v0, 0x71, v7
	v_cmp_gt_u32_e32 vcc_lo, 0x72, v7
	v_cndmask_b32_e32 v0, 0, v0, vcc_lo
	v_cmp_eq_u32_e32 vcc_lo, 0, v7
	s_delay_alu instid0(VALU_DEP_2) | instskip(NEXT) | instid1(VALU_DEP_1)
	v_cndmask_b32_e64 v86, v0, 0x70, vcc_lo
	v_dual_cndmask_b32 v24, v2, v24, vcc_lo :: v_dual_add_nc_u32 v0, 21, v86
	v_add_nc_u32_e32 v3, 20, v86
	s_delay_alu instid0(VALU_DEP_2) | instskip(NEXT) | instid1(VALU_DEP_2)
	v_lshlrev_b64_e64 v[0:1], v0, -1
	v_lshlrev_b64_e64 v[2:3], v3, 1
	s_delay_alu instid0(VALU_DEP_2) | instskip(NEXT) | instid1(VALU_DEP_3)
	v_bfi_b32 v97, v1, 0, 0
	v_bfi_b32 v96, v0, 0, v24
	v_lshrrev_b64 v[0:1], v86, v[24:25]
	s_delay_alu instid0(VALU_DEP_2) | instskip(NEXT) | instid1(VALU_DEP_2)
	v_cmp_eq_u64_e64 s7, v[96:97], v[2:3]
	v_mov_b64_e32 v[2:3], v[0:1]
	s_and_saveexec_b32 s42, s7
; %bb.10215:                            ;   in Loop: Header=BB6_7543 Depth=2
	v_bfe_u32 v24, v0, 21, 1
	s_delay_alu instid0(VALU_DEP_1) | instskip(NEXT) | instid1(VALU_DEP_1)
	v_add_nc_u64_e32 v[2:3], v[0:1], v[24:25]
	v_add_nc_u64_e32 v[2:3], -1, v[2:3]
; %bb.10216:                            ;   in Loop: Header=BB6_7543 Depth=2
	s_or_b32 exec_lo, exec_lo, s42
	v_add_nc_u32_e32 v1, 0xffffff81, v7
	v_lshrrev_b32_e32 v3, 23, v0
	s_mov_b32 s7, exec_lo
	s_delay_alu instid0(VALU_DEP_2) | instskip(NEXT) | instid1(VALU_DEP_1)
	v_cndmask_b32_e64 v1, v1, 0xffffff82, vcc_lo
	v_add3_u32 v3, v86, v1, v3
	v_and_b32_e32 v1, 0x1fffff, v2
                                        ; implicit-def: $vgpr2
	s_delay_alu instid0(VALU_DEP_1) | instskip(NEXT) | instid1(VALU_DEP_1)
	v_dual_add_nc_u32 v7, 14, v3 :: v_dual_add_nc_u32 v24, v1, v0
                                        ; implicit-def: $vgpr0_vgpr1
	v_cmpx_ne_u32_e32 0, v7
	s_xor_b32 s7, exec_lo, s7
; %bb.10217:                            ;   in Loop: Header=BB6_7543 Depth=2
	s_delay_alu instid0(VALU_DEP_2) | instskip(SKIP_1) | instid1(VALU_DEP_1)
	v_cmp_lt_u64_e32 vcc_lo, 0xffffff, v[24:25]
	v_add_nc_u32_e32 v0, 15, v3
	v_cndmask_b32_e32 v2, v7, v0, vcc_lo
	v_cndmask_b32_e64 v0, 0, 1, vcc_lo
	s_delay_alu instid0(VALU_DEP_1)
	v_lshrrev_b64 v[0:1], v0, v[24:25]
; %bb.10218:                            ;   in Loop: Header=BB6_7543 Depth=2
	s_and_not1_saveexec_b32 s7, s7
; %bb.10219:                            ;   in Loop: Header=BB6_7543 Depth=2
	v_mov_b64_e32 v[0:1], v[24:25]
	v_bfe_u32 v2, v24, 23, 1
; %bb.10220:                            ;   in Loop: Header=BB6_7543 Depth=2
	s_or_b32 exec_lo, exec_lo, s7
	s_delay_alu instid0(VALU_DEP_2) | instskip(NEXT) | instid1(VALU_DEP_2)
	v_lshrrev_b64 v[0:1], 21, v[0:1]
	v_cmp_gt_i32_e32 vcc_lo, 32, v2
	v_min_i32_e32 v3, 31, v2
	v_cmp_eq_u32_e64 s7, 0, v2
	s_delay_alu instid0(VALU_DEP_2) | instskip(SKIP_1) | instid1(VALU_DEP_2)
	v_dual_cndmask_b32 v1, 0, v1, vcc_lo :: v_dual_lshlrev_b32 v3, 2, v3
	v_cndmask_b32_e32 v0, 3, v0, vcc_lo
	v_and_b32_e32 v3, 0xfc, v3
	s_delay_alu instid0(VALU_DEP_2) | instskip(NEXT) | instid1(VALU_DEP_2)
	v_cmp_eq_u64_e32 vcc_lo, 0, v[0:1]
	v_and_or_b32 v0, v0, 3, v3
	s_and_b32 s7, s7, vcc_lo
	s_delay_alu instid0(VALU_DEP_1) | instid1(SALU_CYCLE_1)
	v_cndmask_b32_e64 v0, v0, 0, s7
	s_delay_alu instid0(VALU_DEP_1)
	v_or_b32_e32 v86, v0, v6
.LBB6_10221:                            ;   in Loop: Header=BB6_7543 Depth=2
	s_or_b32 exec_lo, exec_lo, s41
                                        ; implicit-def: $vgpr6
.LBB6_10222:                            ;   in Loop: Header=BB6_7543 Depth=2
	s_and_not1_saveexec_b32 s7, s14
; %bb.10223:                            ;   in Loop: Header=BB6_7543 Depth=2
	v_or_b32_e32 v86, 0x7b, v6
; %bb.10224:                            ;   in Loop: Header=BB6_7543 Depth=2
	s_or_b32 exec_lo, exec_lo, s7
                                        ; implicit-def: $vgpr1
                                        ; implicit-def: $vgpr0
.LBB6_10225:                            ;   in Loop: Header=BB6_7543 Depth=2
	s_and_not1_saveexec_b32 s7, s10
	s_cbranch_execz .LBB6_10231
; %bb.10226:                            ;   in Loop: Header=BB6_7543 Depth=2
	s_mov_b32 s10, exec_lo
                                        ; implicit-def: $vgpr86
	v_cmpx_ne_u64_e32 0, v[24:25]
	s_xor_b32 s10, exec_lo, s10
; %bb.10227:                            ;   in Loop: Header=BB6_7543 Depth=2
	v_or_b32_e32 v86, 0x7f, v0
                                        ; implicit-def: $vgpr1
; %bb.10228:                            ;   in Loop: Header=BB6_7543 Depth=2
	s_and_not1_saveexec_b32 s10, s10
; %bb.10229:                            ;   in Loop: Header=BB6_7543 Depth=2
	v_cmp_lt_i32_e32 vcc_lo, -1, v1
	v_cndmask_b32_e32 v86, 0xfc, v41, vcc_lo
; %bb.10230:                            ;   in Loop: Header=BB6_7543 Depth=2
	s_or_b32 exec_lo, exec_lo, s10
.LBB6_10231:                            ;   in Loop: Header=BB6_7543 Depth=2
	s_delay_alu instid0(SALU_CYCLE_1) | instskip(SKIP_4) | instid1(VALU_DEP_2)
	s_or_b32 exec_lo, exec_lo, s7
	v_lshrrev_b32_e32 v2, 16, v4
	v_lshrrev_b32_e32 v0, 16, v20
	s_and_not1_b32 vcc_lo, exec_lo, s13
	s_mov_b32 s10, -1
                                        ; implicit-def: $vgpr3
	v_and_b32_e32 v1, 0xff, v2
	s_delay_alu instid0(VALU_DEP_1)
	v_cmp_ne_u16_e64 s7, 0, v1
	s_cbranch_vccnz .LBB6_10253
; %bb.10232:                            ;   in Loop: Header=BB6_7543 Depth=2
	v_dual_mov_b32 v6, 0 :: v_dual_mov_b32 v3, 0
	s_and_saveexec_b32 s10, s7
	s_cbranch_execz .LBB6_10242
; %bb.10233:                            ;   in Loop: Header=BB6_7543 Depth=2
	v_bfrev_b32_e32 v3, 1
	s_mov_b32 s14, exec_lo
	v_cmpx_ne_u16_e32 0x80, v1
	s_cbranch_execz .LBB6_10241
; %bb.10234:                            ;   in Loop: Header=BB6_7543 Depth=2
	v_and_b32_e32 v3, 0x7c0000, v4
	v_bfe_u32 v7, v4, 16, 2
	s_delay_alu instid0(VALU_DEP_2) | instskip(SKIP_1) | instid1(SALU_CYCLE_1)
	v_cmp_ne_u32_e32 vcc_lo, 0x7c0000, v3
                                        ; implicit-def: $vgpr3
	s_and_saveexec_b32 s41, vcc_lo
	s_xor_b32 s41, exec_lo, s41
	s_cbranch_execz .LBB6_10238
; %bb.10235:                            ;   in Loop: Header=BB6_7543 Depth=2
	v_bfe_u32 v3, v4, 18, 5
	s_mov_b32 s42, exec_lo
	s_delay_alu instid0(VALU_DEP_1)
	v_cmpx_eq_u32_e32 0, v3
; %bb.10236:                            ;   in Loop: Header=BB6_7543 Depth=2
	v_clz_i32_u32_e32 v3, v7
	s_delay_alu instid0(VALU_DEP_1) | instskip(NEXT) | instid1(VALU_DEP_1)
	v_min_u32_e32 v3, 32, v3
	v_subrev_nc_u32_e32 v7, 29, v3
	s_delay_alu instid0(VALU_DEP_1) | instskip(NEXT) | instid1(VALU_DEP_1)
	v_lshlrev_b64_e32 v[96:97], v7, v[2:3]
	v_dual_sub_nc_u32 v3, 30, v3 :: v_dual_bitop2_b32 v7, 3, v96 bitop3:0x40
; %bb.10237:                            ;   in Loop: Header=BB6_7543 Depth=2
	s_or_b32 exec_lo, exec_lo, s42
	v_lshlrev_b32_e32 v24, 24, v2
	s_delay_alu instid0(VALU_DEP_1) | instskip(NEXT) | instid1(VALU_DEP_1)
	v_and_b32_e32 v24, 0x80000000, v24
	v_lshl_add_u32 v3, v3, 23, v24
	s_delay_alu instid0(VALU_DEP_1) | instskip(NEXT) | instid1(VALU_DEP_1)
	v_lshl_or_b32 v3, v7, 21, v3
                                        ; implicit-def: $vgpr7
	v_add_nc_u32_e32 v3, 0x38000000, v3
.LBB6_10238:                            ;   in Loop: Header=BB6_7543 Depth=2
	s_and_not1_saveexec_b32 s41, s41
; %bb.10239:                            ;   in Loop: Header=BB6_7543 Depth=2
	v_bfe_i32 v3, v2, 0, 8
	s_delay_alu instid0(VALU_DEP_1) | instskip(SKIP_2) | instid1(VALU_DEP_2)
	v_cmp_lt_i16_e32 vcc_lo, -1, v3
	v_cndmask_b32_e32 v3, 0xff800000, v75, vcc_lo
	v_cmp_eq_u32_e32 vcc_lo, 0, v7
	v_cndmask_b32_e32 v3, 0x7f800001, v3, vcc_lo
; %bb.10240:                            ;   in Loop: Header=BB6_7543 Depth=2
	s_or_b32 exec_lo, exec_lo, s41
.LBB6_10241:                            ;   in Loop: Header=BB6_7543 Depth=2
	s_delay_alu instid0(SALU_CYCLE_1)
	s_or_b32 exec_lo, exec_lo, s14
.LBB6_10242:                            ;   in Loop: Header=BB6_7543 Depth=2
	s_delay_alu instid0(SALU_CYCLE_1) | instskip(SKIP_2) | instid1(VALU_DEP_1)
	s_or_b32 exec_lo, exec_lo, s10
	v_and_b32_e32 v7, 0xff, v0
	s_mov_b32 s10, exec_lo
	v_cmpx_ne_u16_e32 0, v7
	s_cbranch_execz .LBB6_10252
; %bb.10243:                            ;   in Loop: Header=BB6_7543 Depth=2
	v_bfrev_b32_e32 v6, 1
	s_mov_b32 s14, exec_lo
	v_cmpx_ne_u16_e32 0x80, v7
	s_cbranch_execz .LBB6_10251
; %bb.10244:                            ;   in Loop: Header=BB6_7543 Depth=2
	v_and_b32_e32 v6, 0x7c0000, v20
	v_bfe_u32 v7, v20, 16, 2
	s_delay_alu instid0(VALU_DEP_2) | instskip(SKIP_1) | instid1(SALU_CYCLE_1)
	v_cmp_ne_u32_e32 vcc_lo, 0x7c0000, v6
                                        ; implicit-def: $vgpr6
	s_and_saveexec_b32 s41, vcc_lo
	s_xor_b32 s41, exec_lo, s41
	s_cbranch_execz .LBB6_10248
; %bb.10245:                            ;   in Loop: Header=BB6_7543 Depth=2
	v_bfe_u32 v6, v20, 18, 5
	s_mov_b32 s42, exec_lo
	s_delay_alu instid0(VALU_DEP_1)
	v_cmpx_eq_u32_e32 0, v6
; %bb.10246:                            ;   in Loop: Header=BB6_7543 Depth=2
	v_clz_i32_u32_e32 v6, v7
	s_delay_alu instid0(VALU_DEP_1) | instskip(NEXT) | instid1(VALU_DEP_1)
	v_min_u32_e32 v6, 32, v6
	v_subrev_nc_u32_e32 v7, 29, v6
	s_delay_alu instid0(VALU_DEP_1) | instskip(NEXT) | instid1(VALU_DEP_1)
	v_lshlrev_b64_e32 v[96:97], v7, v[0:1]
	v_dual_sub_nc_u32 v6, 30, v6 :: v_dual_bitop2_b32 v7, 3, v96 bitop3:0x40
; %bb.10247:                            ;   in Loop: Header=BB6_7543 Depth=2
	s_or_b32 exec_lo, exec_lo, s42
	v_lshlrev_b32_e32 v24, 24, v0
	s_delay_alu instid0(VALU_DEP_1) | instskip(NEXT) | instid1(VALU_DEP_1)
	v_and_b32_e32 v24, 0x80000000, v24
	v_lshl_add_u32 v6, v6, 23, v24
	s_delay_alu instid0(VALU_DEP_1) | instskip(NEXT) | instid1(VALU_DEP_1)
	v_lshl_or_b32 v6, v7, 21, v6
                                        ; implicit-def: $vgpr7
	v_add_nc_u32_e32 v6, 0x38000000, v6
.LBB6_10248:                            ;   in Loop: Header=BB6_7543 Depth=2
	s_and_not1_saveexec_b32 s41, s41
; %bb.10249:                            ;   in Loop: Header=BB6_7543 Depth=2
	v_bfe_i32 v6, v0, 0, 8
	s_delay_alu instid0(VALU_DEP_1) | instskip(SKIP_2) | instid1(VALU_DEP_2)
	v_cmp_lt_i16_e32 vcc_lo, -1, v6
	v_cndmask_b32_e32 v6, 0xff800000, v75, vcc_lo
	v_cmp_eq_u32_e32 vcc_lo, 0, v7
	v_cndmask_b32_e32 v6, 0x7f800001, v6, vcc_lo
; %bb.10250:                            ;   in Loop: Header=BB6_7543 Depth=2
	s_or_b32 exec_lo, exec_lo, s41
.LBB6_10251:                            ;   in Loop: Header=BB6_7543 Depth=2
	s_delay_alu instid0(SALU_CYCLE_1)
	s_or_b32 exec_lo, exec_lo, s14
.LBB6_10252:                            ;   in Loop: Header=BB6_7543 Depth=2
	s_delay_alu instid0(SALU_CYCLE_1) | instskip(NEXT) | instid1(VALU_DEP_1)
	s_or_b32 exec_lo, exec_lo, s10
	v_dual_max_num_f32 v6, v6, v6 :: v_dual_max_num_f32 v3, v3, v3
	s_mov_b32 s10, 0
	s_delay_alu instid0(VALU_DEP_1)
	v_max_num_f32_e32 v3, v3, v6
.LBB6_10253:                            ;   in Loop: Header=BB6_7543 Depth=2
	s_and_b32 vcc_lo, exec_lo, s10
	s_cbranch_vccz .LBB6_10275
; %bb.10254:                            ;   in Loop: Header=BB6_7543 Depth=2
	v_dual_mov_b32 v6, 0 :: v_dual_mov_b32 v3, 0
	s_and_saveexec_b32 s10, s7
	s_cbranch_execz .LBB6_10264
; %bb.10255:                            ;   in Loop: Header=BB6_7543 Depth=2
	v_bfrev_b32_e32 v3, 1
	s_mov_b32 s7, exec_lo
	v_cmpx_ne_u16_e32 0x80, v1
	s_cbranch_execz .LBB6_10263
; %bb.10256:                            ;   in Loop: Header=BB6_7543 Depth=2
	v_and_b32_e32 v3, 0x7c0000, v4
	v_bfe_u32 v1, v4, 16, 2
	s_delay_alu instid0(VALU_DEP_2) | instskip(SKIP_1) | instid1(SALU_CYCLE_1)
	v_cmp_ne_u32_e32 vcc_lo, 0x7c0000, v3
                                        ; implicit-def: $vgpr3
	s_and_saveexec_b32 s14, vcc_lo
	s_xor_b32 s14, exec_lo, s14
	s_cbranch_execz .LBB6_10260
; %bb.10257:                            ;   in Loop: Header=BB6_7543 Depth=2
	v_bfe_u32 v3, v4, 18, 5
	s_mov_b32 s41, exec_lo
	s_delay_alu instid0(VALU_DEP_1)
	v_cmpx_eq_u32_e32 0, v3
; %bb.10258:                            ;   in Loop: Header=BB6_7543 Depth=2
	v_clz_i32_u32_e32 v1, v1
	s_delay_alu instid0(VALU_DEP_1) | instskip(NEXT) | instid1(VALU_DEP_1)
	v_min_u32_e32 v1, 32, v1
	v_subrev_nc_u32_e32 v3, 29, v1
	s_delay_alu instid0(VALU_DEP_1) | instskip(NEXT) | instid1(VALU_DEP_1)
	v_lshlrev_b64_e32 v[96:97], v3, v[2:3]
	v_dual_sub_nc_u32 v3, 30, v1 :: v_dual_bitop2_b32 v1, 3, v96 bitop3:0x40
; %bb.10259:                            ;   in Loop: Header=BB6_7543 Depth=2
	s_or_b32 exec_lo, exec_lo, s41
	v_lshlrev_b32_e32 v2, 24, v2
	s_delay_alu instid0(VALU_DEP_1) | instskip(NEXT) | instid1(VALU_DEP_1)
	v_and_b32_e32 v2, 0x80000000, v2
	v_lshl_add_u32 v2, v3, 23, v2
	s_delay_alu instid0(VALU_DEP_1) | instskip(NEXT) | instid1(VALU_DEP_1)
	v_lshl_or_b32 v1, v1, 21, v2
                                        ; implicit-def: $vgpr2
	v_add_nc_u32_e32 v3, 0x38000000, v1
                                        ; implicit-def: $vgpr1
.LBB6_10260:                            ;   in Loop: Header=BB6_7543 Depth=2
	s_and_not1_saveexec_b32 s14, s14
; %bb.10261:                            ;   in Loop: Header=BB6_7543 Depth=2
	v_bfe_i32 v2, v2, 0, 8
	s_delay_alu instid0(VALU_DEP_1) | instskip(SKIP_2) | instid1(VALU_DEP_2)
	v_cmp_lt_i16_e32 vcc_lo, -1, v2
	v_cndmask_b32_e32 v2, 0xff800000, v75, vcc_lo
	v_cmp_eq_u32_e32 vcc_lo, 0, v1
	v_cndmask_b32_e32 v3, 0x7f800001, v2, vcc_lo
; %bb.10262:                            ;   in Loop: Header=BB6_7543 Depth=2
	s_or_b32 exec_lo, exec_lo, s14
.LBB6_10263:                            ;   in Loop: Header=BB6_7543 Depth=2
	s_delay_alu instid0(SALU_CYCLE_1)
	s_or_b32 exec_lo, exec_lo, s7
.LBB6_10264:                            ;   in Loop: Header=BB6_7543 Depth=2
	s_delay_alu instid0(SALU_CYCLE_1) | instskip(SKIP_2) | instid1(VALU_DEP_1)
	s_or_b32 exec_lo, exec_lo, s10
	v_and_b32_e32 v1, 0xff, v0
	s_mov_b32 s7, exec_lo
	v_cmpx_ne_u16_e32 0, v1
	s_cbranch_execz .LBB6_10274
; %bb.10265:                            ;   in Loop: Header=BB6_7543 Depth=2
	v_bfrev_b32_e32 v6, 1
	s_mov_b32 s10, exec_lo
	v_cmpx_ne_u16_e32 0x80, v1
	s_cbranch_execz .LBB6_10273
; %bb.10266:                            ;   in Loop: Header=BB6_7543 Depth=2
	v_and_b32_e32 v2, 0x7c0000, v20
	v_bfe_u32 v1, v20, 16, 2
	s_mov_b32 s14, exec_lo
                                        ; implicit-def: $vgpr6
	s_delay_alu instid0(VALU_DEP_2)
	v_cmpx_ne_u32_e32 0x7c0000, v2
	s_xor_b32 s14, exec_lo, s14
	s_cbranch_execz .LBB6_10270
; %bb.10267:                            ;   in Loop: Header=BB6_7543 Depth=2
	v_bfe_u32 v2, v20, 18, 5
	s_mov_b32 s41, exec_lo
	s_delay_alu instid0(VALU_DEP_1)
	v_cmpx_eq_u32_e32 0, v2
; %bb.10268:                            ;   in Loop: Header=BB6_7543 Depth=2
	v_clz_i32_u32_e32 v1, v1
	s_delay_alu instid0(VALU_DEP_1) | instskip(NEXT) | instid1(VALU_DEP_1)
	v_min_u32_e32 v1, 32, v1
	v_subrev_nc_u32_e32 v2, 29, v1
	s_delay_alu instid0(VALU_DEP_1) | instskip(NEXT) | instid1(VALU_DEP_1)
	v_lshlrev_b64_e32 v[6:7], v2, v[0:1]
	v_dual_sub_nc_u32 v2, 30, v1 :: v_dual_bitop2_b32 v1, 3, v6 bitop3:0x40
; %bb.10269:                            ;   in Loop: Header=BB6_7543 Depth=2
	s_or_b32 exec_lo, exec_lo, s41
	v_lshlrev_b32_e32 v0, 24, v0
	s_delay_alu instid0(VALU_DEP_1) | instskip(NEXT) | instid1(VALU_DEP_1)
	v_and_b32_e32 v0, 0x80000000, v0
	v_lshl_add_u32 v0, v2, 23, v0
	s_delay_alu instid0(VALU_DEP_1) | instskip(NEXT) | instid1(VALU_DEP_1)
	v_lshl_or_b32 v0, v1, 21, v0
                                        ; implicit-def: $vgpr1
	v_add_nc_u32_e32 v6, 0x38000000, v0
                                        ; implicit-def: $vgpr0
.LBB6_10270:                            ;   in Loop: Header=BB6_7543 Depth=2
	s_and_not1_saveexec_b32 s14, s14
; %bb.10271:                            ;   in Loop: Header=BB6_7543 Depth=2
	v_bfe_i32 v0, v0, 0, 8
	s_delay_alu instid0(VALU_DEP_1) | instskip(SKIP_2) | instid1(VALU_DEP_2)
	v_cmp_lt_i16_e32 vcc_lo, -1, v0
	v_cndmask_b32_e32 v0, 0xff800000, v75, vcc_lo
	v_cmp_eq_u32_e32 vcc_lo, 0, v1
	v_cndmask_b32_e32 v6, 0x7f800001, v0, vcc_lo
; %bb.10272:                            ;   in Loop: Header=BB6_7543 Depth=2
	s_or_b32 exec_lo, exec_lo, s14
.LBB6_10273:                            ;   in Loop: Header=BB6_7543 Depth=2
	s_delay_alu instid0(SALU_CYCLE_1)
	s_or_b32 exec_lo, exec_lo, s10
.LBB6_10274:                            ;   in Loop: Header=BB6_7543 Depth=2
	s_delay_alu instid0(SALU_CYCLE_1) | instskip(NEXT) | instid1(VALU_DEP_1)
	s_or_b32 exec_lo, exec_lo, s7
	v_dual_max_num_f32 v0, v6, v6 :: v_dual_max_num_f32 v1, v3, v3
	s_delay_alu instid0(VALU_DEP_1)
	v_min_num_f32_e32 v3, v1, v0
.LBB6_10275:                            ;   in Loop: Header=BB6_7543 Depth=2
	s_delay_alu instid0(VALU_DEP_1) | instskip(SKIP_2) | instid1(VALU_DEP_2)
	v_and_b32_e32 v0, 0x7f800000, v3
	v_mov_b32_e32 v1, v25
	v_and_b32_e32 v24, 0x7fffff, v3
                                        ; implicit-def: $vgpr87
	v_cmp_ne_u64_e32 vcc_lo, 0x7f800000, v[0:1]
	v_lshrrev_b32_e32 v0, 24, v3
	s_and_saveexec_b32 s7, vcc_lo
	s_delay_alu instid0(SALU_CYCLE_1)
	s_xor_b32 s10, exec_lo, s7
	s_cbranch_execz .LBB6_10289
; %bb.10276:                            ;   in Loop: Header=BB6_7543 Depth=2
	v_and_b32_e32 v6, 0x7fffffff, v3
	v_mov_b32_e32 v7, v25
                                        ; implicit-def: $vgpr87
	s_delay_alu instid0(VALU_DEP_1) | instskip(SKIP_2) | instid1(SALU_CYCLE_1)
	v_cmp_gt_u64_e32 vcc_lo, 0x47600001, v[6:7]
	v_and_b32_e32 v6, 0x80, v0
	s_and_saveexec_b32 s7, vcc_lo
	s_xor_b32 s14, exec_lo, s7
	s_cbranch_execz .LBB6_10286
; %bb.10277:                            ;   in Loop: Header=BB6_7543 Depth=2
	v_mov_b32_e32 v87, 0
	s_mov_b32 s41, exec_lo
	v_cmpx_ne_u32_e32 0, v3
	s_cbranch_execz .LBB6_10285
; %bb.10278:                            ;   in Loop: Header=BB6_7543 Depth=2
	v_bfe_u32 v7, v3, 23, 8
	v_or_b32_e32 v2, 0x800000, v24
	s_delay_alu instid0(VALU_DEP_2) | instskip(SKIP_1) | instid1(VALU_DEP_2)
	v_sub_nc_u32_e32 v0, 0x71, v7
	v_cmp_gt_u32_e32 vcc_lo, 0x72, v7
	v_cndmask_b32_e32 v0, 0, v0, vcc_lo
	v_cmp_eq_u32_e32 vcc_lo, 0, v7
	s_delay_alu instid0(VALU_DEP_2) | instskip(NEXT) | instid1(VALU_DEP_1)
	v_cndmask_b32_e64 v87, v0, 0x70, vcc_lo
	v_dual_cndmask_b32 v24, v2, v24, vcc_lo :: v_dual_add_nc_u32 v0, 21, v87
	v_add_nc_u32_e32 v3, 20, v87
	s_delay_alu instid0(VALU_DEP_2) | instskip(NEXT) | instid1(VALU_DEP_2)
	v_lshlrev_b64_e64 v[0:1], v0, -1
	v_lshlrev_b64_e64 v[2:3], v3, 1
	s_delay_alu instid0(VALU_DEP_2) | instskip(NEXT) | instid1(VALU_DEP_3)
	v_bfi_b32 v97, v1, 0, 0
	v_bfi_b32 v96, v0, 0, v24
	v_lshrrev_b64 v[0:1], v87, v[24:25]
	s_delay_alu instid0(VALU_DEP_2) | instskip(NEXT) | instid1(VALU_DEP_2)
	v_cmp_eq_u64_e64 s7, v[96:97], v[2:3]
	v_mov_b64_e32 v[2:3], v[0:1]
	s_and_saveexec_b32 s42, s7
; %bb.10279:                            ;   in Loop: Header=BB6_7543 Depth=2
	v_bfe_u32 v24, v0, 21, 1
	s_delay_alu instid0(VALU_DEP_1) | instskip(NEXT) | instid1(VALU_DEP_1)
	v_add_nc_u64_e32 v[2:3], v[0:1], v[24:25]
	v_add_nc_u64_e32 v[2:3], -1, v[2:3]
; %bb.10280:                            ;   in Loop: Header=BB6_7543 Depth=2
	s_or_b32 exec_lo, exec_lo, s42
	v_add_nc_u32_e32 v1, 0xffffff81, v7
	v_lshrrev_b32_e32 v3, 23, v0
	s_mov_b32 s7, exec_lo
	s_delay_alu instid0(VALU_DEP_2) | instskip(NEXT) | instid1(VALU_DEP_1)
	v_cndmask_b32_e64 v1, v1, 0xffffff82, vcc_lo
	v_add3_u32 v3, v87, v1, v3
	v_and_b32_e32 v1, 0x1fffff, v2
                                        ; implicit-def: $vgpr2
	s_delay_alu instid0(VALU_DEP_1) | instskip(NEXT) | instid1(VALU_DEP_1)
	v_dual_add_nc_u32 v7, 14, v3 :: v_dual_add_nc_u32 v24, v1, v0
                                        ; implicit-def: $vgpr0_vgpr1
	v_cmpx_ne_u32_e32 0, v7
	s_xor_b32 s7, exec_lo, s7
; %bb.10281:                            ;   in Loop: Header=BB6_7543 Depth=2
	s_delay_alu instid0(VALU_DEP_2) | instskip(SKIP_1) | instid1(VALU_DEP_1)
	v_cmp_lt_u64_e32 vcc_lo, 0xffffff, v[24:25]
	v_add_nc_u32_e32 v0, 15, v3
	v_cndmask_b32_e32 v2, v7, v0, vcc_lo
	v_cndmask_b32_e64 v0, 0, 1, vcc_lo
	s_delay_alu instid0(VALU_DEP_1)
	v_lshrrev_b64 v[0:1], v0, v[24:25]
; %bb.10282:                            ;   in Loop: Header=BB6_7543 Depth=2
	s_and_not1_saveexec_b32 s7, s7
; %bb.10283:                            ;   in Loop: Header=BB6_7543 Depth=2
	v_mov_b64_e32 v[0:1], v[24:25]
	v_bfe_u32 v2, v24, 23, 1
; %bb.10284:                            ;   in Loop: Header=BB6_7543 Depth=2
	s_or_b32 exec_lo, exec_lo, s7
	s_delay_alu instid0(VALU_DEP_2) | instskip(NEXT) | instid1(VALU_DEP_2)
	v_lshrrev_b64 v[0:1], 21, v[0:1]
	v_cmp_gt_i32_e32 vcc_lo, 32, v2
	v_min_i32_e32 v3, 31, v2
	v_cmp_eq_u32_e64 s7, 0, v2
	s_delay_alu instid0(VALU_DEP_2) | instskip(SKIP_1) | instid1(VALU_DEP_2)
	v_dual_cndmask_b32 v1, 0, v1, vcc_lo :: v_dual_lshlrev_b32 v3, 2, v3
	v_cndmask_b32_e32 v0, 3, v0, vcc_lo
	v_and_b32_e32 v3, 0xfc, v3
	s_delay_alu instid0(VALU_DEP_2) | instskip(NEXT) | instid1(VALU_DEP_2)
	v_cmp_eq_u64_e32 vcc_lo, 0, v[0:1]
	v_and_or_b32 v0, v0, 3, v3
	s_and_b32 s7, s7, vcc_lo
	s_delay_alu instid0(VALU_DEP_1) | instid1(SALU_CYCLE_1)
	v_cndmask_b32_e64 v0, v0, 0, s7
	s_delay_alu instid0(VALU_DEP_1)
	v_or_b32_e32 v87, v0, v6
.LBB6_10285:                            ;   in Loop: Header=BB6_7543 Depth=2
	s_or_b32 exec_lo, exec_lo, s41
                                        ; implicit-def: $vgpr6
.LBB6_10286:                            ;   in Loop: Header=BB6_7543 Depth=2
	s_and_not1_saveexec_b32 s7, s14
; %bb.10287:                            ;   in Loop: Header=BB6_7543 Depth=2
	v_or_b32_e32 v87, 0x7b, v6
; %bb.10288:                            ;   in Loop: Header=BB6_7543 Depth=2
	s_or_b32 exec_lo, exec_lo, s7
                                        ; implicit-def: $vgpr3
                                        ; implicit-def: $vgpr0
.LBB6_10289:                            ;   in Loop: Header=BB6_7543 Depth=2
	s_and_not1_saveexec_b32 s7, s10
	s_cbranch_execz .LBB6_10295
; %bb.10290:                            ;   in Loop: Header=BB6_7543 Depth=2
	s_mov_b32 s10, exec_lo
                                        ; implicit-def: $vgpr87
	v_cmpx_ne_u64_e32 0, v[24:25]
	s_xor_b32 s10, exec_lo, s10
; %bb.10291:                            ;   in Loop: Header=BB6_7543 Depth=2
	v_or_b32_e32 v87, 0x7f, v0
                                        ; implicit-def: $vgpr3
; %bb.10292:                            ;   in Loop: Header=BB6_7543 Depth=2
	s_and_not1_saveexec_b32 s10, s10
; %bb.10293:                            ;   in Loop: Header=BB6_7543 Depth=2
	v_cmp_lt_i32_e32 vcc_lo, -1, v3
	v_cndmask_b32_e32 v87, 0xfc, v41, vcc_lo
; %bb.10294:                            ;   in Loop: Header=BB6_7543 Depth=2
	s_or_b32 exec_lo, exec_lo, s10
.LBB6_10295:                            ;   in Loop: Header=BB6_7543 Depth=2
	s_delay_alu instid0(SALU_CYCLE_1)
	s_or_b32 exec_lo, exec_lo, s7
	v_lshrrev_b32_e32 v2, 24, v4
	v_lshrrev_b32_e32 v0, 24, v20
	v_cmp_lt_u32_e64 s7, 0xffffff, v4
	s_and_not1_b32 vcc_lo, exec_lo, s13
	s_mov_b32 s10, -1
                                        ; implicit-def: $vgpr1
	s_cbranch_vccnz .LBB6_10317
; %bb.10296:                            ;   in Loop: Header=BB6_7543 Depth=2
	v_dual_mov_b32 v3, 0 :: v_dual_mov_b32 v1, 0
	s_and_saveexec_b32 s10, s7
	s_cbranch_execz .LBB6_10306
; %bb.10297:                            ;   in Loop: Header=BB6_7543 Depth=2
	v_bfrev_b32_e32 v1, 1
	s_mov_b32 s14, exec_lo
	v_cmpx_ne_u32_e32 0x80, v2
	s_cbranch_execz .LBB6_10305
; %bb.10298:                            ;   in Loop: Header=BB6_7543 Depth=2
	v_and_b32_e32 v1, 0x7c000000, v4
	v_bfe_u32 v6, v4, 24, 2
	s_delay_alu instid0(VALU_DEP_2) | instskip(SKIP_1) | instid1(SALU_CYCLE_1)
	v_cmp_ne_u32_e32 vcc_lo, 0x7c000000, v1
                                        ; implicit-def: $vgpr1
	s_and_saveexec_b32 s41, vcc_lo
	s_xor_b32 s41, exec_lo, s41
	s_cbranch_execz .LBB6_10302
; %bb.10299:                            ;   in Loop: Header=BB6_7543 Depth=2
	v_bfe_u32 v1, v4, 26, 5
	s_mov_b32 s42, exec_lo
	s_delay_alu instid0(VALU_DEP_1)
	v_cmpx_eq_u32_e32 0, v1
; %bb.10300:                            ;   in Loop: Header=BB6_7543 Depth=2
	v_clz_i32_u32_e32 v1, v6
	s_delay_alu instid0(VALU_DEP_1) | instskip(NEXT) | instid1(VALU_DEP_1)
	v_min_u32_e32 v1, 32, v1
	v_subrev_nc_u32_e32 v6, 29, v1
	s_delay_alu instid0(VALU_DEP_1) | instskip(NEXT) | instid1(VALU_DEP_1)
	v_lshlrev_b64_e32 v[6:7], v6, v[2:3]
	v_dual_sub_nc_u32 v1, 30, v1 :: v_dual_bitop2_b32 v6, 3, v6 bitop3:0x40
; %bb.10301:                            ;   in Loop: Header=BB6_7543 Depth=2
	s_or_b32 exec_lo, exec_lo, s42
	v_and_b32_e32 v7, 0x80000000, v4
	s_delay_alu instid0(VALU_DEP_1) | instskip(NEXT) | instid1(VALU_DEP_1)
	v_lshl_add_u32 v1, v1, 23, v7
	v_lshl_or_b32 v1, v6, 21, v1
                                        ; implicit-def: $vgpr6
	s_delay_alu instid0(VALU_DEP_1)
	v_add_nc_u32_e32 v1, 0x38000000, v1
.LBB6_10302:                            ;   in Loop: Header=BB6_7543 Depth=2
	s_and_not1_saveexec_b32 s41, s41
; %bb.10303:                            ;   in Loop: Header=BB6_7543 Depth=2
	v_cmp_lt_i32_e32 vcc_lo, -1, v4
	v_cndmask_b32_e32 v1, 0xff800000, v75, vcc_lo
	v_cmp_eq_u32_e32 vcc_lo, 0, v6
	s_delay_alu instid0(VALU_DEP_2)
	v_cndmask_b32_e32 v1, 0x7f800001, v1, vcc_lo
; %bb.10304:                            ;   in Loop: Header=BB6_7543 Depth=2
	s_or_b32 exec_lo, exec_lo, s41
.LBB6_10305:                            ;   in Loop: Header=BB6_7543 Depth=2
	s_delay_alu instid0(SALU_CYCLE_1)
	s_or_b32 exec_lo, exec_lo, s14
.LBB6_10306:                            ;   in Loop: Header=BB6_7543 Depth=2
	s_delay_alu instid0(SALU_CYCLE_1) | instskip(NEXT) | instid1(SALU_CYCLE_1)
	s_or_b32 exec_lo, exec_lo, s10
	s_mov_b32 s10, exec_lo
	v_cmpx_lt_u32_e32 0xffffff, v20
	s_cbranch_execz .LBB6_10316
; %bb.10307:                            ;   in Loop: Header=BB6_7543 Depth=2
	v_bfrev_b32_e32 v3, 1
	s_mov_b32 s14, exec_lo
	v_cmpx_ne_u32_e32 0x80, v0
	s_cbranch_execz .LBB6_10315
; %bb.10308:                            ;   in Loop: Header=BB6_7543 Depth=2
	v_and_b32_e32 v3, 0x7c000000, v20
	v_bfe_u32 v6, v20, 24, 2
	s_delay_alu instid0(VALU_DEP_2) | instskip(SKIP_1) | instid1(SALU_CYCLE_1)
	v_cmp_ne_u32_e32 vcc_lo, 0x7c000000, v3
                                        ; implicit-def: $vgpr3
	s_and_saveexec_b32 s41, vcc_lo
	s_xor_b32 s41, exec_lo, s41
	s_cbranch_execz .LBB6_10312
; %bb.10309:                            ;   in Loop: Header=BB6_7543 Depth=2
	v_bfe_u32 v3, v20, 26, 5
	s_mov_b32 s42, exec_lo
	s_delay_alu instid0(VALU_DEP_1)
	v_cmpx_eq_u32_e32 0, v3
; %bb.10310:                            ;   in Loop: Header=BB6_7543 Depth=2
	v_clz_i32_u32_e32 v3, v6
	s_delay_alu instid0(VALU_DEP_1) | instskip(NEXT) | instid1(VALU_DEP_1)
	v_min_u32_e32 v3, 32, v3
	v_subrev_nc_u32_e32 v6, 29, v3
	s_delay_alu instid0(VALU_DEP_1) | instskip(NEXT) | instid1(VALU_DEP_1)
	v_lshlrev_b64_e32 v[6:7], v6, v[0:1]
	v_dual_sub_nc_u32 v3, 30, v3 :: v_dual_bitop2_b32 v6, 3, v6 bitop3:0x40
; %bb.10311:                            ;   in Loop: Header=BB6_7543 Depth=2
	s_or_b32 exec_lo, exec_lo, s42
	v_and_b32_e32 v7, 0x80000000, v20
	s_delay_alu instid0(VALU_DEP_1) | instskip(NEXT) | instid1(VALU_DEP_1)
	v_lshl_add_u32 v3, v3, 23, v7
	v_lshl_or_b32 v3, v6, 21, v3
                                        ; implicit-def: $vgpr6
	s_delay_alu instid0(VALU_DEP_1)
	v_add_nc_u32_e32 v3, 0x38000000, v3
.LBB6_10312:                            ;   in Loop: Header=BB6_7543 Depth=2
	s_and_not1_saveexec_b32 s41, s41
; %bb.10313:                            ;   in Loop: Header=BB6_7543 Depth=2
	v_cmp_lt_i32_e32 vcc_lo, -1, v20
	v_cndmask_b32_e32 v3, 0xff800000, v75, vcc_lo
	v_cmp_eq_u32_e32 vcc_lo, 0, v6
	s_delay_alu instid0(VALU_DEP_2)
	v_cndmask_b32_e32 v3, 0x7f800001, v3, vcc_lo
; %bb.10314:                            ;   in Loop: Header=BB6_7543 Depth=2
	s_or_b32 exec_lo, exec_lo, s41
.LBB6_10315:                            ;   in Loop: Header=BB6_7543 Depth=2
	s_delay_alu instid0(SALU_CYCLE_1)
	s_or_b32 exec_lo, exec_lo, s14
.LBB6_10316:                            ;   in Loop: Header=BB6_7543 Depth=2
	s_delay_alu instid0(SALU_CYCLE_1) | instskip(NEXT) | instid1(VALU_DEP_1)
	s_or_b32 exec_lo, exec_lo, s10
	v_dual_max_num_f32 v3, v3, v3 :: v_dual_max_num_f32 v1, v1, v1
	s_mov_b32 s10, 0
	s_delay_alu instid0(VALU_DEP_1)
	v_max_num_f32_e32 v1, v1, v3
.LBB6_10317:                            ;   in Loop: Header=BB6_7543 Depth=2
	s_and_b32 vcc_lo, exec_lo, s10
	s_cbranch_vccz .LBB6_10339
; %bb.10318:                            ;   in Loop: Header=BB6_7543 Depth=2
	v_dual_mov_b32 v3, 0 :: v_dual_mov_b32 v1, 0
	s_and_saveexec_b32 s10, s7
	s_cbranch_execz .LBB6_10328
; %bb.10319:                            ;   in Loop: Header=BB6_7543 Depth=2
	v_bfrev_b32_e32 v1, 1
	s_mov_b32 s7, exec_lo
	v_cmpx_ne_u32_e32 0x80, v2
	s_cbranch_execz .LBB6_10327
; %bb.10320:                            ;   in Loop: Header=BB6_7543 Depth=2
	v_and_b32_e32 v1, 0x7c000000, v4
	v_bfe_u32 v6, v4, 24, 2
	s_delay_alu instid0(VALU_DEP_2) | instskip(SKIP_1) | instid1(SALU_CYCLE_1)
	v_cmp_ne_u32_e32 vcc_lo, 0x7c000000, v1
                                        ; implicit-def: $vgpr1
	s_and_saveexec_b32 s14, vcc_lo
	s_xor_b32 s14, exec_lo, s14
	s_cbranch_execz .LBB6_10324
; %bb.10321:                            ;   in Loop: Header=BB6_7543 Depth=2
	v_bfe_u32 v1, v4, 26, 5
	s_mov_b32 s41, exec_lo
	s_delay_alu instid0(VALU_DEP_1)
	v_cmpx_eq_u32_e32 0, v1
; %bb.10322:                            ;   in Loop: Header=BB6_7543 Depth=2
	v_clz_i32_u32_e32 v1, v6
	s_delay_alu instid0(VALU_DEP_1) | instskip(NEXT) | instid1(VALU_DEP_1)
	v_min_u32_e32 v1, 32, v1
	v_subrev_nc_u32_e32 v6, 29, v1
	s_delay_alu instid0(VALU_DEP_1) | instskip(NEXT) | instid1(VALU_DEP_1)
	v_lshlrev_b64_e32 v[6:7], v6, v[2:3]
	v_dual_sub_nc_u32 v1, 30, v1 :: v_dual_bitop2_b32 v6, 3, v6 bitop3:0x40
; %bb.10323:                            ;   in Loop: Header=BB6_7543 Depth=2
	s_or_b32 exec_lo, exec_lo, s41
	v_and_b32_e32 v2, 0x80000000, v4
	s_delay_alu instid0(VALU_DEP_1) | instskip(NEXT) | instid1(VALU_DEP_1)
	v_lshl_add_u32 v1, v1, 23, v2
	v_lshl_or_b32 v1, v6, 21, v1
                                        ; implicit-def: $vgpr6
	s_delay_alu instid0(VALU_DEP_1)
	v_add_nc_u32_e32 v1, 0x38000000, v1
.LBB6_10324:                            ;   in Loop: Header=BB6_7543 Depth=2
	s_and_not1_saveexec_b32 s14, s14
; %bb.10325:                            ;   in Loop: Header=BB6_7543 Depth=2
	v_cmp_lt_i32_e32 vcc_lo, -1, v4
	v_cndmask_b32_e32 v1, 0xff800000, v75, vcc_lo
	v_cmp_eq_u32_e32 vcc_lo, 0, v6
	s_delay_alu instid0(VALU_DEP_2)
	v_cndmask_b32_e32 v1, 0x7f800001, v1, vcc_lo
; %bb.10326:                            ;   in Loop: Header=BB6_7543 Depth=2
	s_or_b32 exec_lo, exec_lo, s14
.LBB6_10327:                            ;   in Loop: Header=BB6_7543 Depth=2
	s_delay_alu instid0(SALU_CYCLE_1)
	s_or_b32 exec_lo, exec_lo, s7
.LBB6_10328:                            ;   in Loop: Header=BB6_7543 Depth=2
	s_delay_alu instid0(SALU_CYCLE_1) | instskip(NEXT) | instid1(SALU_CYCLE_1)
	s_or_b32 exec_lo, exec_lo, s10
	s_mov_b32 s7, exec_lo
	v_cmpx_lt_u32_e32 0xffffff, v20
	s_cbranch_execz .LBB6_10338
; %bb.10329:                            ;   in Loop: Header=BB6_7543 Depth=2
	v_bfrev_b32_e32 v3, 1
	s_mov_b32 s10, exec_lo
	v_cmpx_ne_u32_e32 0x80, v0
	s_cbranch_execz .LBB6_10337
; %bb.10330:                            ;   in Loop: Header=BB6_7543 Depth=2
	v_and_b32_e32 v3, 0x7c000000, v20
	v_bfe_u32 v2, v20, 24, 2
	s_delay_alu instid0(VALU_DEP_2) | instskip(SKIP_1) | instid1(SALU_CYCLE_1)
	v_cmp_ne_u32_e32 vcc_lo, 0x7c000000, v3
                                        ; implicit-def: $vgpr3
	s_and_saveexec_b32 s14, vcc_lo
	s_xor_b32 s14, exec_lo, s14
	s_cbranch_execz .LBB6_10334
; %bb.10331:                            ;   in Loop: Header=BB6_7543 Depth=2
	v_bfe_u32 v3, v20, 26, 5
	s_mov_b32 s41, exec_lo
	s_delay_alu instid0(VALU_DEP_1)
	v_cmpx_eq_u32_e32 0, v3
; %bb.10332:                            ;   in Loop: Header=BB6_7543 Depth=2
	v_clz_i32_u32_e32 v2, v2
	s_delay_alu instid0(VALU_DEP_1) | instskip(NEXT) | instid1(VALU_DEP_1)
	v_min_u32_e32 v6, 32, v2
	v_subrev_nc_u32_e32 v2, 29, v6
	s_delay_alu instid0(VALU_DEP_1) | instskip(SKIP_1) | instid1(VALU_DEP_2)
	v_lshlrev_b64_e32 v[2:3], v2, v[0:1]
	v_sub_nc_u32_e32 v3, 30, v6
	v_and_b32_e32 v2, 3, v2
; %bb.10333:                            ;   in Loop: Header=BB6_7543 Depth=2
	s_or_b32 exec_lo, exec_lo, s41
	v_and_b32_e32 v0, 0x80000000, v20
	s_delay_alu instid0(VALU_DEP_1) | instskip(NEXT) | instid1(VALU_DEP_1)
	v_lshl_add_u32 v0, v3, 23, v0
	v_lshl_or_b32 v0, v2, 21, v0
                                        ; implicit-def: $vgpr2
	s_delay_alu instid0(VALU_DEP_1)
	v_add_nc_u32_e32 v3, 0x38000000, v0
.LBB6_10334:                            ;   in Loop: Header=BB6_7543 Depth=2
	s_and_not1_saveexec_b32 s14, s14
; %bb.10335:                            ;   in Loop: Header=BB6_7543 Depth=2
	v_cmp_lt_i32_e32 vcc_lo, -1, v20
	v_cndmask_b32_e32 v0, 0xff800000, v75, vcc_lo
	v_cmp_eq_u32_e32 vcc_lo, 0, v2
	s_delay_alu instid0(VALU_DEP_2)
	v_cndmask_b32_e32 v3, 0x7f800001, v0, vcc_lo
; %bb.10336:                            ;   in Loop: Header=BB6_7543 Depth=2
	s_or_b32 exec_lo, exec_lo, s14
.LBB6_10337:                            ;   in Loop: Header=BB6_7543 Depth=2
	s_delay_alu instid0(SALU_CYCLE_1)
	s_or_b32 exec_lo, exec_lo, s10
.LBB6_10338:                            ;   in Loop: Header=BB6_7543 Depth=2
	s_delay_alu instid0(SALU_CYCLE_1) | instskip(NEXT) | instid1(VALU_DEP_1)
	s_or_b32 exec_lo, exec_lo, s7
	v_dual_max_num_f32 v0, v3, v3 :: v_dual_max_num_f32 v1, v1, v1
	s_delay_alu instid0(VALU_DEP_1)
	v_min_num_f32_e32 v1, v1, v0
.LBB6_10339:                            ;   in Loop: Header=BB6_7543 Depth=2
	s_delay_alu instid0(VALU_DEP_1) | instskip(SKIP_3) | instid1(VALU_DEP_2)
	v_and_b32_e32 v2, 0x7f800000, v1
	v_dual_mov_b32 v3, v25 :: v_dual_lshrrev_b32 v0, 24, v1
	v_and_b32_e32 v24, 0x7fffff, v1
                                        ; implicit-def: $vgpr96
	s_mov_b32 s7, exec_lo
	v_cmpx_ne_u64_e32 0x7f800000, v[2:3]
	s_xor_b32 s10, exec_lo, s7
	s_cbranch_execz .LBB6_10353
; %bb.10340:                            ;   in Loop: Header=BB6_7543 Depth=2
	v_and_b32_e32 v2, 0x7fffffff, v1
	v_mov_b32_e32 v3, v25
	v_and_b32_e32 v6, 0x80, v0
                                        ; implicit-def: $vgpr96
	s_mov_b32 s7, exec_lo
	s_delay_alu instid0(VALU_DEP_2)
	v_cmpx_gt_u64_e32 0x47600001, v[2:3]
	s_xor_b32 s14, exec_lo, s7
	s_cbranch_execz .LBB6_10350
; %bb.10341:                            ;   in Loop: Header=BB6_7543 Depth=2
	v_mov_b32_e32 v96, 0
	s_mov_b32 s41, exec_lo
	v_cmpx_ne_u32_e32 0, v1
	s_cbranch_execz .LBB6_10349
; %bb.10342:                            ;   in Loop: Header=BB6_7543 Depth=2
	v_bfe_u32 v7, v1, 23, 8
	v_or_b32_e32 v1, 0x800000, v24
	s_delay_alu instid0(VALU_DEP_2) | instskip(SKIP_2) | instid1(VALU_DEP_2)
	v_cmp_gt_u32_e64 s7, 0x72, v7
	v_sub_nc_u32_e32 v0, 0x71, v7
	v_cmp_eq_u32_e32 vcc_lo, 0, v7
	v_cndmask_b32_e64 v0, 0, v0, s7
	v_cndmask_b32_e32 v24, v1, v24, vcc_lo
	s_delay_alu instid0(VALU_DEP_2) | instskip(NEXT) | instid1(VALU_DEP_1)
	v_cndmask_b32_e64 v96, v0, 0x70, vcc_lo
	v_dual_add_nc_u32 v0, 21, v96 :: v_dual_add_nc_u32 v2, 20, v96
	s_delay_alu instid0(VALU_DEP_1) | instskip(NEXT) | instid1(VALU_DEP_2)
	v_lshlrev_b64_e64 v[0:1], v0, -1
	v_lshlrev_b64_e64 v[2:3], v2, 1
	s_delay_alu instid0(VALU_DEP_2) | instskip(NEXT) | instid1(VALU_DEP_3)
	v_bfi_b32 v1, v1, 0, 0
	v_bfi_b32 v0, v0, 0, v24
	s_delay_alu instid0(VALU_DEP_1) | instskip(SKIP_1) | instid1(VALU_DEP_1)
	v_cmp_eq_u64_e64 s7, v[0:1], v[2:3]
	v_lshrrev_b64 v[0:1], v96, v[24:25]
	v_mov_b64_e32 v[2:3], v[0:1]
	s_and_saveexec_b32 s42, s7
; %bb.10343:                            ;   in Loop: Header=BB6_7543 Depth=2
	v_bfe_u32 v24, v0, 21, 1
	s_delay_alu instid0(VALU_DEP_1) | instskip(NEXT) | instid1(VALU_DEP_1)
	v_add_nc_u64_e32 v[2:3], v[0:1], v[24:25]
	v_add_nc_u64_e32 v[2:3], -1, v[2:3]
; %bb.10344:                            ;   in Loop: Header=BB6_7543 Depth=2
	s_or_b32 exec_lo, exec_lo, s42
	v_add_nc_u32_e32 v1, 0xffffff81, v7
	v_lshrrev_b32_e32 v3, 23, v0
	s_mov_b32 s7, exec_lo
	s_delay_alu instid0(VALU_DEP_2) | instskip(NEXT) | instid1(VALU_DEP_1)
	v_cndmask_b32_e64 v1, v1, 0xffffff82, vcc_lo
	v_add3_u32 v3, v96, v1, v3
	v_and_b32_e32 v1, 0x1fffff, v2
                                        ; implicit-def: $vgpr2
	s_delay_alu instid0(VALU_DEP_1) | instskip(NEXT) | instid1(VALU_DEP_1)
	v_dual_add_nc_u32 v7, 14, v3 :: v_dual_add_nc_u32 v24, v1, v0
                                        ; implicit-def: $vgpr0_vgpr1
	v_cmpx_ne_u32_e32 0, v7
	s_xor_b32 s7, exec_lo, s7
; %bb.10345:                            ;   in Loop: Header=BB6_7543 Depth=2
	s_delay_alu instid0(VALU_DEP_2) | instskip(SKIP_1) | instid1(VALU_DEP_1)
	v_cmp_lt_u64_e32 vcc_lo, 0xffffff, v[24:25]
	v_add_nc_u32_e32 v0, 15, v3
	v_cndmask_b32_e32 v2, v7, v0, vcc_lo
	v_cndmask_b32_e64 v0, 0, 1, vcc_lo
	s_delay_alu instid0(VALU_DEP_1)
	v_lshrrev_b64 v[0:1], v0, v[24:25]
; %bb.10346:                            ;   in Loop: Header=BB6_7543 Depth=2
	s_and_not1_saveexec_b32 s7, s7
; %bb.10347:                            ;   in Loop: Header=BB6_7543 Depth=2
	v_mov_b64_e32 v[0:1], v[24:25]
	v_bfe_u32 v2, v24, 23, 1
; %bb.10348:                            ;   in Loop: Header=BB6_7543 Depth=2
	s_or_b32 exec_lo, exec_lo, s7
	s_delay_alu instid0(VALU_DEP_2) | instskip(NEXT) | instid1(VALU_DEP_2)
	v_lshrrev_b64 v[0:1], 21, v[0:1]
	v_cmp_gt_i32_e32 vcc_lo, 32, v2
	v_min_i32_e32 v3, 31, v2
	v_cmp_eq_u32_e64 s7, 0, v2
	s_delay_alu instid0(VALU_DEP_2) | instskip(SKIP_1) | instid1(VALU_DEP_2)
	v_dual_cndmask_b32 v1, 0, v1, vcc_lo :: v_dual_lshlrev_b32 v3, 2, v3
	v_cndmask_b32_e32 v0, 3, v0, vcc_lo
	v_and_b32_e32 v3, 0xfc, v3
	s_delay_alu instid0(VALU_DEP_2) | instskip(NEXT) | instid1(VALU_DEP_2)
	v_cmp_eq_u64_e32 vcc_lo, 0, v[0:1]
	v_and_or_b32 v0, v0, 3, v3
	s_and_b32 s7, s7, vcc_lo
	s_delay_alu instid0(VALU_DEP_1) | instid1(SALU_CYCLE_1)
	v_cndmask_b32_e64 v0, v0, 0, s7
	s_delay_alu instid0(VALU_DEP_1)
	v_or_b32_e32 v96, v0, v6
.LBB6_10349:                            ;   in Loop: Header=BB6_7543 Depth=2
	s_or_b32 exec_lo, exec_lo, s41
                                        ; implicit-def: $vgpr6
.LBB6_10350:                            ;   in Loop: Header=BB6_7543 Depth=2
	s_and_not1_saveexec_b32 s7, s14
; %bb.10351:                            ;   in Loop: Header=BB6_7543 Depth=2
	v_or_b32_e32 v96, 0x7b, v6
; %bb.10352:                            ;   in Loop: Header=BB6_7543 Depth=2
	s_or_b32 exec_lo, exec_lo, s7
                                        ; implicit-def: $vgpr1
                                        ; implicit-def: $vgpr0
.LBB6_10353:                            ;   in Loop: Header=BB6_7543 Depth=2
	s_and_not1_saveexec_b32 s7, s10
	s_cbranch_execz .LBB6_10359
; %bb.10354:                            ;   in Loop: Header=BB6_7543 Depth=2
	s_mov_b32 s10, exec_lo
                                        ; implicit-def: $vgpr96
	v_cmpx_ne_u64_e32 0, v[24:25]
	s_xor_b32 s10, exec_lo, s10
; %bb.10355:                            ;   in Loop: Header=BB6_7543 Depth=2
	v_or_b32_e32 v96, 0x7f, v0
                                        ; implicit-def: $vgpr1
; %bb.10356:                            ;   in Loop: Header=BB6_7543 Depth=2
	s_and_not1_saveexec_b32 s10, s10
; %bb.10357:                            ;   in Loop: Header=BB6_7543 Depth=2
	v_cmp_lt_i32_e32 vcc_lo, -1, v1
	v_cndmask_b32_e32 v96, 0xfc, v41, vcc_lo
; %bb.10358:                            ;   in Loop: Header=BB6_7543 Depth=2
	s_or_b32 exec_lo, exec_lo, s10
.LBB6_10359:                            ;   in Loop: Header=BB6_7543 Depth=2
	s_delay_alu instid0(SALU_CYCLE_1) | instskip(SKIP_4) | instid1(VALU_DEP_3)
	s_or_b32 exec_lo, exec_lo, s7
	v_and_b32_e32 v2, 0xff, v5
	v_dual_mov_b32 v24, v5 :: v_dual_mov_b32 v0, v21
	v_mov_b32_e32 v1, v25
	s_and_not1_b32 vcc_lo, exec_lo, s13
	v_cmp_ne_u16_e64 s7, 0, v2
	s_mov_b32 s10, -1
                                        ; implicit-def: $vgpr6
	s_cbranch_vccnz .LBB6_10381
; %bb.10360:                            ;   in Loop: Header=BB6_7543 Depth=2
	v_dual_mov_b32 v6, 0 :: v_dual_mov_b32 v3, 0
	s_and_saveexec_b32 s10, s7
	s_cbranch_execz .LBB6_10370
; %bb.10361:                            ;   in Loop: Header=BB6_7543 Depth=2
	v_bfrev_b32_e32 v3, 1
	s_mov_b32 s14, exec_lo
	v_cmpx_ne_u16_e32 0x80, v2
	s_cbranch_execz .LBB6_10369
; %bb.10362:                            ;   in Loop: Header=BB6_7543 Depth=2
	v_and_b32_e32 v3, 0x7c, v5
	v_and_b32_e32 v7, 3, v5
	s_delay_alu instid0(VALU_DEP_2) | instskip(SKIP_1) | instid1(SALU_CYCLE_1)
	v_cmp_ne_u32_e32 vcc_lo, 0x7c, v3
                                        ; implicit-def: $vgpr3
	s_and_saveexec_b32 s41, vcc_lo
	s_xor_b32 s41, exec_lo, s41
	s_cbranch_execz .LBB6_10366
; %bb.10363:                            ;   in Loop: Header=BB6_7543 Depth=2
	v_bfe_u32 v3, v5, 2, 5
	s_mov_b32 s42, exec_lo
	s_delay_alu instid0(VALU_DEP_1)
	v_cmpx_eq_u32_e32 0, v3
; %bb.10364:                            ;   in Loop: Header=BB6_7543 Depth=2
	v_clz_i32_u32_e32 v3, v7
	s_delay_alu instid0(VALU_DEP_1) | instskip(NEXT) | instid1(VALU_DEP_1)
	v_min_u32_e32 v3, 32, v3
	v_subrev_nc_u32_e32 v7, 29, v3
	s_delay_alu instid0(VALU_DEP_1) | instskip(NEXT) | instid1(VALU_DEP_1)
	v_lshlrev_b64_e32 v[98:99], v7, v[24:25]
	v_dual_sub_nc_u32 v3, 30, v3 :: v_dual_bitop2_b32 v7, 3, v98 bitop3:0x40
; %bb.10365:                            ;   in Loop: Header=BB6_7543 Depth=2
	s_or_b32 exec_lo, exec_lo, s42
	v_lshlrev_b32_e32 v97, 24, v5
	s_delay_alu instid0(VALU_DEP_1) | instskip(NEXT) | instid1(VALU_DEP_1)
	v_and_b32_e32 v97, 0x80000000, v97
	v_lshl_add_u32 v3, v3, 23, v97
	s_delay_alu instid0(VALU_DEP_1) | instskip(NEXT) | instid1(VALU_DEP_1)
	v_lshl_or_b32 v3, v7, 21, v3
                                        ; implicit-def: $vgpr7
	v_add_nc_u32_e32 v3, 0x38000000, v3
.LBB6_10366:                            ;   in Loop: Header=BB6_7543 Depth=2
	s_and_not1_saveexec_b32 s41, s41
; %bb.10367:                            ;   in Loop: Header=BB6_7543 Depth=2
	v_bfe_i32 v3, v5, 0, 8
	s_delay_alu instid0(VALU_DEP_1) | instskip(SKIP_2) | instid1(VALU_DEP_2)
	v_cmp_lt_i16_e32 vcc_lo, -1, v3
	v_cndmask_b32_e32 v3, 0xff800000, v75, vcc_lo
	v_cmp_eq_u32_e32 vcc_lo, 0, v7
	v_cndmask_b32_e32 v3, 0x7f800001, v3, vcc_lo
; %bb.10368:                            ;   in Loop: Header=BB6_7543 Depth=2
	s_or_b32 exec_lo, exec_lo, s41
.LBB6_10369:                            ;   in Loop: Header=BB6_7543 Depth=2
	s_delay_alu instid0(SALU_CYCLE_1)
	s_or_b32 exec_lo, exec_lo, s14
.LBB6_10370:                            ;   in Loop: Header=BB6_7543 Depth=2
	s_delay_alu instid0(SALU_CYCLE_1) | instskip(SKIP_2) | instid1(VALU_DEP_1)
	s_or_b32 exec_lo, exec_lo, s10
	v_and_b32_e32 v7, 0xff, v21
	s_mov_b32 s10, exec_lo
	v_cmpx_ne_u16_e32 0, v7
	s_cbranch_execz .LBB6_10380
; %bb.10371:                            ;   in Loop: Header=BB6_7543 Depth=2
	v_bfrev_b32_e32 v6, 1
	s_mov_b32 s14, exec_lo
	v_cmpx_ne_u16_e32 0x80, v7
	s_cbranch_execz .LBB6_10379
; %bb.10372:                            ;   in Loop: Header=BB6_7543 Depth=2
	v_and_b32_e32 v6, 0x7c, v21
	v_and_b32_e32 v7, 3, v21
	s_delay_alu instid0(VALU_DEP_2) | instskip(SKIP_1) | instid1(SALU_CYCLE_1)
	v_cmp_ne_u32_e32 vcc_lo, 0x7c, v6
                                        ; implicit-def: $vgpr6
	s_and_saveexec_b32 s41, vcc_lo
	s_xor_b32 s41, exec_lo, s41
	s_cbranch_execz .LBB6_10376
; %bb.10373:                            ;   in Loop: Header=BB6_7543 Depth=2
	v_bfe_u32 v6, v21, 2, 5
	s_mov_b32 s42, exec_lo
	s_delay_alu instid0(VALU_DEP_1)
	v_cmpx_eq_u32_e32 0, v6
; %bb.10374:                            ;   in Loop: Header=BB6_7543 Depth=2
	v_clz_i32_u32_e32 v6, v7
	s_delay_alu instid0(VALU_DEP_1) | instskip(NEXT) | instid1(VALU_DEP_1)
	v_min_u32_e32 v6, 32, v6
	v_subrev_nc_u32_e32 v7, 29, v6
	v_sub_nc_u32_e32 v6, 30, v6
	s_delay_alu instid0(VALU_DEP_2) | instskip(NEXT) | instid1(VALU_DEP_1)
	v_lshlrev_b64_e32 v[98:99], v7, v[0:1]
	v_and_b32_e32 v7, 3, v98
; %bb.10375:                            ;   in Loop: Header=BB6_7543 Depth=2
	s_or_b32 exec_lo, exec_lo, s42
	v_lshlrev_b32_e32 v97, 24, v21
	s_delay_alu instid0(VALU_DEP_1) | instskip(NEXT) | instid1(VALU_DEP_1)
	v_and_b32_e32 v97, 0x80000000, v97
	v_lshl_add_u32 v6, v6, 23, v97
	s_delay_alu instid0(VALU_DEP_1) | instskip(NEXT) | instid1(VALU_DEP_1)
	v_lshl_or_b32 v6, v7, 21, v6
                                        ; implicit-def: $vgpr7
	v_add_nc_u32_e32 v6, 0x38000000, v6
.LBB6_10376:                            ;   in Loop: Header=BB6_7543 Depth=2
	s_and_not1_saveexec_b32 s41, s41
; %bb.10377:                            ;   in Loop: Header=BB6_7543 Depth=2
	v_bfe_i32 v6, v21, 0, 8
	s_delay_alu instid0(VALU_DEP_1) | instskip(SKIP_2) | instid1(VALU_DEP_2)
	v_cmp_lt_i16_e32 vcc_lo, -1, v6
	v_cndmask_b32_e32 v6, 0xff800000, v75, vcc_lo
	v_cmp_eq_u32_e32 vcc_lo, 0, v7
	v_cndmask_b32_e32 v6, 0x7f800001, v6, vcc_lo
; %bb.10378:                            ;   in Loop: Header=BB6_7543 Depth=2
	s_or_b32 exec_lo, exec_lo, s41
.LBB6_10379:                            ;   in Loop: Header=BB6_7543 Depth=2
	s_delay_alu instid0(SALU_CYCLE_1)
	s_or_b32 exec_lo, exec_lo, s14
.LBB6_10380:                            ;   in Loop: Header=BB6_7543 Depth=2
	s_delay_alu instid0(SALU_CYCLE_1) | instskip(NEXT) | instid1(VALU_DEP_1)
	s_or_b32 exec_lo, exec_lo, s10
	v_dual_max_num_f32 v6, v6, v6 :: v_dual_max_num_f32 v3, v3, v3
	s_mov_b32 s10, 0
	s_delay_alu instid0(VALU_DEP_1)
	v_max_num_f32_e32 v6, v3, v6
.LBB6_10381:                            ;   in Loop: Header=BB6_7543 Depth=2
	s_and_b32 vcc_lo, exec_lo, s10
	s_cbranch_vccz .LBB6_10403
; %bb.10382:                            ;   in Loop: Header=BB6_7543 Depth=2
	v_dual_mov_b32 v6, 0 :: v_dual_mov_b32 v3, 0
	s_and_saveexec_b32 s10, s7
	s_cbranch_execz .LBB6_10392
; %bb.10383:                            ;   in Loop: Header=BB6_7543 Depth=2
	v_bfrev_b32_e32 v3, 1
	s_mov_b32 s7, exec_lo
	v_cmpx_ne_u16_e32 0x80, v2
	s_cbranch_execz .LBB6_10391
; %bb.10384:                            ;   in Loop: Header=BB6_7543 Depth=2
	v_and_b32_e32 v3, 0x7c, v5
	v_and_b32_e32 v2, 3, v5
	s_delay_alu instid0(VALU_DEP_2) | instskip(SKIP_1) | instid1(SALU_CYCLE_1)
	v_cmp_ne_u32_e32 vcc_lo, 0x7c, v3
                                        ; implicit-def: $vgpr3
	s_and_saveexec_b32 s14, vcc_lo
	s_xor_b32 s14, exec_lo, s14
	s_cbranch_execz .LBB6_10388
; %bb.10385:                            ;   in Loop: Header=BB6_7543 Depth=2
	v_bfe_u32 v3, v5, 2, 5
	s_mov_b32 s41, exec_lo
	s_delay_alu instid0(VALU_DEP_1)
	v_cmpx_eq_u32_e32 0, v3
; %bb.10386:                            ;   in Loop: Header=BB6_7543 Depth=2
	v_clz_i32_u32_e32 v2, v2
	s_delay_alu instid0(VALU_DEP_1) | instskip(NEXT) | instid1(VALU_DEP_1)
	v_min_u32_e32 v7, 32, v2
	v_subrev_nc_u32_e32 v2, 29, v7
	s_delay_alu instid0(VALU_DEP_1) | instskip(NEXT) | instid1(VALU_DEP_1)
	v_lshlrev_b64_e32 v[2:3], v2, v[24:25]
	v_dual_sub_nc_u32 v3, 30, v7 :: v_dual_bitop2_b32 v2, 3, v2 bitop3:0x40
; %bb.10387:                            ;   in Loop: Header=BB6_7543 Depth=2
	s_or_b32 exec_lo, exec_lo, s41
	v_lshlrev_b32_e32 v7, 24, v5
	s_delay_alu instid0(VALU_DEP_1) | instskip(NEXT) | instid1(VALU_DEP_1)
	v_and_b32_e32 v7, 0x80000000, v7
	v_lshl_add_u32 v3, v3, 23, v7
	s_delay_alu instid0(VALU_DEP_1) | instskip(NEXT) | instid1(VALU_DEP_1)
	v_lshl_or_b32 v2, v2, 21, v3
	v_add_nc_u32_e32 v3, 0x38000000, v2
                                        ; implicit-def: $vgpr2
.LBB6_10388:                            ;   in Loop: Header=BB6_7543 Depth=2
	s_and_not1_saveexec_b32 s14, s14
; %bb.10389:                            ;   in Loop: Header=BB6_7543 Depth=2
	v_bfe_i32 v3, v5, 0, 8
	s_delay_alu instid0(VALU_DEP_1) | instskip(SKIP_2) | instid1(VALU_DEP_2)
	v_cmp_lt_i16_e32 vcc_lo, -1, v3
	v_cndmask_b32_e32 v3, 0xff800000, v75, vcc_lo
	v_cmp_eq_u32_e32 vcc_lo, 0, v2
	v_cndmask_b32_e32 v3, 0x7f800001, v3, vcc_lo
; %bb.10390:                            ;   in Loop: Header=BB6_7543 Depth=2
	s_or_b32 exec_lo, exec_lo, s14
.LBB6_10391:                            ;   in Loop: Header=BB6_7543 Depth=2
	s_delay_alu instid0(SALU_CYCLE_1)
	s_or_b32 exec_lo, exec_lo, s7
.LBB6_10392:                            ;   in Loop: Header=BB6_7543 Depth=2
	s_delay_alu instid0(SALU_CYCLE_1) | instskip(SKIP_2) | instid1(VALU_DEP_1)
	s_or_b32 exec_lo, exec_lo, s10
	v_and_b32_e32 v2, 0xff, v21
	s_mov_b32 s7, exec_lo
	v_cmpx_ne_u16_e32 0, v2
	s_cbranch_execz .LBB6_10402
; %bb.10393:                            ;   in Loop: Header=BB6_7543 Depth=2
	v_bfrev_b32_e32 v6, 1
	s_mov_b32 s10, exec_lo
	v_cmpx_ne_u16_e32 0x80, v2
	s_cbranch_execz .LBB6_10401
; %bb.10394:                            ;   in Loop: Header=BB6_7543 Depth=2
	v_and_b32_e32 v6, 0x7c, v21
	v_and_b32_e32 v2, 3, v21
	s_delay_alu instid0(VALU_DEP_2) | instskip(SKIP_1) | instid1(SALU_CYCLE_1)
	v_cmp_ne_u32_e32 vcc_lo, 0x7c, v6
                                        ; implicit-def: $vgpr6
	s_and_saveexec_b32 s14, vcc_lo
	s_xor_b32 s14, exec_lo, s14
	s_cbranch_execz .LBB6_10398
; %bb.10395:                            ;   in Loop: Header=BB6_7543 Depth=2
	v_bfe_u32 v6, v21, 2, 5
	s_mov_b32 s41, exec_lo
	s_delay_alu instid0(VALU_DEP_1)
	v_cmpx_eq_u32_e32 0, v6
; %bb.10396:                            ;   in Loop: Header=BB6_7543 Depth=2
	v_clz_i32_u32_e32 v2, v2
	s_delay_alu instid0(VALU_DEP_1) | instskip(NEXT) | instid1(VALU_DEP_1)
	v_min_u32_e32 v2, 32, v2
	v_subrev_nc_u32_e32 v6, 29, v2
	s_delay_alu instid0(VALU_DEP_1) | instskip(SKIP_1) | instid1(VALU_DEP_2)
	v_lshlrev_b64_e32 v[98:99], v6, v[0:1]
	v_sub_nc_u32_e32 v6, 30, v2
	v_and_b32_e32 v2, 3, v98
; %bb.10397:                            ;   in Loop: Header=BB6_7543 Depth=2
	s_or_b32 exec_lo, exec_lo, s41
	v_lshlrev_b32_e32 v1, 24, v21
	s_delay_alu instid0(VALU_DEP_1) | instskip(NEXT) | instid1(VALU_DEP_1)
	v_and_b32_e32 v1, 0x80000000, v1
	v_lshl_add_u32 v1, v6, 23, v1
	s_delay_alu instid0(VALU_DEP_1) | instskip(NEXT) | instid1(VALU_DEP_1)
	v_lshl_or_b32 v1, v2, 21, v1
                                        ; implicit-def: $vgpr2
	v_add_nc_u32_e32 v6, 0x38000000, v1
.LBB6_10398:                            ;   in Loop: Header=BB6_7543 Depth=2
	s_and_not1_saveexec_b32 s14, s14
; %bb.10399:                            ;   in Loop: Header=BB6_7543 Depth=2
	v_bfe_i32 v1, v21, 0, 8
	s_delay_alu instid0(VALU_DEP_1) | instskip(SKIP_2) | instid1(VALU_DEP_2)
	v_cmp_lt_i16_e32 vcc_lo, -1, v1
	v_cndmask_b32_e32 v1, 0xff800000, v75, vcc_lo
	v_cmp_eq_u32_e32 vcc_lo, 0, v2
	v_cndmask_b32_e32 v6, 0x7f800001, v1, vcc_lo
; %bb.10400:                            ;   in Loop: Header=BB6_7543 Depth=2
	s_or_b32 exec_lo, exec_lo, s14
.LBB6_10401:                            ;   in Loop: Header=BB6_7543 Depth=2
	s_delay_alu instid0(SALU_CYCLE_1)
	s_or_b32 exec_lo, exec_lo, s10
.LBB6_10402:                            ;   in Loop: Header=BB6_7543 Depth=2
	s_delay_alu instid0(SALU_CYCLE_1) | instskip(NEXT) | instid1(VALU_DEP_1)
	s_or_b32 exec_lo, exec_lo, s7
	v_dual_max_num_f32 v1, v6, v6 :: v_dual_max_num_f32 v2, v3, v3
	s_delay_alu instid0(VALU_DEP_1)
	v_min_num_f32_e32 v6, v2, v1
.LBB6_10403:                            ;   in Loop: Header=BB6_7543 Depth=2
	s_delay_alu instid0(VALU_DEP_1) | instskip(SKIP_4) | instid1(VALU_DEP_3)
	v_and_b32_e32 v98, 0x7f800000, v6
	v_dual_mov_b32 v99, v25 :: v_dual_mov_b32 v3, v25
	v_and_b32_e32 v2, 0x7fffff, v6
	v_lshrrev_b32_e32 v1, 24, v6
                                        ; implicit-def: $vgpr97
	s_mov_b32 s7, exec_lo
	v_cmpx_ne_u64_e32 0x7f800000, v[98:99]
	s_xor_b32 s10, exec_lo, s7
	s_cbranch_execz .LBB6_10417
; %bb.10404:                            ;   in Loop: Header=BB6_7543 Depth=2
	v_and_b32_e32 v98, 0x7fffffff, v6
	v_mov_b32_e32 v99, v25
	v_and_b32_e32 v1, 0x80, v1
                                        ; implicit-def: $vgpr97
	s_mov_b32 s7, exec_lo
	s_delay_alu instid0(VALU_DEP_2)
	v_cmpx_gt_u64_e32 0x47600001, v[98:99]
	s_xor_b32 s14, exec_lo, s7
	s_cbranch_execz .LBB6_10414
; %bb.10405:                            ;   in Loop: Header=BB6_7543 Depth=2
	v_mov_b32_e32 v97, 0
	s_mov_b32 s41, exec_lo
	v_cmpx_ne_u32_e32 0, v6
	s_cbranch_execz .LBB6_10413
; %bb.10406:                            ;   in Loop: Header=BB6_7543 Depth=2
	v_bfe_u32 v97, v6, 23, 8
	v_or_b32_e32 v7, 0x800000, v2
	s_delay_alu instid0(VALU_DEP_2) | instskip(SKIP_2) | instid1(VALU_DEP_2)
	v_cmp_gt_u32_e64 s7, 0x72, v97
	v_sub_nc_u32_e32 v6, 0x71, v97
	v_cmp_eq_u32_e32 vcc_lo, 0, v97
	v_cndmask_b32_e64 v6, 0, v6, s7
	v_cndmask_b32_e32 v2, v7, v2, vcc_lo
	s_delay_alu instid0(VALU_DEP_2) | instskip(NEXT) | instid1(VALU_DEP_1)
	v_cndmask_b32_e64 v98, v6, 0x70, vcc_lo
	v_dual_add_nc_u32 v6, 21, v98 :: v_dual_add_nc_u32 v99, 20, v98
	s_delay_alu instid0(VALU_DEP_1) | instskip(NEXT) | instid1(VALU_DEP_2)
	v_lshlrev_b64_e64 v[6:7], v6, -1
	v_lshlrev_b64_e64 v[100:101], v99, 1
	s_delay_alu instid0(VALU_DEP_2) | instskip(SKIP_1) | instid1(VALU_DEP_4)
	v_bfi_b32 v6, v6, 0, v2
	v_lshrrev_b64 v[2:3], v98, v[2:3]
	v_bfi_b32 v7, v7, 0, 0
	s_delay_alu instid0(VALU_DEP_1) | instskip(NEXT) | instid1(VALU_DEP_3)
	v_cmp_eq_u64_e64 s7, v[6:7], v[100:101]
	v_mov_b64_e32 v[6:7], v[2:3]
	s_and_saveexec_b32 s42, s7
; %bb.10407:                            ;   in Loop: Header=BB6_7543 Depth=2
	v_bfe_u32 v6, v2, 21, 1
	v_mov_b32_e32 v7, v25
	s_delay_alu instid0(VALU_DEP_1) | instskip(NEXT) | instid1(VALU_DEP_1)
	v_add_nc_u64_e32 v[6:7], v[2:3], v[6:7]
	v_add_nc_u64_e32 v[6:7], -1, v[6:7]
; %bb.10408:                            ;   in Loop: Header=BB6_7543 Depth=2
	s_or_b32 exec_lo, exec_lo, s42
	v_add_nc_u32_e32 v3, 0xffffff81, v97
	v_lshrrev_b32_e32 v7, 23, v2
	s_mov_b32 s7, exec_lo
	s_delay_alu instid0(VALU_DEP_2) | instskip(NEXT) | instid1(VALU_DEP_1)
	v_cndmask_b32_e64 v3, v3, 0xffffff82, vcc_lo
	v_add3_u32 v7, v98, v3, v7
	v_and_b32_e32 v3, 0x1fffff, v6
                                        ; implicit-def: $vgpr6
	s_delay_alu instid0(VALU_DEP_1) | instskip(SKIP_1) | instid1(VALU_DEP_2)
	v_dual_add_nc_u32 v97, 14, v7 :: v_dual_add_nc_u32 v2, v3, v2
	v_mov_b32_e32 v3, v25
	v_cmpx_ne_u32_e32 0, v97
	s_xor_b32 s7, exec_lo, s7
; %bb.10409:                            ;   in Loop: Header=BB6_7543 Depth=2
	s_delay_alu instid0(VALU_DEP_2) | instskip(SKIP_2) | instid1(VALU_DEP_2)
	v_cmp_lt_u64_e32 vcc_lo, 0xffffff, v[2:3]
	v_add_nc_u32_e32 v6, 15, v7
	v_cndmask_b32_e64 v7, 0, 1, vcc_lo
	v_cndmask_b32_e32 v6, v97, v6, vcc_lo
	s_delay_alu instid0(VALU_DEP_2)
	v_lshrrev_b64 v[2:3], v7, v[2:3]
; %bb.10410:                            ;   in Loop: Header=BB6_7543 Depth=2
	s_and_not1_saveexec_b32 s7, s7
; %bb.10411:                            ;   in Loop: Header=BB6_7543 Depth=2
	s_delay_alu instid0(VALU_DEP_1)
	v_bfe_u32 v6, v2, 23, 1
; %bb.10412:                            ;   in Loop: Header=BB6_7543 Depth=2
	s_or_b32 exec_lo, exec_lo, s7
	s_delay_alu instid0(VALU_DEP_2) | instskip(NEXT) | instid1(VALU_DEP_2)
	v_lshrrev_b64 v[2:3], 21, v[2:3]
	v_cmp_gt_i32_e32 vcc_lo, 32, v6
	v_min_i32_e32 v7, 31, v6
	v_cmp_eq_u32_e64 s7, 0, v6
	s_delay_alu instid0(VALU_DEP_4) | instskip(NEXT) | instid1(VALU_DEP_3)
	v_cndmask_b32_e32 v3, 0, v3, vcc_lo
	v_dual_cndmask_b32 v2, 3, v2 :: v_dual_lshlrev_b32 v7, 2, v7
	s_delay_alu instid0(VALU_DEP_1) | instskip(NEXT) | instid1(VALU_DEP_2)
	v_and_b32_e32 v7, 0xfc, v7
	v_cmp_eq_u64_e32 vcc_lo, 0, v[2:3]
	s_delay_alu instid0(VALU_DEP_2)
	v_and_or_b32 v2, v2, 3, v7
	s_and_b32 s7, s7, vcc_lo
	s_delay_alu instid0(VALU_DEP_1) | instid1(SALU_CYCLE_1)
	v_cndmask_b32_e64 v2, v2, 0, s7
	s_delay_alu instid0(VALU_DEP_1)
	v_or_b32_e32 v97, v2, v1
.LBB6_10413:                            ;   in Loop: Header=BB6_7543 Depth=2
	s_or_b32 exec_lo, exec_lo, s41
                                        ; implicit-def: $vgpr1
.LBB6_10414:                            ;   in Loop: Header=BB6_7543 Depth=2
	s_and_not1_saveexec_b32 s7, s14
; %bb.10415:                            ;   in Loop: Header=BB6_7543 Depth=2
	v_or_b32_e32 v97, 0x7b, v1
; %bb.10416:                            ;   in Loop: Header=BB6_7543 Depth=2
	s_or_b32 exec_lo, exec_lo, s7
                                        ; implicit-def: $vgpr6
                                        ; implicit-def: $vgpr2_vgpr3
                                        ; implicit-def: $vgpr1
.LBB6_10417:                            ;   in Loop: Header=BB6_7543 Depth=2
	s_and_not1_saveexec_b32 s7, s10
	s_cbranch_execz .LBB6_10423
; %bb.10418:                            ;   in Loop: Header=BB6_7543 Depth=2
	s_mov_b32 s10, exec_lo
                                        ; implicit-def: $vgpr97
	v_cmpx_ne_u64_e32 0, v[2:3]
	s_xor_b32 s10, exec_lo, s10
; %bb.10419:                            ;   in Loop: Header=BB6_7543 Depth=2
	v_or_b32_e32 v97, 0x7f, v1
                                        ; implicit-def: $vgpr6
; %bb.10420:                            ;   in Loop: Header=BB6_7543 Depth=2
	s_and_not1_saveexec_b32 s10, s10
; %bb.10421:                            ;   in Loop: Header=BB6_7543 Depth=2
	v_cmp_lt_i32_e32 vcc_lo, -1, v6
	v_cndmask_b32_e32 v97, 0xfc, v41, vcc_lo
; %bb.10422:                            ;   in Loop: Header=BB6_7543 Depth=2
	s_or_b32 exec_lo, exec_lo, s10
.LBB6_10423:                            ;   in Loop: Header=BB6_7543 Depth=2
	s_delay_alu instid0(SALU_CYCLE_1) | instskip(SKIP_4) | instid1(VALU_DEP_2)
	s_or_b32 exec_lo, exec_lo, s7
	v_lshrrev_b16 v6, 8, v24
	v_lshrrev_b16 v2, 8, v0
	s_and_not1_b32 vcc_lo, exec_lo, s13
	s_mov_b32 s10, -1
                                        ; implicit-def: $vgpr3
	v_and_b32_e32 v1, 0xffff, v6
	v_cmp_ne_u16_e64 s7, 0, v6
	s_cbranch_vccnz .LBB6_10445
; %bb.10424:                            ;   in Loop: Header=BB6_7543 Depth=2
	v_dual_mov_b32 v3, 0 :: v_dual_mov_b32 v7, 0
	s_and_saveexec_b32 s14, s7
	s_cbranch_execz .LBB6_10434
; %bb.10425:                            ;   in Loop: Header=BB6_7543 Depth=2
	v_bfrev_b32_e32 v7, 1
	s_mov_b32 s41, exec_lo
	v_cmpx_ne_u16_e32 0x80, v6
	s_cbranch_execz .LBB6_10433
; %bb.10426:                            ;   in Loop: Header=BB6_7543 Depth=2
	v_and_b32_e32 v7, 0x7c, v1
	v_and_b32_e32 v98, 3, v1
	s_delay_alu instid0(VALU_DEP_2) | instskip(SKIP_1) | instid1(SALU_CYCLE_1)
	v_cmp_ne_u32_e32 vcc_lo, 0x7c, v7
                                        ; implicit-def: $vgpr7
	s_and_saveexec_b32 s10, vcc_lo
	s_xor_b32 s10, exec_lo, s10
	s_cbranch_execz .LBB6_10430
; %bb.10427:                            ;   in Loop: Header=BB6_7543 Depth=2
	v_bfe_u32 v7, v1, 2, 5
	s_mov_b32 s42, exec_lo
	s_delay_alu instid0(VALU_DEP_1)
	v_cmpx_eq_u32_e32 0, v7
; %bb.10428:                            ;   in Loop: Header=BB6_7543 Depth=2
	v_clz_i32_u32_e32 v7, v98
	s_delay_alu instid0(VALU_DEP_1) | instskip(SKIP_1) | instid1(VALU_DEP_2)
	v_min_u32_e32 v100, 32, v7
	v_mov_b32_e32 v7, v25
	v_subrev_nc_u32_e32 v98, 29, v100
	s_delay_alu instid0(VALU_DEP_1) | instskip(NEXT) | instid1(VALU_DEP_1)
	v_lshlrev_b64_e32 v[98:99], v98, v[6:7]
	v_dual_sub_nc_u32 v7, 30, v100 :: v_dual_bitop2_b32 v98, 3, v98 bitop3:0x40
; %bb.10429:                            ;   in Loop: Header=BB6_7543 Depth=2
	s_or_b32 exec_lo, exec_lo, s42
	v_lshlrev_b32_e32 v99, 16, v24
	s_delay_alu instid0(VALU_DEP_1) | instskip(NEXT) | instid1(VALU_DEP_1)
	v_and_b32_e32 v99, 0x80000000, v99
	v_lshl_add_u32 v7, v7, 23, v99
	s_delay_alu instid0(VALU_DEP_1) | instskip(NEXT) | instid1(VALU_DEP_1)
	v_lshl_or_b32 v7, v98, 21, v7
                                        ; implicit-def: $vgpr98
	v_add_nc_u32_e32 v7, 0x38000000, v7
.LBB6_10430:                            ;   in Loop: Header=BB6_7543 Depth=2
	s_and_not1_saveexec_b32 s42, s10
; %bb.10431:                            ;   in Loop: Header=BB6_7543 Depth=2
	v_cmp_lt_i16_e64 s10, -1, v24
	v_cmp_eq_u32_e32 vcc_lo, 0, v98
	s_delay_alu instid0(VALU_DEP_2) | instskip(NEXT) | instid1(VALU_DEP_1)
	v_cndmask_b32_e64 v7, 0xff800000, v75, s10
	v_cndmask_b32_e32 v7, 0x7f800001, v7, vcc_lo
; %bb.10432:                            ;   in Loop: Header=BB6_7543 Depth=2
	s_or_b32 exec_lo, exec_lo, s42
.LBB6_10433:                            ;   in Loop: Header=BB6_7543 Depth=2
	s_delay_alu instid0(SALU_CYCLE_1)
	s_or_b32 exec_lo, exec_lo, s41
.LBB6_10434:                            ;   in Loop: Header=BB6_7543 Depth=2
	s_delay_alu instid0(SALU_CYCLE_1) | instskip(NEXT) | instid1(SALU_CYCLE_1)
	s_or_b32 exec_lo, exec_lo, s14
	s_mov_b32 s14, exec_lo
	v_cmpx_ne_u16_e32 0, v2
	s_cbranch_execz .LBB6_10444
; %bb.10435:                            ;   in Loop: Header=BB6_7543 Depth=2
	v_bfrev_b32_e32 v3, 1
	s_mov_b32 s41, exec_lo
	v_cmpx_ne_u16_e32 0x80, v2
	s_cbranch_execz .LBB6_10443
; %bb.10436:                            ;   in Loop: Header=BB6_7543 Depth=2
	v_and_b32_e32 v99, 0xffff, v2
	s_delay_alu instid0(VALU_DEP_1) | instskip(SKIP_1) | instid1(VALU_DEP_2)
	v_and_b32_e32 v3, 0x7c, v99
	v_and_b32_e32 v98, 3, v99
	v_cmp_ne_u32_e32 vcc_lo, 0x7c, v3
                                        ; implicit-def: $vgpr3
	s_and_saveexec_b32 s10, vcc_lo
	s_delay_alu instid0(SALU_CYCLE_1)
	s_xor_b32 s10, exec_lo, s10
	s_cbranch_execz .LBB6_10440
; %bb.10437:                            ;   in Loop: Header=BB6_7543 Depth=2
	v_bfe_u32 v3, v99, 2, 5
	s_mov_b32 s42, exec_lo
	s_delay_alu instid0(VALU_DEP_1)
	v_cmpx_eq_u32_e32 0, v3
; %bb.10438:                            ;   in Loop: Header=BB6_7543 Depth=2
	v_clz_i32_u32_e32 v3, v98
	s_delay_alu instid0(VALU_DEP_1) | instskip(SKIP_1) | instid1(VALU_DEP_2)
	v_min_u32_e32 v100, 32, v3
	v_mov_b32_e32 v3, v25
	v_subrev_nc_u32_e32 v98, 29, v100
	s_delay_alu instid0(VALU_DEP_1) | instskip(NEXT) | instid1(VALU_DEP_1)
	v_lshlrev_b64_e32 v[98:99], v98, v[2:3]
	v_dual_sub_nc_u32 v3, 30, v100 :: v_dual_bitop2_b32 v98, 3, v98 bitop3:0x40
; %bb.10439:                            ;   in Loop: Header=BB6_7543 Depth=2
	s_or_b32 exec_lo, exec_lo, s42
	v_lshlrev_b32_e32 v99, 16, v0
	s_delay_alu instid0(VALU_DEP_1) | instskip(NEXT) | instid1(VALU_DEP_1)
	v_and_b32_e32 v99, 0x80000000, v99
	v_lshl_add_u32 v3, v3, 23, v99
	s_delay_alu instid0(VALU_DEP_1) | instskip(NEXT) | instid1(VALU_DEP_1)
	v_lshl_or_b32 v3, v98, 21, v3
                                        ; implicit-def: $vgpr98
	v_add_nc_u32_e32 v3, 0x38000000, v3
.LBB6_10440:                            ;   in Loop: Header=BB6_7543 Depth=2
	s_and_not1_saveexec_b32 s42, s10
; %bb.10441:                            ;   in Loop: Header=BB6_7543 Depth=2
	v_cmp_lt_i16_e64 s10, -1, v0
	v_cmp_eq_u32_e32 vcc_lo, 0, v98
	s_delay_alu instid0(VALU_DEP_2) | instskip(NEXT) | instid1(VALU_DEP_1)
	v_cndmask_b32_e64 v3, 0xff800000, v75, s10
	v_cndmask_b32_e32 v3, 0x7f800001, v3, vcc_lo
; %bb.10442:                            ;   in Loop: Header=BB6_7543 Depth=2
	s_or_b32 exec_lo, exec_lo, s42
.LBB6_10443:                            ;   in Loop: Header=BB6_7543 Depth=2
	s_delay_alu instid0(SALU_CYCLE_1)
	s_or_b32 exec_lo, exec_lo, s41
.LBB6_10444:                            ;   in Loop: Header=BB6_7543 Depth=2
	s_delay_alu instid0(SALU_CYCLE_1) | instskip(NEXT) | instid1(VALU_DEP_1)
	s_or_b32 exec_lo, exec_lo, s14
	v_max_num_f32_e32 v3, v3, v3
	v_max_num_f32_e32 v7, v7, v7
	s_mov_b32 s10, 0
	s_delay_alu instid0(VALU_DEP_1)
	v_max_num_f32_e32 v3, v7, v3
.LBB6_10445:                            ;   in Loop: Header=BB6_7543 Depth=2
	s_and_b32 vcc_lo, exec_lo, s10
	s_cbranch_vccz .LBB6_10467
; %bb.10446:                            ;   in Loop: Header=BB6_7543 Depth=2
	v_dual_mov_b32 v3, 0 :: v_dual_mov_b32 v7, 0
	s_and_saveexec_b32 s10, s7
	s_cbranch_execz .LBB6_10456
; %bb.10447:                            ;   in Loop: Header=BB6_7543 Depth=2
	v_bfrev_b32_e32 v7, 1
	s_mov_b32 s7, exec_lo
	v_cmpx_ne_u16_e32 0x80, v6
	s_cbranch_execz .LBB6_10455
; %bb.10448:                            ;   in Loop: Header=BB6_7543 Depth=2
	v_and_b32_e32 v7, 0x7c, v1
	v_and_b32_e32 v98, 3, v1
	s_delay_alu instid0(VALU_DEP_2) | instskip(SKIP_1) | instid1(SALU_CYCLE_1)
	v_cmp_ne_u32_e32 vcc_lo, 0x7c, v7
                                        ; implicit-def: $vgpr7
	s_and_saveexec_b32 s14, vcc_lo
	s_xor_b32 s14, exec_lo, s14
	s_cbranch_execz .LBB6_10452
; %bb.10449:                            ;   in Loop: Header=BB6_7543 Depth=2
	v_bfe_u32 v1, v1, 2, 5
	s_mov_b32 s41, exec_lo
	s_delay_alu instid0(VALU_DEP_1)
	v_cmpx_eq_u32_e32 0, v1
	s_cbranch_execz .LBB6_10451
; %bb.10450:                            ;   in Loop: Header=BB6_7543 Depth=2
	v_clz_i32_u32_e32 v1, v98
	s_delay_alu instid0(VALU_DEP_1) | instskip(SKIP_1) | instid1(VALU_DEP_2)
	v_min_u32_e32 v1, 32, v1
	v_mov_b32_e32 v7, v25
	v_subrev_nc_u32_e32 v98, 29, v1
	v_sub_nc_u32_e32 v1, 30, v1
	s_delay_alu instid0(VALU_DEP_2) | instskip(NEXT) | instid1(VALU_DEP_1)
	v_lshlrev_b64_e32 v[6:7], v98, v[6:7]
	v_and_b32_e32 v98, 3, v6
.LBB6_10451:                            ;   in Loop: Header=BB6_7543 Depth=2
	s_or_b32 exec_lo, exec_lo, s41
	v_lshlrev_b32_e32 v6, 16, v24
	s_delay_alu instid0(VALU_DEP_1) | instskip(NEXT) | instid1(VALU_DEP_1)
	v_and_b32_e32 v6, 0x80000000, v6
	v_lshl_add_u32 v1, v1, 23, v6
	s_delay_alu instid0(VALU_DEP_1) | instskip(NEXT) | instid1(VALU_DEP_1)
	v_lshl_or_b32 v1, v98, 21, v1
                                        ; implicit-def: $vgpr98
	v_add_nc_u32_e32 v7, 0x38000000, v1
.LBB6_10452:                            ;   in Loop: Header=BB6_7543 Depth=2
	s_and_not1_saveexec_b32 s14, s14
; %bb.10453:                            ;   in Loop: Header=BB6_7543 Depth=2
	v_cmp_lt_i16_e32 vcc_lo, -1, v24
	v_cndmask_b32_e32 v1, 0xff800000, v75, vcc_lo
	v_cmp_eq_u32_e32 vcc_lo, 0, v98
	s_delay_alu instid0(VALU_DEP_2)
	v_cndmask_b32_e32 v7, 0x7f800001, v1, vcc_lo
; %bb.10454:                            ;   in Loop: Header=BB6_7543 Depth=2
	s_or_b32 exec_lo, exec_lo, s14
.LBB6_10455:                            ;   in Loop: Header=BB6_7543 Depth=2
	s_delay_alu instid0(SALU_CYCLE_1)
	s_or_b32 exec_lo, exec_lo, s7
.LBB6_10456:                            ;   in Loop: Header=BB6_7543 Depth=2
	s_delay_alu instid0(SALU_CYCLE_1) | instskip(NEXT) | instid1(SALU_CYCLE_1)
	s_or_b32 exec_lo, exec_lo, s10
	s_mov_b32 s7, exec_lo
	v_cmpx_ne_u16_e32 0, v2
	s_cbranch_execz .LBB6_10466
; %bb.10457:                            ;   in Loop: Header=BB6_7543 Depth=2
	v_bfrev_b32_e32 v3, 1
	s_mov_b32 s10, exec_lo
	v_cmpx_ne_u16_e32 0x80, v2
	s_cbranch_execz .LBB6_10465
; %bb.10458:                            ;   in Loop: Header=BB6_7543 Depth=2
	v_and_b32_e32 v1, 0xffff, v2
	s_delay_alu instid0(VALU_DEP_1) | instskip(SKIP_1) | instid1(VALU_DEP_2)
	v_and_b32_e32 v3, 0x7c, v1
	v_and_b32_e32 v6, 3, v1
	v_cmp_ne_u32_e32 vcc_lo, 0x7c, v3
                                        ; implicit-def: $vgpr3
	s_and_saveexec_b32 s14, vcc_lo
	s_delay_alu instid0(SALU_CYCLE_1)
	s_xor_b32 s14, exec_lo, s14
	s_cbranch_execz .LBB6_10462
; %bb.10459:                            ;   in Loop: Header=BB6_7543 Depth=2
	v_bfe_u32 v1, v1, 2, 5
	s_mov_b32 s41, exec_lo
	s_delay_alu instid0(VALU_DEP_1)
	v_cmpx_eq_u32_e32 0, v1
	s_cbranch_execz .LBB6_10461
; %bb.10460:                            ;   in Loop: Header=BB6_7543 Depth=2
	v_clz_i32_u32_e32 v1, v6
	s_delay_alu instid0(VALU_DEP_1) | instskip(SKIP_1) | instid1(VALU_DEP_2)
	v_min_u32_e32 v1, 32, v1
	v_mov_b32_e32 v3, v25
	v_subrev_nc_u32_e32 v6, 29, v1
	v_sub_nc_u32_e32 v1, 30, v1
	s_delay_alu instid0(VALU_DEP_2) | instskip(NEXT) | instid1(VALU_DEP_1)
	v_lshlrev_b64_e32 v[2:3], v6, v[2:3]
	v_and_b32_e32 v6, 3, v2
.LBB6_10461:                            ;   in Loop: Header=BB6_7543 Depth=2
	s_or_b32 exec_lo, exec_lo, s41
	v_lshlrev_b32_e32 v0, 16, v0
	s_delay_alu instid0(VALU_DEP_1) | instskip(NEXT) | instid1(VALU_DEP_1)
	v_and_b32_e32 v0, 0x80000000, v0
	v_lshl_add_u32 v0, v1, 23, v0
	s_delay_alu instid0(VALU_DEP_1) | instskip(NEXT) | instid1(VALU_DEP_1)
	v_lshl_or_b32 v0, v6, 21, v0
                                        ; implicit-def: $vgpr6
	v_add_nc_u32_e32 v3, 0x38000000, v0
                                        ; implicit-def: $vgpr0_vgpr1
.LBB6_10462:                            ;   in Loop: Header=BB6_7543 Depth=2
	s_and_not1_saveexec_b32 s14, s14
; %bb.10463:                            ;   in Loop: Header=BB6_7543 Depth=2
	v_cmp_lt_i16_e32 vcc_lo, -1, v0
	v_cndmask_b32_e32 v0, 0xff800000, v75, vcc_lo
	v_cmp_eq_u32_e32 vcc_lo, 0, v6
	s_delay_alu instid0(VALU_DEP_2)
	v_cndmask_b32_e32 v3, 0x7f800001, v0, vcc_lo
; %bb.10464:                            ;   in Loop: Header=BB6_7543 Depth=2
	s_or_b32 exec_lo, exec_lo, s14
.LBB6_10465:                            ;   in Loop: Header=BB6_7543 Depth=2
	s_delay_alu instid0(SALU_CYCLE_1)
	s_or_b32 exec_lo, exec_lo, s10
.LBB6_10466:                            ;   in Loop: Header=BB6_7543 Depth=2
	s_delay_alu instid0(SALU_CYCLE_1) | instskip(NEXT) | instid1(VALU_DEP_1)
	s_or_b32 exec_lo, exec_lo, s7
	v_max_num_f32_e32 v0, v3, v3
	v_max_num_f32_e32 v1, v7, v7
	s_delay_alu instid0(VALU_DEP_1)
	v_min_num_f32_e32 v3, v1, v0
.LBB6_10467:                            ;   in Loop: Header=BB6_7543 Depth=2
	s_delay_alu instid0(VALU_DEP_1) | instskip(SKIP_2) | instid1(VALU_DEP_2)
	v_and_b32_e32 v0, 0x7f800000, v3
	v_mov_b32_e32 v1, v25
	v_and_b32_e32 v24, 0x7fffff, v3
                                        ; implicit-def: $vgpr6
	v_cmp_ne_u64_e32 vcc_lo, 0x7f800000, v[0:1]
	v_lshrrev_b32_e32 v0, 24, v3
	s_and_saveexec_b32 s7, vcc_lo
	s_delay_alu instid0(SALU_CYCLE_1)
	s_xor_b32 s10, exec_lo, s7
	s_cbranch_execz .LBB6_10481
; %bb.10468:                            ;   in Loop: Header=BB6_7543 Depth=2
	v_and_b32_e32 v6, 0x7fffffff, v3
	v_mov_b32_e32 v7, v25
	s_delay_alu instid0(VALU_DEP_1) | instskip(SKIP_2) | instid1(SALU_CYCLE_1)
	v_cmp_gt_u64_e32 vcc_lo, 0x47600001, v[6:7]
	v_and_b32_e32 v7, 0x80, v0
                                        ; implicit-def: $vgpr6
	s_and_saveexec_b32 s7, vcc_lo
	s_xor_b32 s14, exec_lo, s7
	s_cbranch_execz .LBB6_10478
; %bb.10469:                            ;   in Loop: Header=BB6_7543 Depth=2
	v_mov_b32_e32 v6, 0
	s_mov_b32 s41, exec_lo
	v_cmpx_ne_u32_e32 0, v3
	s_cbranch_execz .LBB6_10477
; %bb.10470:                            ;   in Loop: Header=BB6_7543 Depth=2
	v_bfe_u32 v6, v3, 23, 8
	v_or_b32_e32 v1, 0x800000, v24
	s_delay_alu instid0(VALU_DEP_2) | instskip(SKIP_2) | instid1(VALU_DEP_2)
	v_cmp_gt_u32_e64 s7, 0x72, v6
	v_sub_nc_u32_e32 v0, 0x71, v6
	v_cmp_eq_u32_e32 vcc_lo, 0, v6
	v_cndmask_b32_e64 v0, 0, v0, s7
	s_delay_alu instid0(VALU_DEP_1) | instskip(NEXT) | instid1(VALU_DEP_1)
	v_cndmask_b32_e64 v98, v0, 0x70, vcc_lo
	v_dual_cndmask_b32 v24, v1, v24, vcc_lo :: v_dual_add_nc_u32 v0, 21, v98
	v_add_nc_u32_e32 v2, 20, v98
	s_delay_alu instid0(VALU_DEP_2) | instskip(NEXT) | instid1(VALU_DEP_2)
	v_lshlrev_b64_e64 v[0:1], v0, -1
	v_lshlrev_b64_e64 v[2:3], v2, 1
	s_delay_alu instid0(VALU_DEP_2) | instskip(NEXT) | instid1(VALU_DEP_3)
	v_bfi_b32 v1, v1, 0, 0
	v_bfi_b32 v0, v0, 0, v24
	s_delay_alu instid0(VALU_DEP_1) | instskip(SKIP_1) | instid1(VALU_DEP_1)
	v_cmp_eq_u64_e64 s7, v[0:1], v[2:3]
	v_lshrrev_b64 v[0:1], v98, v[24:25]
	v_mov_b64_e32 v[2:3], v[0:1]
	s_and_saveexec_b32 s42, s7
; %bb.10471:                            ;   in Loop: Header=BB6_7543 Depth=2
	v_bfe_u32 v24, v0, 21, 1
	s_delay_alu instid0(VALU_DEP_1) | instskip(NEXT) | instid1(VALU_DEP_1)
	v_add_nc_u64_e32 v[2:3], v[0:1], v[24:25]
	v_add_nc_u64_e32 v[2:3], -1, v[2:3]
; %bb.10472:                            ;   in Loop: Header=BB6_7543 Depth=2
	s_or_b32 exec_lo, exec_lo, s42
	v_add_nc_u32_e32 v1, 0xffffff81, v6
	v_lshrrev_b32_e32 v3, 23, v0
	s_mov_b32 s7, exec_lo
	s_delay_alu instid0(VALU_DEP_2) | instskip(NEXT) | instid1(VALU_DEP_1)
	v_cndmask_b32_e64 v1, v1, 0xffffff82, vcc_lo
	v_add3_u32 v3, v98, v1, v3
	v_and_b32_e32 v1, 0x1fffff, v2
                                        ; implicit-def: $vgpr2
	s_delay_alu instid0(VALU_DEP_1) | instskip(NEXT) | instid1(VALU_DEP_1)
	v_dual_add_nc_u32 v6, 14, v3 :: v_dual_add_nc_u32 v24, v1, v0
                                        ; implicit-def: $vgpr0_vgpr1
	v_cmpx_ne_u32_e32 0, v6
	s_xor_b32 s7, exec_lo, s7
; %bb.10473:                            ;   in Loop: Header=BB6_7543 Depth=2
	s_delay_alu instid0(VALU_DEP_2) | instskip(SKIP_1) | instid1(VALU_DEP_1)
	v_cmp_lt_u64_e32 vcc_lo, 0xffffff, v[24:25]
	v_add_nc_u32_e32 v0, 15, v3
	v_cndmask_b32_e32 v2, v6, v0, vcc_lo
	v_cndmask_b32_e64 v0, 0, 1, vcc_lo
	s_delay_alu instid0(VALU_DEP_1)
	v_lshrrev_b64 v[0:1], v0, v[24:25]
; %bb.10474:                            ;   in Loop: Header=BB6_7543 Depth=2
	s_and_not1_saveexec_b32 s7, s7
; %bb.10475:                            ;   in Loop: Header=BB6_7543 Depth=2
	v_mov_b64_e32 v[0:1], v[24:25]
	v_bfe_u32 v2, v24, 23, 1
; %bb.10476:                            ;   in Loop: Header=BB6_7543 Depth=2
	s_or_b32 exec_lo, exec_lo, s7
	s_delay_alu instid0(VALU_DEP_2) | instskip(NEXT) | instid1(VALU_DEP_2)
	v_lshrrev_b64 v[0:1], 21, v[0:1]
	v_cmp_gt_i32_e32 vcc_lo, 32, v2
	v_min_i32_e32 v3, 31, v2
	v_cmp_eq_u32_e64 s7, 0, v2
	s_delay_alu instid0(VALU_DEP_2) | instskip(SKIP_1) | instid1(VALU_DEP_2)
	v_dual_cndmask_b32 v1, 0, v1, vcc_lo :: v_dual_lshlrev_b32 v3, 2, v3
	v_cndmask_b32_e32 v0, 3, v0, vcc_lo
	v_and_b32_e32 v3, 0xfc, v3
	s_delay_alu instid0(VALU_DEP_2) | instskip(NEXT) | instid1(VALU_DEP_2)
	v_cmp_eq_u64_e32 vcc_lo, 0, v[0:1]
	v_and_or_b32 v0, v0, 3, v3
	s_and_b32 s7, s7, vcc_lo
	s_delay_alu instid0(VALU_DEP_1) | instid1(SALU_CYCLE_1)
	v_cndmask_b32_e64 v0, v0, 0, s7
	s_delay_alu instid0(VALU_DEP_1)
	v_or_b32_e32 v6, v0, v7
.LBB6_10477:                            ;   in Loop: Header=BB6_7543 Depth=2
	s_or_b32 exec_lo, exec_lo, s41
                                        ; implicit-def: $vgpr7
.LBB6_10478:                            ;   in Loop: Header=BB6_7543 Depth=2
	s_and_not1_saveexec_b32 s7, s14
; %bb.10479:                            ;   in Loop: Header=BB6_7543 Depth=2
	v_or_b32_e32 v6, 0x7b, v7
; %bb.10480:                            ;   in Loop: Header=BB6_7543 Depth=2
	s_or_b32 exec_lo, exec_lo, s7
                                        ; implicit-def: $vgpr3
                                        ; implicit-def: $vgpr0
.LBB6_10481:                            ;   in Loop: Header=BB6_7543 Depth=2
	s_and_not1_saveexec_b32 s7, s10
	s_cbranch_execz .LBB6_10487
; %bb.10482:                            ;   in Loop: Header=BB6_7543 Depth=2
	s_mov_b32 s10, exec_lo
                                        ; implicit-def: $vgpr6
	v_cmpx_ne_u64_e32 0, v[24:25]
	s_xor_b32 s10, exec_lo, s10
; %bb.10483:                            ;   in Loop: Header=BB6_7543 Depth=2
	v_or_b32_e32 v6, 0x7f, v0
                                        ; implicit-def: $vgpr3
; %bb.10484:                            ;   in Loop: Header=BB6_7543 Depth=2
	s_and_not1_saveexec_b32 s10, s10
; %bb.10485:                            ;   in Loop: Header=BB6_7543 Depth=2
	v_cmp_lt_i32_e32 vcc_lo, -1, v3
	v_cndmask_b32_e32 v6, 0xfc, v41, vcc_lo
; %bb.10486:                            ;   in Loop: Header=BB6_7543 Depth=2
	s_or_b32 exec_lo, exec_lo, s10
.LBB6_10487:                            ;   in Loop: Header=BB6_7543 Depth=2
	s_delay_alu instid0(SALU_CYCLE_1) | instskip(SKIP_4) | instid1(VALU_DEP_2)
	s_or_b32 exec_lo, exec_lo, s7
	v_lshrrev_b32_e32 v2, 16, v5
	v_lshrrev_b32_e32 v0, 16, v21
	s_and_not1_b32 vcc_lo, exec_lo, s13
	s_mov_b32 s10, -1
                                        ; implicit-def: $vgpr3
	v_and_b32_e32 v1, 0xff, v2
	s_delay_alu instid0(VALU_DEP_1)
	v_cmp_ne_u16_e64 s7, 0, v1
	s_cbranch_vccnz .LBB6_10509
; %bb.10488:                            ;   in Loop: Header=BB6_7543 Depth=2
	v_dual_mov_b32 v7, 0 :: v_dual_mov_b32 v3, 0
	s_and_saveexec_b32 s10, s7
	s_cbranch_execz .LBB6_10498
; %bb.10489:                            ;   in Loop: Header=BB6_7543 Depth=2
	v_bfrev_b32_e32 v3, 1
	s_mov_b32 s14, exec_lo
	v_cmpx_ne_u16_e32 0x80, v1
	s_cbranch_execz .LBB6_10497
; %bb.10490:                            ;   in Loop: Header=BB6_7543 Depth=2
	v_and_b32_e32 v3, 0x7c0000, v5
	v_bfe_u32 v24, v5, 16, 2
	s_delay_alu instid0(VALU_DEP_2) | instskip(SKIP_1) | instid1(SALU_CYCLE_1)
	v_cmp_ne_u32_e32 vcc_lo, 0x7c0000, v3
                                        ; implicit-def: $vgpr3
	s_and_saveexec_b32 s41, vcc_lo
	s_xor_b32 s41, exec_lo, s41
	s_cbranch_execz .LBB6_10494
; %bb.10491:                            ;   in Loop: Header=BB6_7543 Depth=2
	v_bfe_u32 v3, v5, 18, 5
	s_mov_b32 s42, exec_lo
	s_delay_alu instid0(VALU_DEP_1)
	v_cmpx_eq_u32_e32 0, v3
; %bb.10492:                            ;   in Loop: Header=BB6_7543 Depth=2
	v_clz_i32_u32_e32 v3, v24
	s_delay_alu instid0(VALU_DEP_1) | instskip(NEXT) | instid1(VALU_DEP_1)
	v_min_u32_e32 v3, 32, v3
	v_subrev_nc_u32_e32 v24, 29, v3
	s_delay_alu instid0(VALU_DEP_1) | instskip(NEXT) | instid1(VALU_DEP_1)
	v_lshlrev_b64_e32 v[98:99], v24, v[2:3]
	v_dual_sub_nc_u32 v3, 30, v3 :: v_dual_bitop2_b32 v24, 3, v98 bitop3:0x40
; %bb.10493:                            ;   in Loop: Header=BB6_7543 Depth=2
	s_or_b32 exec_lo, exec_lo, s42
	v_lshlrev_b32_e32 v98, 24, v2
	s_delay_alu instid0(VALU_DEP_1) | instskip(NEXT) | instid1(VALU_DEP_1)
	v_and_b32_e32 v98, 0x80000000, v98
	v_lshl_add_u32 v3, v3, 23, v98
	s_delay_alu instid0(VALU_DEP_1) | instskip(NEXT) | instid1(VALU_DEP_1)
	v_lshl_or_b32 v3, v24, 21, v3
                                        ; implicit-def: $vgpr24
	v_add_nc_u32_e32 v3, 0x38000000, v3
.LBB6_10494:                            ;   in Loop: Header=BB6_7543 Depth=2
	s_and_not1_saveexec_b32 s41, s41
; %bb.10495:                            ;   in Loop: Header=BB6_7543 Depth=2
	v_bfe_i32 v3, v2, 0, 8
	s_delay_alu instid0(VALU_DEP_1) | instskip(SKIP_2) | instid1(VALU_DEP_2)
	v_cmp_lt_i16_e32 vcc_lo, -1, v3
	v_cndmask_b32_e32 v3, 0xff800000, v75, vcc_lo
	v_cmp_eq_u32_e32 vcc_lo, 0, v24
	v_cndmask_b32_e32 v3, 0x7f800001, v3, vcc_lo
; %bb.10496:                            ;   in Loop: Header=BB6_7543 Depth=2
	s_or_b32 exec_lo, exec_lo, s41
.LBB6_10497:                            ;   in Loop: Header=BB6_7543 Depth=2
	s_delay_alu instid0(SALU_CYCLE_1)
	s_or_b32 exec_lo, exec_lo, s14
.LBB6_10498:                            ;   in Loop: Header=BB6_7543 Depth=2
	s_delay_alu instid0(SALU_CYCLE_1) | instskip(SKIP_2) | instid1(VALU_DEP_1)
	s_or_b32 exec_lo, exec_lo, s10
	v_and_b32_e32 v24, 0xff, v0
	s_mov_b32 s10, exec_lo
	v_cmpx_ne_u16_e32 0, v24
	s_cbranch_execz .LBB6_10508
; %bb.10499:                            ;   in Loop: Header=BB6_7543 Depth=2
	v_bfrev_b32_e32 v7, 1
	s_mov_b32 s14, exec_lo
	v_cmpx_ne_u16_e32 0x80, v24
	s_cbranch_execz .LBB6_10507
; %bb.10500:                            ;   in Loop: Header=BB6_7543 Depth=2
	v_and_b32_e32 v7, 0x7c0000, v21
	v_bfe_u32 v24, v21, 16, 2
	s_delay_alu instid0(VALU_DEP_2) | instskip(SKIP_1) | instid1(SALU_CYCLE_1)
	v_cmp_ne_u32_e32 vcc_lo, 0x7c0000, v7
                                        ; implicit-def: $vgpr7
	s_and_saveexec_b32 s41, vcc_lo
	s_xor_b32 s41, exec_lo, s41
	s_cbranch_execz .LBB6_10504
; %bb.10501:                            ;   in Loop: Header=BB6_7543 Depth=2
	v_bfe_u32 v7, v21, 18, 5
	s_mov_b32 s42, exec_lo
	s_delay_alu instid0(VALU_DEP_1)
	v_cmpx_eq_u32_e32 0, v7
; %bb.10502:                            ;   in Loop: Header=BB6_7543 Depth=2
	v_clz_i32_u32_e32 v7, v24
	s_delay_alu instid0(VALU_DEP_1) | instskip(NEXT) | instid1(VALU_DEP_1)
	v_min_u32_e32 v7, 32, v7
	v_subrev_nc_u32_e32 v24, 29, v7
	s_delay_alu instid0(VALU_DEP_1) | instskip(NEXT) | instid1(VALU_DEP_1)
	v_lshlrev_b64_e32 v[98:99], v24, v[0:1]
	v_dual_sub_nc_u32 v7, 30, v7 :: v_dual_bitop2_b32 v24, 3, v98 bitop3:0x40
; %bb.10503:                            ;   in Loop: Header=BB6_7543 Depth=2
	s_or_b32 exec_lo, exec_lo, s42
	v_lshlrev_b32_e32 v98, 24, v0
	s_delay_alu instid0(VALU_DEP_1) | instskip(NEXT) | instid1(VALU_DEP_1)
	v_and_b32_e32 v98, 0x80000000, v98
	v_lshl_add_u32 v7, v7, 23, v98
	s_delay_alu instid0(VALU_DEP_1) | instskip(NEXT) | instid1(VALU_DEP_1)
	v_lshl_or_b32 v7, v24, 21, v7
                                        ; implicit-def: $vgpr24
	v_add_nc_u32_e32 v7, 0x38000000, v7
.LBB6_10504:                            ;   in Loop: Header=BB6_7543 Depth=2
	s_and_not1_saveexec_b32 s41, s41
; %bb.10505:                            ;   in Loop: Header=BB6_7543 Depth=2
	v_bfe_i32 v7, v0, 0, 8
	s_delay_alu instid0(VALU_DEP_1) | instskip(SKIP_2) | instid1(VALU_DEP_2)
	v_cmp_lt_i16_e32 vcc_lo, -1, v7
	v_cndmask_b32_e32 v7, 0xff800000, v75, vcc_lo
	v_cmp_eq_u32_e32 vcc_lo, 0, v24
	v_cndmask_b32_e32 v7, 0x7f800001, v7, vcc_lo
; %bb.10506:                            ;   in Loop: Header=BB6_7543 Depth=2
	s_or_b32 exec_lo, exec_lo, s41
.LBB6_10507:                            ;   in Loop: Header=BB6_7543 Depth=2
	s_delay_alu instid0(SALU_CYCLE_1)
	s_or_b32 exec_lo, exec_lo, s14
.LBB6_10508:                            ;   in Loop: Header=BB6_7543 Depth=2
	s_delay_alu instid0(SALU_CYCLE_1) | instskip(NEXT) | instid1(VALU_DEP_1)
	s_or_b32 exec_lo, exec_lo, s10
	v_max_num_f32_e32 v7, v7, v7
	v_max_num_f32_e32 v3, v3, v3
	s_mov_b32 s10, 0
	s_delay_alu instid0(VALU_DEP_1)
	v_max_num_f32_e32 v3, v3, v7
.LBB6_10509:                            ;   in Loop: Header=BB6_7543 Depth=2
	s_and_b32 vcc_lo, exec_lo, s10
	s_cbranch_vccz .LBB6_10531
; %bb.10510:                            ;   in Loop: Header=BB6_7543 Depth=2
	v_dual_mov_b32 v7, 0 :: v_dual_mov_b32 v3, 0
	s_and_saveexec_b32 s10, s7
	s_cbranch_execz .LBB6_10520
; %bb.10511:                            ;   in Loop: Header=BB6_7543 Depth=2
	v_bfrev_b32_e32 v3, 1
	s_mov_b32 s7, exec_lo
	v_cmpx_ne_u16_e32 0x80, v1
	s_cbranch_execz .LBB6_10519
; %bb.10512:                            ;   in Loop: Header=BB6_7543 Depth=2
	v_and_b32_e32 v3, 0x7c0000, v5
	v_bfe_u32 v1, v5, 16, 2
	s_delay_alu instid0(VALU_DEP_2) | instskip(SKIP_1) | instid1(SALU_CYCLE_1)
	v_cmp_ne_u32_e32 vcc_lo, 0x7c0000, v3
                                        ; implicit-def: $vgpr3
	s_and_saveexec_b32 s14, vcc_lo
	s_xor_b32 s14, exec_lo, s14
	s_cbranch_execz .LBB6_10516
; %bb.10513:                            ;   in Loop: Header=BB6_7543 Depth=2
	v_bfe_u32 v3, v5, 18, 5
	s_mov_b32 s41, exec_lo
	s_delay_alu instid0(VALU_DEP_1)
	v_cmpx_eq_u32_e32 0, v3
; %bb.10514:                            ;   in Loop: Header=BB6_7543 Depth=2
	v_clz_i32_u32_e32 v1, v1
	s_delay_alu instid0(VALU_DEP_1) | instskip(NEXT) | instid1(VALU_DEP_1)
	v_min_u32_e32 v1, 32, v1
	v_subrev_nc_u32_e32 v3, 29, v1
	s_delay_alu instid0(VALU_DEP_1) | instskip(NEXT) | instid1(VALU_DEP_1)
	v_lshlrev_b64_e32 v[98:99], v3, v[2:3]
	v_dual_sub_nc_u32 v3, 30, v1 :: v_dual_bitop2_b32 v1, 3, v98 bitop3:0x40
; %bb.10515:                            ;   in Loop: Header=BB6_7543 Depth=2
	s_or_b32 exec_lo, exec_lo, s41
	v_lshlrev_b32_e32 v2, 24, v2
	s_delay_alu instid0(VALU_DEP_1) | instskip(NEXT) | instid1(VALU_DEP_1)
	v_and_b32_e32 v2, 0x80000000, v2
	v_lshl_add_u32 v2, v3, 23, v2
	s_delay_alu instid0(VALU_DEP_1) | instskip(NEXT) | instid1(VALU_DEP_1)
	v_lshl_or_b32 v1, v1, 21, v2
                                        ; implicit-def: $vgpr2
	v_add_nc_u32_e32 v3, 0x38000000, v1
                                        ; implicit-def: $vgpr1
.LBB6_10516:                            ;   in Loop: Header=BB6_7543 Depth=2
	s_and_not1_saveexec_b32 s14, s14
; %bb.10517:                            ;   in Loop: Header=BB6_7543 Depth=2
	v_bfe_i32 v2, v2, 0, 8
	s_delay_alu instid0(VALU_DEP_1) | instskip(SKIP_2) | instid1(VALU_DEP_2)
	v_cmp_lt_i16_e32 vcc_lo, -1, v2
	v_cndmask_b32_e32 v2, 0xff800000, v75, vcc_lo
	v_cmp_eq_u32_e32 vcc_lo, 0, v1
	v_cndmask_b32_e32 v3, 0x7f800001, v2, vcc_lo
; %bb.10518:                            ;   in Loop: Header=BB6_7543 Depth=2
	s_or_b32 exec_lo, exec_lo, s14
.LBB6_10519:                            ;   in Loop: Header=BB6_7543 Depth=2
	s_delay_alu instid0(SALU_CYCLE_1)
	s_or_b32 exec_lo, exec_lo, s7
.LBB6_10520:                            ;   in Loop: Header=BB6_7543 Depth=2
	s_delay_alu instid0(SALU_CYCLE_1) | instskip(SKIP_2) | instid1(VALU_DEP_1)
	s_or_b32 exec_lo, exec_lo, s10
	v_and_b32_e32 v1, 0xff, v0
	s_mov_b32 s7, exec_lo
	v_cmpx_ne_u16_e32 0, v1
	s_cbranch_execz .LBB6_10530
; %bb.10521:                            ;   in Loop: Header=BB6_7543 Depth=2
	v_bfrev_b32_e32 v7, 1
	s_mov_b32 s10, exec_lo
	v_cmpx_ne_u16_e32 0x80, v1
	s_cbranch_execz .LBB6_10529
; %bb.10522:                            ;   in Loop: Header=BB6_7543 Depth=2
	v_and_b32_e32 v2, 0x7c0000, v21
	v_bfe_u32 v1, v21, 16, 2
	s_mov_b32 s14, exec_lo
                                        ; implicit-def: $vgpr7
	s_delay_alu instid0(VALU_DEP_2)
	v_cmpx_ne_u32_e32 0x7c0000, v2
	s_xor_b32 s14, exec_lo, s14
	s_cbranch_execz .LBB6_10526
; %bb.10523:                            ;   in Loop: Header=BB6_7543 Depth=2
	v_bfe_u32 v2, v21, 18, 5
	s_mov_b32 s41, exec_lo
	s_delay_alu instid0(VALU_DEP_1)
	v_cmpx_eq_u32_e32 0, v2
; %bb.10524:                            ;   in Loop: Header=BB6_7543 Depth=2
	v_clz_i32_u32_e32 v1, v1
	s_delay_alu instid0(VALU_DEP_1) | instskip(NEXT) | instid1(VALU_DEP_1)
	v_min_u32_e32 v1, 32, v1
	v_subrev_nc_u32_e32 v2, 29, v1
	s_delay_alu instid0(VALU_DEP_1) | instskip(NEXT) | instid1(VALU_DEP_1)
	v_lshlrev_b64_e32 v[98:99], v2, v[0:1]
	v_dual_sub_nc_u32 v2, 30, v1 :: v_dual_bitop2_b32 v1, 3, v98 bitop3:0x40
; %bb.10525:                            ;   in Loop: Header=BB6_7543 Depth=2
	s_or_b32 exec_lo, exec_lo, s41
	v_lshlrev_b32_e32 v0, 24, v0
	s_delay_alu instid0(VALU_DEP_1) | instskip(NEXT) | instid1(VALU_DEP_1)
	v_and_b32_e32 v0, 0x80000000, v0
	v_lshl_add_u32 v0, v2, 23, v0
	s_delay_alu instid0(VALU_DEP_1) | instskip(NEXT) | instid1(VALU_DEP_1)
	v_lshl_or_b32 v0, v1, 21, v0
                                        ; implicit-def: $vgpr1
	v_add_nc_u32_e32 v7, 0x38000000, v0
                                        ; implicit-def: $vgpr0
.LBB6_10526:                            ;   in Loop: Header=BB6_7543 Depth=2
	s_and_not1_saveexec_b32 s14, s14
; %bb.10527:                            ;   in Loop: Header=BB6_7543 Depth=2
	v_bfe_i32 v0, v0, 0, 8
	s_delay_alu instid0(VALU_DEP_1) | instskip(SKIP_2) | instid1(VALU_DEP_2)
	v_cmp_lt_i16_e32 vcc_lo, -1, v0
	v_cndmask_b32_e32 v0, 0xff800000, v75, vcc_lo
	v_cmp_eq_u32_e32 vcc_lo, 0, v1
	v_cndmask_b32_e32 v7, 0x7f800001, v0, vcc_lo
; %bb.10528:                            ;   in Loop: Header=BB6_7543 Depth=2
	s_or_b32 exec_lo, exec_lo, s14
.LBB6_10529:                            ;   in Loop: Header=BB6_7543 Depth=2
	s_delay_alu instid0(SALU_CYCLE_1)
	s_or_b32 exec_lo, exec_lo, s10
.LBB6_10530:                            ;   in Loop: Header=BB6_7543 Depth=2
	s_delay_alu instid0(SALU_CYCLE_1) | instskip(NEXT) | instid1(VALU_DEP_1)
	s_or_b32 exec_lo, exec_lo, s7
	v_max_num_f32_e32 v0, v7, v7
	v_max_num_f32_e32 v1, v3, v3
	s_delay_alu instid0(VALU_DEP_1)
	v_min_num_f32_e32 v3, v1, v0
.LBB6_10531:                            ;   in Loop: Header=BB6_7543 Depth=2
	s_delay_alu instid0(VALU_DEP_1) | instskip(SKIP_2) | instid1(VALU_DEP_2)
	v_and_b32_e32 v0, 0x7f800000, v3
	v_mov_b32_e32 v1, v25
	v_and_b32_e32 v24, 0x7fffff, v3
                                        ; implicit-def: $vgpr7
	v_cmp_ne_u64_e32 vcc_lo, 0x7f800000, v[0:1]
	v_lshrrev_b32_e32 v0, 24, v3
	s_and_saveexec_b32 s7, vcc_lo
	s_delay_alu instid0(SALU_CYCLE_1)
	s_xor_b32 s10, exec_lo, s7
	s_cbranch_execz .LBB6_10545
; %bb.10532:                            ;   in Loop: Header=BB6_7543 Depth=2
	v_and_b32_e32 v98, 0x7fffffff, v3
	v_mov_b32_e32 v99, v25
                                        ; implicit-def: $vgpr7
	s_delay_alu instid0(VALU_DEP_1) | instskip(SKIP_2) | instid1(SALU_CYCLE_1)
	v_cmp_gt_u64_e32 vcc_lo, 0x47600001, v[98:99]
	v_and_b32_e32 v98, 0x80, v0
	s_and_saveexec_b32 s7, vcc_lo
	s_xor_b32 s14, exec_lo, s7
	s_cbranch_execz .LBB6_10542
; %bb.10533:                            ;   in Loop: Header=BB6_7543 Depth=2
	v_mov_b32_e32 v7, 0
	s_mov_b32 s41, exec_lo
	v_cmpx_ne_u32_e32 0, v3
	s_cbranch_execz .LBB6_10541
; %bb.10534:                            ;   in Loop: Header=BB6_7543 Depth=2
	v_bfe_u32 v7, v3, 23, 8
	v_or_b32_e32 v1, 0x800000, v24
	s_delay_alu instid0(VALU_DEP_2) | instskip(SKIP_2) | instid1(VALU_DEP_2)
	v_cmp_gt_u32_e64 s7, 0x72, v7
	v_sub_nc_u32_e32 v0, 0x71, v7
	v_cmp_eq_u32_e32 vcc_lo, 0, v7
	v_cndmask_b32_e64 v0, 0, v0, s7
	s_delay_alu instid0(VALU_DEP_1) | instskip(NEXT) | instid1(VALU_DEP_1)
	v_cndmask_b32_e64 v99, v0, 0x70, vcc_lo
	v_dual_cndmask_b32 v24, v1, v24, vcc_lo :: v_dual_add_nc_u32 v0, 21, v99
	v_add_nc_u32_e32 v2, 20, v99
	s_delay_alu instid0(VALU_DEP_2) | instskip(NEXT) | instid1(VALU_DEP_2)
	v_lshlrev_b64_e64 v[0:1], v0, -1
	v_lshlrev_b64_e64 v[2:3], v2, 1
	s_delay_alu instid0(VALU_DEP_2) | instskip(NEXT) | instid1(VALU_DEP_3)
	v_bfi_b32 v1, v1, 0, 0
	v_bfi_b32 v0, v0, 0, v24
	s_delay_alu instid0(VALU_DEP_1) | instskip(SKIP_1) | instid1(VALU_DEP_1)
	v_cmp_eq_u64_e64 s7, v[0:1], v[2:3]
	v_lshrrev_b64 v[0:1], v99, v[24:25]
	v_mov_b64_e32 v[2:3], v[0:1]
	s_and_saveexec_b32 s42, s7
; %bb.10535:                            ;   in Loop: Header=BB6_7543 Depth=2
	v_bfe_u32 v24, v0, 21, 1
	s_delay_alu instid0(VALU_DEP_1) | instskip(NEXT) | instid1(VALU_DEP_1)
	v_add_nc_u64_e32 v[2:3], v[0:1], v[24:25]
	v_add_nc_u64_e32 v[2:3], -1, v[2:3]
; %bb.10536:                            ;   in Loop: Header=BB6_7543 Depth=2
	s_or_b32 exec_lo, exec_lo, s42
	v_add_nc_u32_e32 v1, 0xffffff81, v7
	v_lshrrev_b32_e32 v3, 23, v0
	s_mov_b32 s7, exec_lo
	s_delay_alu instid0(VALU_DEP_2) | instskip(NEXT) | instid1(VALU_DEP_1)
	v_cndmask_b32_e64 v1, v1, 0xffffff82, vcc_lo
	v_add3_u32 v3, v99, v1, v3
	v_and_b32_e32 v1, 0x1fffff, v2
                                        ; implicit-def: $vgpr2
	s_delay_alu instid0(VALU_DEP_1) | instskip(NEXT) | instid1(VALU_DEP_1)
	v_dual_add_nc_u32 v7, 14, v3 :: v_dual_add_nc_u32 v24, v1, v0
                                        ; implicit-def: $vgpr0_vgpr1
	v_cmpx_ne_u32_e32 0, v7
	s_xor_b32 s7, exec_lo, s7
; %bb.10537:                            ;   in Loop: Header=BB6_7543 Depth=2
	s_delay_alu instid0(VALU_DEP_2) | instskip(SKIP_1) | instid1(VALU_DEP_1)
	v_cmp_lt_u64_e32 vcc_lo, 0xffffff, v[24:25]
	v_add_nc_u32_e32 v0, 15, v3
	v_cndmask_b32_e32 v2, v7, v0, vcc_lo
	v_cndmask_b32_e64 v0, 0, 1, vcc_lo
	s_delay_alu instid0(VALU_DEP_1)
	v_lshrrev_b64 v[0:1], v0, v[24:25]
; %bb.10538:                            ;   in Loop: Header=BB6_7543 Depth=2
	s_and_not1_saveexec_b32 s7, s7
; %bb.10539:                            ;   in Loop: Header=BB6_7543 Depth=2
	v_mov_b64_e32 v[0:1], v[24:25]
	v_bfe_u32 v2, v24, 23, 1
; %bb.10540:                            ;   in Loop: Header=BB6_7543 Depth=2
	s_or_b32 exec_lo, exec_lo, s7
	s_delay_alu instid0(VALU_DEP_2) | instskip(NEXT) | instid1(VALU_DEP_2)
	v_lshrrev_b64 v[0:1], 21, v[0:1]
	v_cmp_gt_i32_e32 vcc_lo, 32, v2
	v_min_i32_e32 v3, 31, v2
	v_cmp_eq_u32_e64 s7, 0, v2
	s_delay_alu instid0(VALU_DEP_2) | instskip(SKIP_1) | instid1(VALU_DEP_2)
	v_dual_cndmask_b32 v1, 0, v1, vcc_lo :: v_dual_lshlrev_b32 v3, 2, v3
	v_cndmask_b32_e32 v0, 3, v0, vcc_lo
	v_and_b32_e32 v3, 0xfc, v3
	s_delay_alu instid0(VALU_DEP_2) | instskip(NEXT) | instid1(VALU_DEP_2)
	v_cmp_eq_u64_e32 vcc_lo, 0, v[0:1]
	v_and_or_b32 v0, v0, 3, v3
	s_and_b32 s7, s7, vcc_lo
	s_delay_alu instid0(VALU_DEP_1) | instid1(SALU_CYCLE_1)
	v_cndmask_b32_e64 v0, v0, 0, s7
	s_delay_alu instid0(VALU_DEP_1)
	v_or_b32_e32 v7, v0, v98
.LBB6_10541:                            ;   in Loop: Header=BB6_7543 Depth=2
	s_or_b32 exec_lo, exec_lo, s41
                                        ; implicit-def: $vgpr98
.LBB6_10542:                            ;   in Loop: Header=BB6_7543 Depth=2
	s_and_not1_saveexec_b32 s7, s14
; %bb.10543:                            ;   in Loop: Header=BB6_7543 Depth=2
	v_or_b32_e32 v7, 0x7b, v98
; %bb.10544:                            ;   in Loop: Header=BB6_7543 Depth=2
	s_or_b32 exec_lo, exec_lo, s7
                                        ; implicit-def: $vgpr3
                                        ; implicit-def: $vgpr0
.LBB6_10545:                            ;   in Loop: Header=BB6_7543 Depth=2
	s_and_not1_saveexec_b32 s7, s10
	s_cbranch_execz .LBB6_10551
; %bb.10546:                            ;   in Loop: Header=BB6_7543 Depth=2
	s_mov_b32 s10, exec_lo
                                        ; implicit-def: $vgpr7
	v_cmpx_ne_u64_e32 0, v[24:25]
	s_xor_b32 s10, exec_lo, s10
; %bb.10547:                            ;   in Loop: Header=BB6_7543 Depth=2
	v_or_b32_e32 v7, 0x7f, v0
                                        ; implicit-def: $vgpr3
; %bb.10548:                            ;   in Loop: Header=BB6_7543 Depth=2
	s_and_not1_saveexec_b32 s10, s10
; %bb.10549:                            ;   in Loop: Header=BB6_7543 Depth=2
	v_cmp_lt_i32_e32 vcc_lo, -1, v3
	v_cndmask_b32_e32 v7, 0xfc, v41, vcc_lo
; %bb.10550:                            ;   in Loop: Header=BB6_7543 Depth=2
	s_or_b32 exec_lo, exec_lo, s10
.LBB6_10551:                            ;   in Loop: Header=BB6_7543 Depth=2
	s_delay_alu instid0(SALU_CYCLE_1)
	s_or_b32 exec_lo, exec_lo, s7
	v_cmp_lt_u64_e64 s7, s[16:17], v[4:5]
	v_lshrrev_b32_e32 v2, 24, v5
	v_lshrrev_b32_e32 v0, 24, v21
	s_and_not1_b32 vcc_lo, exec_lo, s13
	s_mov_b32 s10, -1
                                        ; implicit-def: $vgpr1
	s_cbranch_vccnz .LBB6_10573
; %bb.10552:                            ;   in Loop: Header=BB6_7543 Depth=2
	v_dual_mov_b32 v3, 0 :: v_dual_mov_b32 v1, 0
	s_and_saveexec_b32 s10, s7
	s_cbranch_execz .LBB6_10562
; %bb.10553:                            ;   in Loop: Header=BB6_7543 Depth=2
	v_bfrev_b32_e32 v1, 1
	s_mov_b32 s14, exec_lo
	v_cmpx_ne_u32_e32 0x80, v2
	s_cbranch_execz .LBB6_10561
; %bb.10554:                            ;   in Loop: Header=BB6_7543 Depth=2
	v_and_b32_e32 v1, 0x7c000000, v5
	v_bfe_u32 v24, v5, 24, 2
	s_delay_alu instid0(VALU_DEP_2) | instskip(SKIP_1) | instid1(SALU_CYCLE_1)
	v_cmp_ne_u32_e32 vcc_lo, 0x7c000000, v1
                                        ; implicit-def: $vgpr1
	s_and_saveexec_b32 s41, vcc_lo
	s_xor_b32 s41, exec_lo, s41
	s_cbranch_execz .LBB6_10558
; %bb.10555:                            ;   in Loop: Header=BB6_7543 Depth=2
	v_bfe_u32 v1, v5, 26, 5
	s_mov_b32 s42, exec_lo
	s_delay_alu instid0(VALU_DEP_1)
	v_cmpx_eq_u32_e32 0, v1
; %bb.10556:                            ;   in Loop: Header=BB6_7543 Depth=2
	v_clz_i32_u32_e32 v1, v24
	s_delay_alu instid0(VALU_DEP_1) | instskip(NEXT) | instid1(VALU_DEP_1)
	v_min_u32_e32 v1, 32, v1
	v_subrev_nc_u32_e32 v24, 29, v1
	s_delay_alu instid0(VALU_DEP_1) | instskip(NEXT) | instid1(VALU_DEP_1)
	v_lshlrev_b64_e32 v[98:99], v24, v[2:3]
	v_dual_sub_nc_u32 v1, 30, v1 :: v_dual_bitop2_b32 v24, 3, v98 bitop3:0x40
; %bb.10557:                            ;   in Loop: Header=BB6_7543 Depth=2
	s_or_b32 exec_lo, exec_lo, s42
	v_and_b32_e32 v98, 0x80000000, v5
	s_delay_alu instid0(VALU_DEP_1) | instskip(NEXT) | instid1(VALU_DEP_1)
	v_lshl_add_u32 v1, v1, 23, v98
	v_lshl_or_b32 v1, v24, 21, v1
                                        ; implicit-def: $vgpr24
	s_delay_alu instid0(VALU_DEP_1)
	v_add_nc_u32_e32 v1, 0x38000000, v1
.LBB6_10558:                            ;   in Loop: Header=BB6_7543 Depth=2
	s_and_not1_saveexec_b32 s41, s41
; %bb.10559:                            ;   in Loop: Header=BB6_7543 Depth=2
	v_cmp_lt_i64_e32 vcc_lo, -1, v[4:5]
	v_cndmask_b32_e32 v1, 0xff800000, v75, vcc_lo
	v_cmp_eq_u32_e32 vcc_lo, 0, v24
	s_delay_alu instid0(VALU_DEP_2)
	v_cndmask_b32_e32 v1, 0x7f800001, v1, vcc_lo
; %bb.10560:                            ;   in Loop: Header=BB6_7543 Depth=2
	s_or_b32 exec_lo, exec_lo, s41
.LBB6_10561:                            ;   in Loop: Header=BB6_7543 Depth=2
	s_delay_alu instid0(SALU_CYCLE_1)
	s_or_b32 exec_lo, exec_lo, s14
.LBB6_10562:                            ;   in Loop: Header=BB6_7543 Depth=2
	s_delay_alu instid0(SALU_CYCLE_1) | instskip(NEXT) | instid1(SALU_CYCLE_1)
	s_or_b32 exec_lo, exec_lo, s10
	s_mov_b32 s10, exec_lo
	v_cmpx_lt_u64_e64 s[16:17], v[20:21]
	s_cbranch_execz .LBB6_10572
; %bb.10563:                            ;   in Loop: Header=BB6_7543 Depth=2
	v_bfrev_b32_e32 v3, 1
	s_mov_b32 s14, exec_lo
	v_cmpx_ne_u32_e32 0x80, v0
	s_cbranch_execz .LBB6_10571
; %bb.10564:                            ;   in Loop: Header=BB6_7543 Depth=2
	v_and_b32_e32 v3, 0x7c000000, v21
	v_bfe_u32 v24, v21, 24, 2
	s_delay_alu instid0(VALU_DEP_2) | instskip(SKIP_1) | instid1(SALU_CYCLE_1)
	v_cmp_ne_u32_e32 vcc_lo, 0x7c000000, v3
                                        ; implicit-def: $vgpr3
	s_and_saveexec_b32 s41, vcc_lo
	s_xor_b32 s41, exec_lo, s41
	s_cbranch_execz .LBB6_10568
; %bb.10565:                            ;   in Loop: Header=BB6_7543 Depth=2
	v_bfe_u32 v3, v21, 26, 5
	s_mov_b32 s42, exec_lo
	s_delay_alu instid0(VALU_DEP_1)
	v_cmpx_eq_u32_e32 0, v3
; %bb.10566:                            ;   in Loop: Header=BB6_7543 Depth=2
	v_clz_i32_u32_e32 v3, v24
	s_delay_alu instid0(VALU_DEP_1) | instskip(NEXT) | instid1(VALU_DEP_1)
	v_min_u32_e32 v3, 32, v3
	v_subrev_nc_u32_e32 v24, 29, v3
	s_delay_alu instid0(VALU_DEP_1) | instskip(NEXT) | instid1(VALU_DEP_1)
	v_lshlrev_b64_e32 v[98:99], v24, v[0:1]
	v_dual_sub_nc_u32 v3, 30, v3 :: v_dual_bitop2_b32 v24, 3, v98 bitop3:0x40
; %bb.10567:                            ;   in Loop: Header=BB6_7543 Depth=2
	s_or_b32 exec_lo, exec_lo, s42
	v_and_b32_e32 v98, 0x80000000, v21
	s_delay_alu instid0(VALU_DEP_1) | instskip(NEXT) | instid1(VALU_DEP_1)
	v_lshl_add_u32 v3, v3, 23, v98
	v_lshl_or_b32 v3, v24, 21, v3
                                        ; implicit-def: $vgpr24
	s_delay_alu instid0(VALU_DEP_1)
	v_add_nc_u32_e32 v3, 0x38000000, v3
.LBB6_10568:                            ;   in Loop: Header=BB6_7543 Depth=2
	s_and_not1_saveexec_b32 s41, s41
; %bb.10569:                            ;   in Loop: Header=BB6_7543 Depth=2
	v_cmp_lt_i64_e32 vcc_lo, -1, v[20:21]
	v_cndmask_b32_e32 v3, 0xff800000, v75, vcc_lo
	v_cmp_eq_u32_e32 vcc_lo, 0, v24
	s_delay_alu instid0(VALU_DEP_2)
	v_cndmask_b32_e32 v3, 0x7f800001, v3, vcc_lo
; %bb.10570:                            ;   in Loop: Header=BB6_7543 Depth=2
	s_or_b32 exec_lo, exec_lo, s41
.LBB6_10571:                            ;   in Loop: Header=BB6_7543 Depth=2
	s_delay_alu instid0(SALU_CYCLE_1)
	s_or_b32 exec_lo, exec_lo, s14
.LBB6_10572:                            ;   in Loop: Header=BB6_7543 Depth=2
	s_delay_alu instid0(SALU_CYCLE_1) | instskip(NEXT) | instid1(VALU_DEP_1)
	s_or_b32 exec_lo, exec_lo, s10
	v_dual_max_num_f32 v3, v3, v3 :: v_dual_max_num_f32 v1, v1, v1
	s_mov_b32 s10, 0
	s_delay_alu instid0(VALU_DEP_1)
	v_max_num_f32_e32 v1, v1, v3
.LBB6_10573:                            ;   in Loop: Header=BB6_7543 Depth=2
	s_and_b32 vcc_lo, exec_lo, s10
	s_cbranch_vccz .LBB6_10595
; %bb.10574:                            ;   in Loop: Header=BB6_7543 Depth=2
	v_dual_mov_b32 v3, 0 :: v_dual_mov_b32 v1, 0
	s_and_saveexec_b32 s10, s7
	s_cbranch_execz .LBB6_10584
; %bb.10575:                            ;   in Loop: Header=BB6_7543 Depth=2
	v_bfrev_b32_e32 v1, 1
	s_mov_b32 s7, exec_lo
	v_cmpx_ne_u32_e32 0x80, v2
	s_cbranch_execz .LBB6_10583
; %bb.10576:                            ;   in Loop: Header=BB6_7543 Depth=2
	v_and_b32_e32 v1, 0x7c000000, v5
	v_bfe_u32 v24, v5, 24, 2
	s_delay_alu instid0(VALU_DEP_2) | instskip(SKIP_1) | instid1(SALU_CYCLE_1)
	v_cmp_ne_u32_e32 vcc_lo, 0x7c000000, v1
                                        ; implicit-def: $vgpr1
	s_and_saveexec_b32 s14, vcc_lo
	s_xor_b32 s14, exec_lo, s14
	s_cbranch_execz .LBB6_10580
; %bb.10577:                            ;   in Loop: Header=BB6_7543 Depth=2
	v_bfe_u32 v1, v5, 26, 5
	s_mov_b32 s41, exec_lo
	s_delay_alu instid0(VALU_DEP_1)
	v_cmpx_eq_u32_e32 0, v1
; %bb.10578:                            ;   in Loop: Header=BB6_7543 Depth=2
	v_clz_i32_u32_e32 v1, v24
	s_delay_alu instid0(VALU_DEP_1) | instskip(NEXT) | instid1(VALU_DEP_1)
	v_min_u32_e32 v1, 32, v1
	v_subrev_nc_u32_e32 v4, 29, v1
	s_delay_alu instid0(VALU_DEP_1) | instskip(NEXT) | instid1(VALU_DEP_1)
	v_lshlrev_b64_e32 v[98:99], v4, v[2:3]
	v_dual_sub_nc_u32 v1, 30, v1 :: v_dual_bitop2_b32 v24, 3, v98 bitop3:0x40
; %bb.10579:                            ;   in Loop: Header=BB6_7543 Depth=2
	s_or_b32 exec_lo, exec_lo, s41
	v_and_b32_e32 v2, 0x80000000, v5
                                        ; implicit-def: $vgpr4_vgpr5
	s_delay_alu instid0(VALU_DEP_1) | instskip(NEXT) | instid1(VALU_DEP_1)
	v_lshl_add_u32 v1, v1, 23, v2
	v_lshl_or_b32 v1, v24, 21, v1
                                        ; implicit-def: $vgpr24
	s_delay_alu instid0(VALU_DEP_1)
	v_add_nc_u32_e32 v1, 0x38000000, v1
.LBB6_10580:                            ;   in Loop: Header=BB6_7543 Depth=2
	s_and_not1_saveexec_b32 s14, s14
; %bb.10581:                            ;   in Loop: Header=BB6_7543 Depth=2
	v_cmp_lt_i64_e32 vcc_lo, -1, v[4:5]
	v_cndmask_b32_e32 v1, 0xff800000, v75, vcc_lo
	v_cmp_eq_u32_e32 vcc_lo, 0, v24
	s_delay_alu instid0(VALU_DEP_2)
	v_cndmask_b32_e32 v1, 0x7f800001, v1, vcc_lo
; %bb.10582:                            ;   in Loop: Header=BB6_7543 Depth=2
	s_or_b32 exec_lo, exec_lo, s14
.LBB6_10583:                            ;   in Loop: Header=BB6_7543 Depth=2
	s_delay_alu instid0(SALU_CYCLE_1)
	s_or_b32 exec_lo, exec_lo, s7
.LBB6_10584:                            ;   in Loop: Header=BB6_7543 Depth=2
	s_delay_alu instid0(SALU_CYCLE_1) | instskip(NEXT) | instid1(SALU_CYCLE_1)
	s_or_b32 exec_lo, exec_lo, s10
	s_mov_b32 s7, exec_lo
	v_cmpx_lt_u64_e64 s[16:17], v[20:21]
	s_cbranch_execz .LBB6_10594
; %bb.10585:                            ;   in Loop: Header=BB6_7543 Depth=2
	v_bfrev_b32_e32 v3, 1
	s_mov_b32 s10, exec_lo
	v_cmpx_ne_u32_e32 0x80, v0
	s_cbranch_execz .LBB6_10593
; %bb.10586:                            ;   in Loop: Header=BB6_7543 Depth=2
	v_and_b32_e32 v3, 0x7c000000, v21
	v_bfe_u32 v2, v21, 24, 2
	s_delay_alu instid0(VALU_DEP_2) | instskip(SKIP_1) | instid1(SALU_CYCLE_1)
	v_cmp_ne_u32_e32 vcc_lo, 0x7c000000, v3
                                        ; implicit-def: $vgpr3
	s_and_saveexec_b32 s14, vcc_lo
	s_xor_b32 s14, exec_lo, s14
	s_cbranch_execz .LBB6_10590
; %bb.10587:                            ;   in Loop: Header=BB6_7543 Depth=2
	v_bfe_u32 v3, v21, 26, 5
	s_mov_b32 s41, exec_lo
	s_delay_alu instid0(VALU_DEP_1)
	v_cmpx_eq_u32_e32 0, v3
; %bb.10588:                            ;   in Loop: Header=BB6_7543 Depth=2
	v_clz_i32_u32_e32 v2, v2
	s_delay_alu instid0(VALU_DEP_1) | instskip(NEXT) | instid1(VALU_DEP_1)
	v_min_u32_e32 v4, 32, v2
	v_subrev_nc_u32_e32 v2, 29, v4
	s_delay_alu instid0(VALU_DEP_1) | instskip(NEXT) | instid1(VALU_DEP_1)
	v_lshlrev_b64_e32 v[2:3], v2, v[0:1]
	v_dual_sub_nc_u32 v3, 30, v4 :: v_dual_bitop2_b32 v2, 3, v2 bitop3:0x40
; %bb.10589:                            ;   in Loop: Header=BB6_7543 Depth=2
	s_or_b32 exec_lo, exec_lo, s41
	v_and_b32_e32 v0, 0x80000000, v21
                                        ; implicit-def: $vgpr20_vgpr21
	s_delay_alu instid0(VALU_DEP_1) | instskip(NEXT) | instid1(VALU_DEP_1)
	v_lshl_add_u32 v0, v3, 23, v0
	v_lshl_or_b32 v0, v2, 21, v0
                                        ; implicit-def: $vgpr2
	s_delay_alu instid0(VALU_DEP_1)
	v_add_nc_u32_e32 v3, 0x38000000, v0
.LBB6_10590:                            ;   in Loop: Header=BB6_7543 Depth=2
	s_and_not1_saveexec_b32 s14, s14
; %bb.10591:                            ;   in Loop: Header=BB6_7543 Depth=2
	v_cmp_lt_i64_e32 vcc_lo, -1, v[20:21]
	v_cndmask_b32_e32 v0, 0xff800000, v75, vcc_lo
	v_cmp_eq_u32_e32 vcc_lo, 0, v2
	s_delay_alu instid0(VALU_DEP_2)
	v_cndmask_b32_e32 v3, 0x7f800001, v0, vcc_lo
; %bb.10592:                            ;   in Loop: Header=BB6_7543 Depth=2
	s_or_b32 exec_lo, exec_lo, s14
.LBB6_10593:                            ;   in Loop: Header=BB6_7543 Depth=2
	s_delay_alu instid0(SALU_CYCLE_1)
	s_or_b32 exec_lo, exec_lo, s10
.LBB6_10594:                            ;   in Loop: Header=BB6_7543 Depth=2
	s_delay_alu instid0(SALU_CYCLE_1) | instskip(NEXT) | instid1(VALU_DEP_1)
	s_or_b32 exec_lo, exec_lo, s7
	v_dual_max_num_f32 v0, v3, v3 :: v_dual_max_num_f32 v1, v1, v1
	s_delay_alu instid0(VALU_DEP_1)
	v_min_num_f32_e32 v1, v1, v0
.LBB6_10595:                            ;   in Loop: Header=BB6_7543 Depth=2
	s_delay_alu instid0(VALU_DEP_1) | instskip(SKIP_3) | instid1(VALU_DEP_2)
	v_and_b32_e32 v2, 0x7f800000, v1
	v_dual_mov_b32 v3, v25 :: v_dual_lshrrev_b32 v0, 24, v1
	v_and_b32_e32 v24, 0x7fffff, v1
                                        ; implicit-def: $vgpr20
	s_mov_b32 s7, exec_lo
	v_cmpx_ne_u64_e32 0x7f800000, v[2:3]
	s_xor_b32 s10, exec_lo, s7
	s_cbranch_execz .LBB6_10609
; %bb.10596:                            ;   in Loop: Header=BB6_7543 Depth=2
	v_and_b32_e32 v2, 0x7fffffff, v1
	v_mov_b32_e32 v3, v25
	v_and_b32_e32 v4, 0x80, v0
                                        ; implicit-def: $vgpr20
	s_mov_b32 s7, exec_lo
	s_delay_alu instid0(VALU_DEP_2)
	v_cmpx_gt_u64_e32 0x47600001, v[2:3]
	s_xor_b32 s14, exec_lo, s7
	s_cbranch_execz .LBB6_10606
; %bb.10597:                            ;   in Loop: Header=BB6_7543 Depth=2
	v_mov_b32_e32 v20, 0
	s_mov_b32 s41, exec_lo
	v_cmpx_ne_u32_e32 0, v1
	s_cbranch_execz .LBB6_10605
; %bb.10598:                            ;   in Loop: Header=BB6_7543 Depth=2
	v_bfe_u32 v5, v1, 23, 8
	v_or_b32_e32 v1, 0x800000, v24
	s_delay_alu instid0(VALU_DEP_2) | instskip(SKIP_2) | instid1(VALU_DEP_2)
	v_cmp_gt_u32_e64 s7, 0x72, v5
	v_sub_nc_u32_e32 v0, 0x71, v5
	v_cmp_eq_u32_e32 vcc_lo, 0, v5
	v_cndmask_b32_e64 v0, 0, v0, s7
	v_cndmask_b32_e32 v24, v1, v24, vcc_lo
	s_delay_alu instid0(VALU_DEP_2) | instskip(NEXT) | instid1(VALU_DEP_1)
	v_cndmask_b32_e64 v20, v0, 0x70, vcc_lo
	v_dual_add_nc_u32 v0, 21, v20 :: v_dual_add_nc_u32 v2, 20, v20
	s_delay_alu instid0(VALU_DEP_1) | instskip(NEXT) | instid1(VALU_DEP_2)
	v_lshlrev_b64_e64 v[0:1], v0, -1
	v_lshlrev_b64_e64 v[2:3], v2, 1
	s_delay_alu instid0(VALU_DEP_2) | instskip(NEXT) | instid1(VALU_DEP_3)
	v_bfi_b32 v1, v1, 0, 0
	v_bfi_b32 v0, v0, 0, v24
	s_delay_alu instid0(VALU_DEP_1) | instskip(SKIP_1) | instid1(VALU_DEP_1)
	v_cmp_eq_u64_e64 s7, v[0:1], v[2:3]
	v_lshrrev_b64 v[0:1], v20, v[24:25]
	v_mov_b64_e32 v[2:3], v[0:1]
	s_and_saveexec_b32 s42, s7
; %bb.10599:                            ;   in Loop: Header=BB6_7543 Depth=2
	v_bfe_u32 v24, v0, 21, 1
	s_delay_alu instid0(VALU_DEP_1) | instskip(NEXT) | instid1(VALU_DEP_1)
	v_add_nc_u64_e32 v[2:3], v[0:1], v[24:25]
	v_add_nc_u64_e32 v[2:3], -1, v[2:3]
; %bb.10600:                            ;   in Loop: Header=BB6_7543 Depth=2
	s_or_b32 exec_lo, exec_lo, s42
	v_add_nc_u32_e32 v1, 0xffffff81, v5
	v_lshrrev_b32_e32 v3, 23, v0
	s_mov_b32 s7, exec_lo
	s_delay_alu instid0(VALU_DEP_2) | instskip(NEXT) | instid1(VALU_DEP_1)
	v_cndmask_b32_e64 v1, v1, 0xffffff82, vcc_lo
	v_add3_u32 v3, v20, v1, v3
	v_and_b32_e32 v1, 0x1fffff, v2
                                        ; implicit-def: $vgpr2
	s_delay_alu instid0(VALU_DEP_1) | instskip(NEXT) | instid1(VALU_DEP_1)
	v_dual_add_nc_u32 v5, 14, v3 :: v_dual_add_nc_u32 v24, v1, v0
                                        ; implicit-def: $vgpr0_vgpr1
	v_cmpx_ne_u32_e32 0, v5
	s_xor_b32 s7, exec_lo, s7
; %bb.10601:                            ;   in Loop: Header=BB6_7543 Depth=2
	s_delay_alu instid0(VALU_DEP_2) | instskip(SKIP_1) | instid1(VALU_DEP_1)
	v_cmp_lt_u64_e32 vcc_lo, 0xffffff, v[24:25]
	v_add_nc_u32_e32 v0, 15, v3
	v_cndmask_b32_e32 v2, v5, v0, vcc_lo
	v_cndmask_b32_e64 v0, 0, 1, vcc_lo
	s_delay_alu instid0(VALU_DEP_1)
	v_lshrrev_b64 v[0:1], v0, v[24:25]
; %bb.10602:                            ;   in Loop: Header=BB6_7543 Depth=2
	s_and_not1_saveexec_b32 s7, s7
; %bb.10603:                            ;   in Loop: Header=BB6_7543 Depth=2
	v_mov_b64_e32 v[0:1], v[24:25]
	v_bfe_u32 v2, v24, 23, 1
; %bb.10604:                            ;   in Loop: Header=BB6_7543 Depth=2
	s_or_b32 exec_lo, exec_lo, s7
	s_delay_alu instid0(VALU_DEP_2) | instskip(NEXT) | instid1(VALU_DEP_2)
	v_lshrrev_b64 v[0:1], 21, v[0:1]
	v_cmp_gt_i32_e32 vcc_lo, 32, v2
	v_min_i32_e32 v3, 31, v2
	v_cmp_eq_u32_e64 s7, 0, v2
	s_delay_alu instid0(VALU_DEP_2) | instskip(SKIP_1) | instid1(VALU_DEP_2)
	v_dual_cndmask_b32 v1, 0, v1, vcc_lo :: v_dual_lshlrev_b32 v3, 2, v3
	v_cndmask_b32_e32 v0, 3, v0, vcc_lo
	v_and_b32_e32 v3, 0xfc, v3
	s_delay_alu instid0(VALU_DEP_2) | instskip(NEXT) | instid1(VALU_DEP_2)
	v_cmp_eq_u64_e32 vcc_lo, 0, v[0:1]
	v_and_or_b32 v0, v0, 3, v3
	s_and_b32 s7, s7, vcc_lo
	s_delay_alu instid0(VALU_DEP_1) | instid1(SALU_CYCLE_1)
	v_cndmask_b32_e64 v0, v0, 0, s7
	s_delay_alu instid0(VALU_DEP_1)
	v_or_b32_e32 v20, v0, v4
.LBB6_10605:                            ;   in Loop: Header=BB6_7543 Depth=2
	s_or_b32 exec_lo, exec_lo, s41
                                        ; implicit-def: $vgpr4
.LBB6_10606:                            ;   in Loop: Header=BB6_7543 Depth=2
	s_and_not1_saveexec_b32 s7, s14
; %bb.10607:                            ;   in Loop: Header=BB6_7543 Depth=2
	v_or_b32_e32 v20, 0x7b, v4
; %bb.10608:                            ;   in Loop: Header=BB6_7543 Depth=2
	s_or_b32 exec_lo, exec_lo, s7
                                        ; implicit-def: $vgpr1
                                        ; implicit-def: $vgpr0
.LBB6_10609:                            ;   in Loop: Header=BB6_7543 Depth=2
	s_and_not1_saveexec_b32 s7, s10
	s_cbranch_execz .LBB6_10615
; %bb.10610:                            ;   in Loop: Header=BB6_7543 Depth=2
	s_mov_b32 s10, exec_lo
                                        ; implicit-def: $vgpr20
	v_cmpx_ne_u64_e32 0, v[24:25]
	s_xor_b32 s10, exec_lo, s10
; %bb.10611:                            ;   in Loop: Header=BB6_7543 Depth=2
	v_or_b32_e32 v20, 0x7f, v0
                                        ; implicit-def: $vgpr1
; %bb.10612:                            ;   in Loop: Header=BB6_7543 Depth=2
	s_and_not1_saveexec_b32 s10, s10
; %bb.10613:                            ;   in Loop: Header=BB6_7543 Depth=2
	v_cmp_lt_i32_e32 vcc_lo, -1, v1
	v_cndmask_b32_e32 v20, 0xfc, v41, vcc_lo
; %bb.10614:                            ;   in Loop: Header=BB6_7543 Depth=2
	s_or_b32 exec_lo, exec_lo, s10
.LBB6_10615:                            ;   in Loop: Header=BB6_7543 Depth=2
	s_delay_alu instid0(SALU_CYCLE_1)
	s_or_b32 exec_lo, exec_lo, s7
	v_and_b32_e32 v2, 0xff, v14
	v_bfe_i32 v1, v14, 0, 8
	s_wait_loadcnt 0x0
	v_bfe_i32 v0, v10, 0, 8
	s_and_not1_b32 vcc_lo, exec_lo, s13
	s_mov_b32 s10, -1
	v_cmp_ne_u16_e64 s7, 0, v2
                                        ; implicit-def: $vgpr2
	s_cbranch_vccnz .LBB6_10637
; %bb.10616:                            ;   in Loop: Header=BB6_7543 Depth=2
	v_dual_mov_b32 v3, 0 :: v_dual_mov_b32 v2, 0
	s_and_saveexec_b32 s10, s7
	s_cbranch_execz .LBB6_10626
; %bb.10617:                            ;   in Loop: Header=BB6_7543 Depth=2
	v_bfrev_b32_e32 v2, 1
	s_mov_b32 s14, exec_lo
	v_cmpx_ne_u16_e32 0xff80, v1
	s_cbranch_execz .LBB6_10625
; %bb.10618:                            ;   in Loop: Header=BB6_7543 Depth=2
	v_and_b32_e32 v2, 0x7c, v14
	v_and_b32_e32 v4, 3, v14
	s_delay_alu instid0(VALU_DEP_2) | instskip(SKIP_1) | instid1(SALU_CYCLE_1)
	v_cmp_ne_u32_e32 vcc_lo, 0x7c, v2
                                        ; implicit-def: $vgpr2
	s_and_saveexec_b32 s41, vcc_lo
	s_xor_b32 s41, exec_lo, s41
	s_cbranch_execz .LBB6_10622
; %bb.10619:                            ;   in Loop: Header=BB6_7543 Depth=2
	v_bfe_u32 v2, v14, 2, 5
	s_mov_b32 s42, exec_lo
	s_delay_alu instid0(VALU_DEP_1)
	v_cmpx_eq_u32_e32 0, v2
; %bb.10620:                            ;   in Loop: Header=BB6_7543 Depth=2
	v_clz_i32_u32_e32 v2, v4
	s_delay_alu instid0(VALU_DEP_1) | instskip(NEXT) | instid1(VALU_DEP_1)
	v_min_u32_e32 v2, 32, v2
	v_subrev_nc_u32_e32 v4, 29, v2
	s_delay_alu instid0(VALU_DEP_1) | instskip(NEXT) | instid1(VALU_DEP_1)
	v_lshlrev_b64_e32 v[4:5], v4, v[14:15]
	v_dual_sub_nc_u32 v2, 30, v2 :: v_dual_bitop2_b32 v4, 3, v4 bitop3:0x40
; %bb.10621:                            ;   in Loop: Header=BB6_7543 Depth=2
	s_or_b32 exec_lo, exec_lo, s42
	v_lshlrev_b32_e32 v5, 24, v14
	s_delay_alu instid0(VALU_DEP_1) | instskip(NEXT) | instid1(VALU_DEP_1)
	v_and_b32_e32 v5, 0x80000000, v5
	v_lshl_add_u32 v2, v2, 23, v5
	s_delay_alu instid0(VALU_DEP_1) | instskip(NEXT) | instid1(VALU_DEP_1)
	v_lshl_or_b32 v2, v4, 21, v2
                                        ; implicit-def: $vgpr4
	v_add_nc_u32_e32 v2, 0x38000000, v2
.LBB6_10622:                            ;   in Loop: Header=BB6_7543 Depth=2
	s_and_not1_saveexec_b32 s41, s41
; %bb.10623:                            ;   in Loop: Header=BB6_7543 Depth=2
	v_cmp_lt_i16_e32 vcc_lo, -1, v1
	v_cndmask_b32_e32 v2, 0xff800000, v75, vcc_lo
	v_cmp_eq_u32_e32 vcc_lo, 0, v4
	s_delay_alu instid0(VALU_DEP_2)
	v_cndmask_b32_e32 v2, 0x7f800001, v2, vcc_lo
; %bb.10624:                            ;   in Loop: Header=BB6_7543 Depth=2
	s_or_b32 exec_lo, exec_lo, s41
.LBB6_10625:                            ;   in Loop: Header=BB6_7543 Depth=2
	s_delay_alu instid0(SALU_CYCLE_1)
	s_or_b32 exec_lo, exec_lo, s14
.LBB6_10626:                            ;   in Loop: Header=BB6_7543 Depth=2
	s_delay_alu instid0(SALU_CYCLE_1) | instskip(NEXT) | instid1(SALU_CYCLE_1)
	s_or_b32 exec_lo, exec_lo, s10
	s_mov_b32 s10, exec_lo
	v_cmpx_ne_u16_e32 0, v0
	s_cbranch_execz .LBB6_10636
; %bb.10627:                            ;   in Loop: Header=BB6_7543 Depth=2
	v_bfrev_b32_e32 v3, 1
	s_mov_b32 s14, exec_lo
	v_cmpx_ne_u16_e32 0xff80, v0
	s_cbranch_execz .LBB6_10635
; %bb.10628:                            ;   in Loop: Header=BB6_7543 Depth=2
	v_and_b32_e32 v3, 0x7c, v10
	v_and_b32_e32 v4, 3, v10
	s_delay_alu instid0(VALU_DEP_2) | instskip(SKIP_1) | instid1(SALU_CYCLE_1)
	v_cmp_ne_u32_e32 vcc_lo, 0x7c, v3
                                        ; implicit-def: $vgpr3
	s_and_saveexec_b32 s41, vcc_lo
	s_xor_b32 s41, exec_lo, s41
	s_cbranch_execz .LBB6_10632
; %bb.10629:                            ;   in Loop: Header=BB6_7543 Depth=2
	v_bfe_u32 v3, v10, 2, 5
	s_mov_b32 s42, exec_lo
	s_delay_alu instid0(VALU_DEP_1)
	v_cmpx_eq_u32_e32 0, v3
; %bb.10630:                            ;   in Loop: Header=BB6_7543 Depth=2
	v_clz_i32_u32_e32 v3, v4
	s_delay_alu instid0(VALU_DEP_1) | instskip(NEXT) | instid1(VALU_DEP_1)
	v_min_u32_e32 v3, 32, v3
	v_subrev_nc_u32_e32 v4, 29, v3
	s_delay_alu instid0(VALU_DEP_1) | instskip(NEXT) | instid1(VALU_DEP_1)
	v_lshlrev_b64_e32 v[4:5], v4, v[10:11]
	v_dual_sub_nc_u32 v3, 30, v3 :: v_dual_bitop2_b32 v4, 3, v4 bitop3:0x40
; %bb.10631:                            ;   in Loop: Header=BB6_7543 Depth=2
	s_or_b32 exec_lo, exec_lo, s42
	v_lshlrev_b32_e32 v5, 24, v10
	s_delay_alu instid0(VALU_DEP_1) | instskip(NEXT) | instid1(VALU_DEP_1)
	v_and_b32_e32 v5, 0x80000000, v5
	v_lshl_add_u32 v3, v3, 23, v5
	s_delay_alu instid0(VALU_DEP_1) | instskip(NEXT) | instid1(VALU_DEP_1)
	v_lshl_or_b32 v3, v4, 21, v3
                                        ; implicit-def: $vgpr4
	v_add_nc_u32_e32 v3, 0x38000000, v3
.LBB6_10632:                            ;   in Loop: Header=BB6_7543 Depth=2
	s_and_not1_saveexec_b32 s41, s41
; %bb.10633:                            ;   in Loop: Header=BB6_7543 Depth=2
	v_cmp_lt_i16_e32 vcc_lo, -1, v0
	v_cndmask_b32_e32 v3, 0xff800000, v75, vcc_lo
	v_cmp_eq_u32_e32 vcc_lo, 0, v4
	s_delay_alu instid0(VALU_DEP_2)
	v_cndmask_b32_e32 v3, 0x7f800001, v3, vcc_lo
; %bb.10634:                            ;   in Loop: Header=BB6_7543 Depth=2
	s_or_b32 exec_lo, exec_lo, s41
.LBB6_10635:                            ;   in Loop: Header=BB6_7543 Depth=2
	s_delay_alu instid0(SALU_CYCLE_1)
	s_or_b32 exec_lo, exec_lo, s14
.LBB6_10636:                            ;   in Loop: Header=BB6_7543 Depth=2
	s_delay_alu instid0(SALU_CYCLE_1) | instskip(NEXT) | instid1(VALU_DEP_1)
	s_or_b32 exec_lo, exec_lo, s10
	v_dual_max_num_f32 v3, v3, v3 :: v_dual_max_num_f32 v2, v2, v2
	s_mov_b32 s10, 0
	s_delay_alu instid0(VALU_DEP_1)
	v_max_num_f32_e32 v2, v2, v3
.LBB6_10637:                            ;   in Loop: Header=BB6_7543 Depth=2
	s_and_b32 vcc_lo, exec_lo, s10
	s_cbranch_vccz .LBB6_10659
; %bb.10638:                            ;   in Loop: Header=BB6_7543 Depth=2
	v_dual_mov_b32 v3, 0 :: v_dual_mov_b32 v2, 0
	s_and_saveexec_b32 s10, s7
	s_cbranch_execz .LBB6_10648
; %bb.10639:                            ;   in Loop: Header=BB6_7543 Depth=2
	v_bfrev_b32_e32 v2, 1
	s_mov_b32 s7, exec_lo
	v_cmpx_ne_u16_e32 0xff80, v1
	s_cbranch_execz .LBB6_10647
; %bb.10640:                            ;   in Loop: Header=BB6_7543 Depth=2
	v_and_b32_e32 v2, 0x7c, v14
	v_and_b32_e32 v4, 3, v14
	s_delay_alu instid0(VALU_DEP_2) | instskip(SKIP_1) | instid1(SALU_CYCLE_1)
	v_cmp_ne_u32_e32 vcc_lo, 0x7c, v2
                                        ; implicit-def: $vgpr2
	s_and_saveexec_b32 s14, vcc_lo
	s_xor_b32 s14, exec_lo, s14
	s_cbranch_execz .LBB6_10644
; %bb.10641:                            ;   in Loop: Header=BB6_7543 Depth=2
	v_bfe_u32 v1, v14, 2, 5
	s_mov_b32 s41, exec_lo
	s_delay_alu instid0(VALU_DEP_1)
	v_cmpx_eq_u32_e32 0, v1
; %bb.10642:                            ;   in Loop: Header=BB6_7543 Depth=2
	v_clz_i32_u32_e32 v1, v4
	s_delay_alu instid0(VALU_DEP_1) | instskip(NEXT) | instid1(VALU_DEP_1)
	v_min_u32_e32 v1, 32, v1
	v_subrev_nc_u32_e32 v2, 29, v1
	s_delay_alu instid0(VALU_DEP_1) | instskip(NEXT) | instid1(VALU_DEP_1)
	v_lshlrev_b64_e32 v[4:5], v2, v[14:15]
	v_dual_sub_nc_u32 v1, 30, v1 :: v_dual_bitop2_b32 v4, 3, v4 bitop3:0x40
; %bb.10643:                            ;   in Loop: Header=BB6_7543 Depth=2
	s_or_b32 exec_lo, exec_lo, s41
	v_lshlrev_b32_e32 v2, 24, v14
	s_delay_alu instid0(VALU_DEP_1) | instskip(NEXT) | instid1(VALU_DEP_1)
	v_and_b32_e32 v2, 0x80000000, v2
	v_lshl_add_u32 v1, v1, 23, v2
	s_delay_alu instid0(VALU_DEP_1) | instskip(NEXT) | instid1(VALU_DEP_1)
	v_lshl_or_b32 v1, v4, 21, v1
                                        ; implicit-def: $vgpr4
	v_add_nc_u32_e32 v2, 0x38000000, v1
                                        ; implicit-def: $vgpr1
.LBB6_10644:                            ;   in Loop: Header=BB6_7543 Depth=2
	s_and_not1_saveexec_b32 s14, s14
; %bb.10645:                            ;   in Loop: Header=BB6_7543 Depth=2
	v_cmp_lt_i16_e32 vcc_lo, -1, v1
	v_cndmask_b32_e32 v1, 0xff800000, v75, vcc_lo
	v_cmp_eq_u32_e32 vcc_lo, 0, v4
	s_delay_alu instid0(VALU_DEP_2)
	v_cndmask_b32_e32 v2, 0x7f800001, v1, vcc_lo
; %bb.10646:                            ;   in Loop: Header=BB6_7543 Depth=2
	s_or_b32 exec_lo, exec_lo, s14
.LBB6_10647:                            ;   in Loop: Header=BB6_7543 Depth=2
	s_delay_alu instid0(SALU_CYCLE_1)
	s_or_b32 exec_lo, exec_lo, s7
.LBB6_10648:                            ;   in Loop: Header=BB6_7543 Depth=2
	s_delay_alu instid0(SALU_CYCLE_1) | instskip(NEXT) | instid1(SALU_CYCLE_1)
	s_or_b32 exec_lo, exec_lo, s10
	s_mov_b32 s7, exec_lo
	v_cmpx_ne_u16_e32 0, v0
	s_cbranch_execz .LBB6_10658
; %bb.10649:                            ;   in Loop: Header=BB6_7543 Depth=2
	v_bfrev_b32_e32 v3, 1
	s_mov_b32 s10, exec_lo
	v_cmpx_ne_u16_e32 0xff80, v0
	s_cbranch_execz .LBB6_10657
; %bb.10650:                            ;   in Loop: Header=BB6_7543 Depth=2
	v_and_b32_e32 v3, 0x7c, v10
	v_and_b32_e32 v1, 3, v10
	s_delay_alu instid0(VALU_DEP_2) | instskip(SKIP_1) | instid1(SALU_CYCLE_1)
	v_cmp_ne_u32_e32 vcc_lo, 0x7c, v3
                                        ; implicit-def: $vgpr3
	s_and_saveexec_b32 s14, vcc_lo
	s_xor_b32 s14, exec_lo, s14
	s_cbranch_execz .LBB6_10654
; %bb.10651:                            ;   in Loop: Header=BB6_7543 Depth=2
	v_bfe_u32 v0, v10, 2, 5
	s_mov_b32 s41, exec_lo
	s_delay_alu instid0(VALU_DEP_1)
	v_cmpx_eq_u32_e32 0, v0
; %bb.10652:                            ;   in Loop: Header=BB6_7543 Depth=2
	v_clz_i32_u32_e32 v0, v1
	s_delay_alu instid0(VALU_DEP_1) | instskip(NEXT) | instid1(VALU_DEP_1)
	v_min_u32_e32 v0, 32, v0
	v_subrev_nc_u32_e32 v1, 29, v0
	v_sub_nc_u32_e32 v0, 30, v0
	s_delay_alu instid0(VALU_DEP_2) | instskip(NEXT) | instid1(VALU_DEP_1)
	v_lshlrev_b64_e32 v[4:5], v1, v[10:11]
	v_and_b32_e32 v1, 3, v4
; %bb.10653:                            ;   in Loop: Header=BB6_7543 Depth=2
	s_or_b32 exec_lo, exec_lo, s41
	v_lshlrev_b32_e32 v3, 24, v10
	s_delay_alu instid0(VALU_DEP_1) | instskip(NEXT) | instid1(VALU_DEP_1)
	v_and_b32_e32 v3, 0x80000000, v3
	v_lshl_add_u32 v0, v0, 23, v3
	s_delay_alu instid0(VALU_DEP_1) | instskip(NEXT) | instid1(VALU_DEP_1)
	v_lshl_or_b32 v0, v1, 21, v0
                                        ; implicit-def: $vgpr1
	v_add_nc_u32_e32 v3, 0x38000000, v0
                                        ; implicit-def: $vgpr0
.LBB6_10654:                            ;   in Loop: Header=BB6_7543 Depth=2
	s_and_not1_saveexec_b32 s14, s14
; %bb.10655:                            ;   in Loop: Header=BB6_7543 Depth=2
	v_cmp_lt_i16_e32 vcc_lo, -1, v0
	v_cndmask_b32_e32 v0, 0xff800000, v75, vcc_lo
	v_cmp_eq_u32_e32 vcc_lo, 0, v1
	s_delay_alu instid0(VALU_DEP_2)
	v_cndmask_b32_e32 v3, 0x7f800001, v0, vcc_lo
; %bb.10656:                            ;   in Loop: Header=BB6_7543 Depth=2
	s_or_b32 exec_lo, exec_lo, s14
.LBB6_10657:                            ;   in Loop: Header=BB6_7543 Depth=2
	s_delay_alu instid0(SALU_CYCLE_1)
	s_or_b32 exec_lo, exec_lo, s10
.LBB6_10658:                            ;   in Loop: Header=BB6_7543 Depth=2
	s_delay_alu instid0(SALU_CYCLE_1) | instskip(NEXT) | instid1(VALU_DEP_1)
	s_or_b32 exec_lo, exec_lo, s7
	v_dual_max_num_f32 v0, v3, v3 :: v_dual_max_num_f32 v1, v2, v2
	s_delay_alu instid0(VALU_DEP_1)
	v_min_num_f32_e32 v2, v1, v0
.LBB6_10659:                            ;   in Loop: Header=BB6_7543 Depth=2
	s_delay_alu instid0(VALU_DEP_1) | instskip(SKIP_2) | instid1(VALU_DEP_2)
	v_and_b32_e32 v0, 0x7f800000, v2
	v_mov_b32_e32 v1, v25
	v_and_b32_e32 v24, 0x7fffff, v2
                                        ; implicit-def: $vgpr21
	v_cmp_ne_u64_e32 vcc_lo, 0x7f800000, v[0:1]
	v_lshrrev_b32_e32 v0, 24, v2
	s_and_saveexec_b32 s7, vcc_lo
	s_delay_alu instid0(SALU_CYCLE_1)
	s_xor_b32 s10, exec_lo, s7
	s_cbranch_execz .LBB6_10673
; %bb.10660:                            ;   in Loop: Header=BB6_7543 Depth=2
	v_and_b32_e32 v4, 0x7fffffff, v2
	v_mov_b32_e32 v5, v25
                                        ; implicit-def: $vgpr21
	s_delay_alu instid0(VALU_DEP_1) | instskip(SKIP_2) | instid1(SALU_CYCLE_1)
	v_cmp_gt_u64_e32 vcc_lo, 0x47600001, v[4:5]
	v_and_b32_e32 v4, 0x80, v0
	s_and_saveexec_b32 s7, vcc_lo
	s_xor_b32 s14, exec_lo, s7
	s_cbranch_execz .LBB6_10670
; %bb.10661:                            ;   in Loop: Header=BB6_7543 Depth=2
	v_mov_b32_e32 v21, 0
	s_mov_b32 s41, exec_lo
	v_cmpx_ne_u32_e32 0, v2
	s_cbranch_execz .LBB6_10669
; %bb.10662:                            ;   in Loop: Header=BB6_7543 Depth=2
	v_bfe_u32 v5, v2, 23, 8
	v_or_b32_e32 v1, 0x800000, v24
	s_delay_alu instid0(VALU_DEP_2) | instskip(SKIP_2) | instid1(VALU_DEP_2)
	v_cmp_gt_u32_e64 s7, 0x72, v5
	v_sub_nc_u32_e32 v0, 0x71, v5
	v_cmp_eq_u32_e32 vcc_lo, 0, v5
	v_cndmask_b32_e64 v0, 0, v0, s7
	s_delay_alu instid0(VALU_DEP_1) | instskip(NEXT) | instid1(VALU_DEP_1)
	v_cndmask_b32_e64 v21, v0, 0x70, vcc_lo
	v_dual_cndmask_b32 v24, v1, v24, vcc_lo :: v_dual_add_nc_u32 v0, 21, v21
	v_add_nc_u32_e32 v2, 20, v21
	s_delay_alu instid0(VALU_DEP_2) | instskip(NEXT) | instid1(VALU_DEP_2)
	v_lshlrev_b64_e64 v[0:1], v0, -1
	v_lshlrev_b64_e64 v[2:3], v2, 1
	s_delay_alu instid0(VALU_DEP_2) | instskip(NEXT) | instid1(VALU_DEP_3)
	v_bfi_b32 v1, v1, 0, 0
	v_bfi_b32 v0, v0, 0, v24
	s_delay_alu instid0(VALU_DEP_1) | instskip(SKIP_1) | instid1(VALU_DEP_1)
	v_cmp_eq_u64_e64 s7, v[0:1], v[2:3]
	v_lshrrev_b64 v[0:1], v21, v[24:25]
	v_mov_b64_e32 v[2:3], v[0:1]
	s_and_saveexec_b32 s42, s7
; %bb.10663:                            ;   in Loop: Header=BB6_7543 Depth=2
	v_bfe_u32 v24, v0, 21, 1
	s_delay_alu instid0(VALU_DEP_1) | instskip(NEXT) | instid1(VALU_DEP_1)
	v_add_nc_u64_e32 v[2:3], v[0:1], v[24:25]
	v_add_nc_u64_e32 v[2:3], -1, v[2:3]
; %bb.10664:                            ;   in Loop: Header=BB6_7543 Depth=2
	s_or_b32 exec_lo, exec_lo, s42
	v_add_nc_u32_e32 v1, 0xffffff81, v5
	v_lshrrev_b32_e32 v3, 23, v0
	s_mov_b32 s7, exec_lo
	s_delay_alu instid0(VALU_DEP_2) | instskip(NEXT) | instid1(VALU_DEP_1)
	v_cndmask_b32_e64 v1, v1, 0xffffff82, vcc_lo
	v_add3_u32 v3, v21, v1, v3
	v_and_b32_e32 v1, 0x1fffff, v2
                                        ; implicit-def: $vgpr2
	s_delay_alu instid0(VALU_DEP_1) | instskip(NEXT) | instid1(VALU_DEP_1)
	v_dual_add_nc_u32 v5, 14, v3 :: v_dual_add_nc_u32 v24, v1, v0
                                        ; implicit-def: $vgpr0_vgpr1
	v_cmpx_ne_u32_e32 0, v5
	s_xor_b32 s7, exec_lo, s7
; %bb.10665:                            ;   in Loop: Header=BB6_7543 Depth=2
	s_delay_alu instid0(VALU_DEP_2) | instskip(SKIP_1) | instid1(VALU_DEP_1)
	v_cmp_lt_u64_e32 vcc_lo, 0xffffff, v[24:25]
	v_add_nc_u32_e32 v0, 15, v3
	v_cndmask_b32_e32 v2, v5, v0, vcc_lo
	v_cndmask_b32_e64 v0, 0, 1, vcc_lo
	s_delay_alu instid0(VALU_DEP_1)
	v_lshrrev_b64 v[0:1], v0, v[24:25]
; %bb.10666:                            ;   in Loop: Header=BB6_7543 Depth=2
	s_and_not1_saveexec_b32 s7, s7
; %bb.10667:                            ;   in Loop: Header=BB6_7543 Depth=2
	v_mov_b64_e32 v[0:1], v[24:25]
	v_bfe_u32 v2, v24, 23, 1
; %bb.10668:                            ;   in Loop: Header=BB6_7543 Depth=2
	s_or_b32 exec_lo, exec_lo, s7
	s_delay_alu instid0(VALU_DEP_2) | instskip(NEXT) | instid1(VALU_DEP_2)
	v_lshrrev_b64 v[0:1], 21, v[0:1]
	v_cmp_gt_i32_e32 vcc_lo, 32, v2
	v_min_i32_e32 v3, 31, v2
	v_cmp_eq_u32_e64 s7, 0, v2
	s_delay_alu instid0(VALU_DEP_2) | instskip(SKIP_1) | instid1(VALU_DEP_2)
	v_dual_cndmask_b32 v1, 0, v1, vcc_lo :: v_dual_lshlrev_b32 v3, 2, v3
	v_cndmask_b32_e32 v0, 3, v0, vcc_lo
	v_and_b32_e32 v3, 0xfc, v3
	s_delay_alu instid0(VALU_DEP_2) | instskip(NEXT) | instid1(VALU_DEP_2)
	v_cmp_eq_u64_e32 vcc_lo, 0, v[0:1]
	v_and_or_b32 v0, v0, 3, v3
	s_and_b32 s7, s7, vcc_lo
	s_delay_alu instid0(VALU_DEP_1) | instid1(SALU_CYCLE_1)
	v_cndmask_b32_e64 v0, v0, 0, s7
	s_delay_alu instid0(VALU_DEP_1)
	v_or_b32_e32 v21, v0, v4
.LBB6_10669:                            ;   in Loop: Header=BB6_7543 Depth=2
	s_or_b32 exec_lo, exec_lo, s41
                                        ; implicit-def: $vgpr4
.LBB6_10670:                            ;   in Loop: Header=BB6_7543 Depth=2
	s_and_not1_saveexec_b32 s7, s14
; %bb.10671:                            ;   in Loop: Header=BB6_7543 Depth=2
	v_or_b32_e32 v21, 0x7b, v4
; %bb.10672:                            ;   in Loop: Header=BB6_7543 Depth=2
	s_or_b32 exec_lo, exec_lo, s7
                                        ; implicit-def: $vgpr2
                                        ; implicit-def: $vgpr0
.LBB6_10673:                            ;   in Loop: Header=BB6_7543 Depth=2
	s_and_not1_saveexec_b32 s7, s10
	s_cbranch_execz .LBB6_10679
; %bb.10674:                            ;   in Loop: Header=BB6_7543 Depth=2
	s_mov_b32 s10, exec_lo
                                        ; implicit-def: $vgpr21
	v_cmpx_ne_u64_e32 0, v[24:25]
	s_xor_b32 s10, exec_lo, s10
; %bb.10675:                            ;   in Loop: Header=BB6_7543 Depth=2
	v_or_b32_e32 v21, 0x7f, v0
                                        ; implicit-def: $vgpr2
; %bb.10676:                            ;   in Loop: Header=BB6_7543 Depth=2
	s_and_not1_saveexec_b32 s10, s10
; %bb.10677:                            ;   in Loop: Header=BB6_7543 Depth=2
	v_cmp_lt_i32_e32 vcc_lo, -1, v2
	v_cndmask_b32_e32 v21, 0xfc, v41, vcc_lo
; %bb.10678:                            ;   in Loop: Header=BB6_7543 Depth=2
	s_or_b32 exec_lo, exec_lo, s10
.LBB6_10679:                            ;   in Loop: Header=BB6_7543 Depth=2
	s_delay_alu instid0(SALU_CYCLE_1) | instskip(SKIP_4) | instid1(VALU_DEP_2)
	s_or_b32 exec_lo, exec_lo, s7
	v_lshrrev_b16 v24, 8, v14
	v_lshrrev_b16 v0, 8, v10
	s_and_not1_b32 vcc_lo, exec_lo, s13
	s_mov_b32 s10, -1
                                        ; implicit-def: $vgpr1
	v_and_b32_e32 v2, 0xffff, v24
	v_cmp_ne_u16_e64 s7, 0, v24
	s_cbranch_vccnz .LBB6_10701
; %bb.10680:                            ;   in Loop: Header=BB6_7543 Depth=2
	v_dual_mov_b32 v1, 0 :: v_dual_mov_b32 v3, 0
	s_and_saveexec_b32 s10, s7
	s_cbranch_execz .LBB6_10690
; %bb.10681:                            ;   in Loop: Header=BB6_7543 Depth=2
	v_bfrev_b32_e32 v3, 1
	s_mov_b32 s14, exec_lo
	v_cmpx_ne_u16_e32 0x80, v24
	s_cbranch_execz .LBB6_10689
; %bb.10682:                            ;   in Loop: Header=BB6_7543 Depth=2
	v_and_b32_e32 v3, 0x7c, v2
	v_and_b32_e32 v4, 3, v2
	s_delay_alu instid0(VALU_DEP_2) | instskip(SKIP_1) | instid1(SALU_CYCLE_1)
	v_cmp_ne_u32_e32 vcc_lo, 0x7c, v3
                                        ; implicit-def: $vgpr3
	s_and_saveexec_b32 s41, vcc_lo
	s_xor_b32 s41, exec_lo, s41
	s_cbranch_execz .LBB6_10686
; %bb.10683:                            ;   in Loop: Header=BB6_7543 Depth=2
	v_bfe_u32 v3, v2, 2, 5
	s_mov_b32 s42, exec_lo
	s_delay_alu instid0(VALU_DEP_1)
	v_cmpx_eq_u32_e32 0, v3
; %bb.10684:                            ;   in Loop: Header=BB6_7543 Depth=2
	v_clz_i32_u32_e32 v3, v4
	s_delay_alu instid0(VALU_DEP_1) | instskip(NEXT) | instid1(VALU_DEP_1)
	v_min_u32_e32 v3, 32, v3
	v_subrev_nc_u32_e32 v4, 29, v3
	s_delay_alu instid0(VALU_DEP_1) | instskip(NEXT) | instid1(VALU_DEP_1)
	v_lshlrev_b64_e32 v[4:5], v4, v[24:25]
	v_dual_sub_nc_u32 v3, 30, v3 :: v_dual_bitop2_b32 v4, 3, v4 bitop3:0x40
; %bb.10685:                            ;   in Loop: Header=BB6_7543 Depth=2
	s_or_b32 exec_lo, exec_lo, s42
	v_lshlrev_b32_e32 v5, 16, v14
	s_delay_alu instid0(VALU_DEP_1) | instskip(NEXT) | instid1(VALU_DEP_1)
	v_and_b32_e32 v5, 0x80000000, v5
	v_lshl_add_u32 v3, v3, 23, v5
	s_delay_alu instid0(VALU_DEP_1) | instskip(NEXT) | instid1(VALU_DEP_1)
	v_lshl_or_b32 v3, v4, 21, v3
                                        ; implicit-def: $vgpr4
	v_add_nc_u32_e32 v3, 0x38000000, v3
.LBB6_10686:                            ;   in Loop: Header=BB6_7543 Depth=2
	s_and_not1_saveexec_b32 s41, s41
; %bb.10687:                            ;   in Loop: Header=BB6_7543 Depth=2
	v_cmp_lt_i16_e32 vcc_lo, -1, v14
	v_cndmask_b32_e32 v3, 0xff800000, v75, vcc_lo
	v_cmp_eq_u32_e32 vcc_lo, 0, v4
	s_delay_alu instid0(VALU_DEP_2)
	v_cndmask_b32_e32 v3, 0x7f800001, v3, vcc_lo
; %bb.10688:                            ;   in Loop: Header=BB6_7543 Depth=2
	s_or_b32 exec_lo, exec_lo, s41
.LBB6_10689:                            ;   in Loop: Header=BB6_7543 Depth=2
	s_delay_alu instid0(SALU_CYCLE_1)
	s_or_b32 exec_lo, exec_lo, s14
.LBB6_10690:                            ;   in Loop: Header=BB6_7543 Depth=2
	s_delay_alu instid0(SALU_CYCLE_1) | instskip(NEXT) | instid1(SALU_CYCLE_1)
	s_or_b32 exec_lo, exec_lo, s10
	s_mov_b32 s10, exec_lo
	v_cmpx_ne_u16_e32 0, v0
	s_cbranch_execz .LBB6_10700
; %bb.10691:                            ;   in Loop: Header=BB6_7543 Depth=2
	v_bfrev_b32_e32 v1, 1
	s_mov_b32 s14, exec_lo
	v_cmpx_ne_u16_e32 0x80, v0
	s_cbranch_execz .LBB6_10699
; %bb.10692:                            ;   in Loop: Header=BB6_7543 Depth=2
	v_and_b32_e32 v5, 0xffff, v0
	s_delay_alu instid0(VALU_DEP_1) | instskip(SKIP_1) | instid1(VALU_DEP_2)
	v_and_b32_e32 v1, 0x7c, v5
	v_and_b32_e32 v4, 3, v5
	v_cmp_ne_u32_e32 vcc_lo, 0x7c, v1
                                        ; implicit-def: $vgpr1
	s_and_saveexec_b32 s41, vcc_lo
	s_delay_alu instid0(SALU_CYCLE_1)
	s_xor_b32 s41, exec_lo, s41
	s_cbranch_execz .LBB6_10696
; %bb.10693:                            ;   in Loop: Header=BB6_7543 Depth=2
	v_bfe_u32 v1, v5, 2, 5
	s_mov_b32 s42, exec_lo
	s_delay_alu instid0(VALU_DEP_1)
	v_cmpx_eq_u32_e32 0, v1
; %bb.10694:                            ;   in Loop: Header=BB6_7543 Depth=2
	v_clz_i32_u32_e32 v1, v4
	s_delay_alu instid0(VALU_DEP_1) | instskip(SKIP_1) | instid1(VALU_DEP_2)
	v_min_u32_e32 v98, 32, v1
	v_mov_b32_e32 v1, v25
	v_subrev_nc_u32_e32 v4, 29, v98
	s_delay_alu instid0(VALU_DEP_1) | instskip(NEXT) | instid1(VALU_DEP_1)
	v_lshlrev_b64_e32 v[4:5], v4, v[0:1]
	v_dual_sub_nc_u32 v1, 30, v98 :: v_dual_bitop2_b32 v4, 3, v4 bitop3:0x40
; %bb.10695:                            ;   in Loop: Header=BB6_7543 Depth=2
	s_or_b32 exec_lo, exec_lo, s42
	v_lshlrev_b32_e32 v5, 16, v10
	s_delay_alu instid0(VALU_DEP_1) | instskip(NEXT) | instid1(VALU_DEP_1)
	v_and_b32_e32 v5, 0x80000000, v5
	v_lshl_add_u32 v1, v1, 23, v5
	s_delay_alu instid0(VALU_DEP_1) | instskip(NEXT) | instid1(VALU_DEP_1)
	v_lshl_or_b32 v1, v4, 21, v1
                                        ; implicit-def: $vgpr4
	v_add_nc_u32_e32 v1, 0x38000000, v1
.LBB6_10696:                            ;   in Loop: Header=BB6_7543 Depth=2
	s_and_not1_saveexec_b32 s41, s41
; %bb.10697:                            ;   in Loop: Header=BB6_7543 Depth=2
	v_cmp_lt_i16_e32 vcc_lo, -1, v10
	v_cndmask_b32_e32 v1, 0xff800000, v75, vcc_lo
	v_cmp_eq_u32_e32 vcc_lo, 0, v4
	s_delay_alu instid0(VALU_DEP_2)
	v_cndmask_b32_e32 v1, 0x7f800001, v1, vcc_lo
; %bb.10698:                            ;   in Loop: Header=BB6_7543 Depth=2
	s_or_b32 exec_lo, exec_lo, s41
.LBB6_10699:                            ;   in Loop: Header=BB6_7543 Depth=2
	s_delay_alu instid0(SALU_CYCLE_1)
	s_or_b32 exec_lo, exec_lo, s14
.LBB6_10700:                            ;   in Loop: Header=BB6_7543 Depth=2
	s_delay_alu instid0(SALU_CYCLE_1) | instskip(NEXT) | instid1(VALU_DEP_1)
	s_or_b32 exec_lo, exec_lo, s10
	v_dual_max_num_f32 v1, v1, v1 :: v_dual_max_num_f32 v3, v3, v3
	s_mov_b32 s10, 0
	s_delay_alu instid0(VALU_DEP_1)
	v_max_num_f32_e32 v1, v3, v1
.LBB6_10701:                            ;   in Loop: Header=BB6_7543 Depth=2
	s_and_b32 vcc_lo, exec_lo, s10
	s_cbranch_vccz .LBB6_10723
; %bb.10702:                            ;   in Loop: Header=BB6_7543 Depth=2
	v_dual_mov_b32 v1, 0 :: v_dual_mov_b32 v3, 0
	s_and_saveexec_b32 s10, s7
	s_cbranch_execz .LBB6_10712
; %bb.10703:                            ;   in Loop: Header=BB6_7543 Depth=2
	v_bfrev_b32_e32 v3, 1
	s_mov_b32 s7, exec_lo
	v_cmpx_ne_u16_e32 0x80, v24
	s_cbranch_execz .LBB6_10711
; %bb.10704:                            ;   in Loop: Header=BB6_7543 Depth=2
	v_and_b32_e32 v3, 0x7c, v2
	v_and_b32_e32 v4, 3, v2
	s_delay_alu instid0(VALU_DEP_2) | instskip(SKIP_1) | instid1(SALU_CYCLE_1)
	v_cmp_ne_u32_e32 vcc_lo, 0x7c, v3
                                        ; implicit-def: $vgpr3
	s_and_saveexec_b32 s14, vcc_lo
	s_xor_b32 s14, exec_lo, s14
	s_cbranch_execz .LBB6_10708
; %bb.10705:                            ;   in Loop: Header=BB6_7543 Depth=2
	v_bfe_u32 v2, v2, 2, 5
	s_mov_b32 s41, exec_lo
	s_delay_alu instid0(VALU_DEP_1)
	v_cmpx_eq_u32_e32 0, v2
; %bb.10706:                            ;   in Loop: Header=BB6_7543 Depth=2
	v_clz_i32_u32_e32 v2, v4
	s_delay_alu instid0(VALU_DEP_1) | instskip(NEXT) | instid1(VALU_DEP_1)
	v_min_u32_e32 v2, 32, v2
	v_subrev_nc_u32_e32 v3, 29, v2
	s_delay_alu instid0(VALU_DEP_1) | instskip(NEXT) | instid1(VALU_DEP_1)
	v_lshlrev_b64_e32 v[4:5], v3, v[24:25]
	v_dual_sub_nc_u32 v2, 30, v2 :: v_dual_bitop2_b32 v4, 3, v4 bitop3:0x40
; %bb.10707:                            ;   in Loop: Header=BB6_7543 Depth=2
	s_or_b32 exec_lo, exec_lo, s41
	v_lshlrev_b32_e32 v3, 16, v14
	s_delay_alu instid0(VALU_DEP_1) | instskip(NEXT) | instid1(VALU_DEP_1)
	v_and_b32_e32 v3, 0x80000000, v3
	v_lshl_add_u32 v2, v2, 23, v3
	s_delay_alu instid0(VALU_DEP_1) | instskip(NEXT) | instid1(VALU_DEP_1)
	v_lshl_or_b32 v2, v4, 21, v2
                                        ; implicit-def: $vgpr4
	v_add_nc_u32_e32 v3, 0x38000000, v2
.LBB6_10708:                            ;   in Loop: Header=BB6_7543 Depth=2
	s_and_not1_saveexec_b32 s14, s14
; %bb.10709:                            ;   in Loop: Header=BB6_7543 Depth=2
	v_cmp_lt_i16_e32 vcc_lo, -1, v14
	v_cndmask_b32_e32 v2, 0xff800000, v75, vcc_lo
	v_cmp_eq_u32_e32 vcc_lo, 0, v4
	s_delay_alu instid0(VALU_DEP_2)
	v_cndmask_b32_e32 v3, 0x7f800001, v2, vcc_lo
; %bb.10710:                            ;   in Loop: Header=BB6_7543 Depth=2
	s_or_b32 exec_lo, exec_lo, s14
.LBB6_10711:                            ;   in Loop: Header=BB6_7543 Depth=2
	s_delay_alu instid0(SALU_CYCLE_1)
	s_or_b32 exec_lo, exec_lo, s7
.LBB6_10712:                            ;   in Loop: Header=BB6_7543 Depth=2
	s_delay_alu instid0(SALU_CYCLE_1) | instskip(NEXT) | instid1(SALU_CYCLE_1)
	s_or_b32 exec_lo, exec_lo, s10
	s_mov_b32 s7, exec_lo
	v_cmpx_ne_u16_e32 0, v0
	s_cbranch_execz .LBB6_10722
; %bb.10713:                            ;   in Loop: Header=BB6_7543 Depth=2
	v_bfrev_b32_e32 v1, 1
	s_mov_b32 s10, exec_lo
	v_cmpx_ne_u16_e32 0x80, v0
	s_cbranch_execz .LBB6_10721
; %bb.10714:                            ;   in Loop: Header=BB6_7543 Depth=2
	v_and_b32_e32 v4, 0xffff, v0
	s_delay_alu instid0(VALU_DEP_1) | instskip(SKIP_1) | instid1(VALU_DEP_2)
	v_and_b32_e32 v1, 0x7c, v4
	v_and_b32_e32 v2, 3, v4
	v_cmp_ne_u32_e32 vcc_lo, 0x7c, v1
                                        ; implicit-def: $vgpr1
	s_and_saveexec_b32 s14, vcc_lo
	s_delay_alu instid0(SALU_CYCLE_1)
	s_xor_b32 s14, exec_lo, s14
	s_cbranch_execz .LBB6_10718
; %bb.10715:                            ;   in Loop: Header=BB6_7543 Depth=2
	v_bfe_u32 v1, v4, 2, 5
	s_mov_b32 s41, exec_lo
	s_delay_alu instid0(VALU_DEP_1)
	v_cmpx_eq_u32_e32 0, v1
; %bb.10716:                            ;   in Loop: Header=BB6_7543 Depth=2
	v_clz_i32_u32_e32 v1, v2
	s_delay_alu instid0(VALU_DEP_1) | instskip(SKIP_1) | instid1(VALU_DEP_2)
	v_min_u32_e32 v2, 32, v1
	v_mov_b32_e32 v1, v25
	v_subrev_nc_u32_e32 v4, 29, v2
	s_delay_alu instid0(VALU_DEP_1) | instskip(NEXT) | instid1(VALU_DEP_1)
	v_lshlrev_b64_e32 v[0:1], v4, v[0:1]
	v_dual_sub_nc_u32 v1, 30, v2 :: v_dual_bitop2_b32 v2, 3, v0 bitop3:0x40
; %bb.10717:                            ;   in Loop: Header=BB6_7543 Depth=2
	s_or_b32 exec_lo, exec_lo, s41
	v_lshlrev_b32_e32 v0, 16, v10
	s_delay_alu instid0(VALU_DEP_1) | instskip(NEXT) | instid1(VALU_DEP_1)
	v_and_b32_e32 v0, 0x80000000, v0
	v_lshl_add_u32 v0, v1, 23, v0
	s_delay_alu instid0(VALU_DEP_1) | instskip(NEXT) | instid1(VALU_DEP_1)
	v_lshl_or_b32 v0, v2, 21, v0
                                        ; implicit-def: $vgpr2
	v_add_nc_u32_e32 v1, 0x38000000, v0
.LBB6_10718:                            ;   in Loop: Header=BB6_7543 Depth=2
	s_and_not1_saveexec_b32 s14, s14
; %bb.10719:                            ;   in Loop: Header=BB6_7543 Depth=2
	v_cmp_lt_i16_e32 vcc_lo, -1, v10
	v_cndmask_b32_e32 v0, 0xff800000, v75, vcc_lo
	v_cmp_eq_u32_e32 vcc_lo, 0, v2
	s_delay_alu instid0(VALU_DEP_2)
	v_cndmask_b32_e32 v1, 0x7f800001, v0, vcc_lo
; %bb.10720:                            ;   in Loop: Header=BB6_7543 Depth=2
	s_or_b32 exec_lo, exec_lo, s14
.LBB6_10721:                            ;   in Loop: Header=BB6_7543 Depth=2
	s_delay_alu instid0(SALU_CYCLE_1)
	s_or_b32 exec_lo, exec_lo, s10
.LBB6_10722:                            ;   in Loop: Header=BB6_7543 Depth=2
	s_delay_alu instid0(SALU_CYCLE_1) | instskip(NEXT) | instid1(VALU_DEP_1)
	s_or_b32 exec_lo, exec_lo, s7
	v_dual_max_num_f32 v0, v1, v1 :: v_dual_max_num_f32 v1, v3, v3
	s_delay_alu instid0(VALU_DEP_1)
	v_min_num_f32_e32 v1, v1, v0
.LBB6_10723:                            ;   in Loop: Header=BB6_7543 Depth=2
	s_delay_alu instid0(VALU_DEP_1) | instskip(SKIP_3) | instid1(VALU_DEP_2)
	v_and_b32_e32 v2, 0x7f800000, v1
	v_dual_mov_b32 v3, v25 :: v_dual_lshrrev_b32 v0, 24, v1
	v_and_b32_e32 v24, 0x7fffff, v1
                                        ; implicit-def: $vgpr98
	s_mov_b32 s7, exec_lo
	v_cmpx_ne_u64_e32 0x7f800000, v[2:3]
	s_xor_b32 s10, exec_lo, s7
	s_cbranch_execz .LBB6_10737
; %bb.10724:                            ;   in Loop: Header=BB6_7543 Depth=2
	v_and_b32_e32 v2, 0x7fffffff, v1
	v_mov_b32_e32 v3, v25
	v_and_b32_e32 v4, 0x80, v0
                                        ; implicit-def: $vgpr98
	s_mov_b32 s7, exec_lo
	s_delay_alu instid0(VALU_DEP_2)
	v_cmpx_gt_u64_e32 0x47600001, v[2:3]
	s_xor_b32 s14, exec_lo, s7
	s_cbranch_execz .LBB6_10734
; %bb.10725:                            ;   in Loop: Header=BB6_7543 Depth=2
	v_mov_b32_e32 v98, 0
	s_mov_b32 s41, exec_lo
	v_cmpx_ne_u32_e32 0, v1
	s_cbranch_execz .LBB6_10733
; %bb.10726:                            ;   in Loop: Header=BB6_7543 Depth=2
	v_bfe_u32 v5, v1, 23, 8
	v_or_b32_e32 v1, 0x800000, v24
	s_delay_alu instid0(VALU_DEP_2) | instskip(SKIP_2) | instid1(VALU_DEP_2)
	v_cmp_gt_u32_e64 s7, 0x72, v5
	v_sub_nc_u32_e32 v0, 0x71, v5
	v_cmp_eq_u32_e32 vcc_lo, 0, v5
	v_cndmask_b32_e64 v0, 0, v0, s7
	s_delay_alu instid0(VALU_DEP_1) | instskip(NEXT) | instid1(VALU_DEP_1)
	v_cndmask_b32_e64 v98, v0, 0x70, vcc_lo
	v_dual_cndmask_b32 v24, v1, v24, vcc_lo :: v_dual_add_nc_u32 v0, 21, v98
	v_add_nc_u32_e32 v2, 20, v98
	s_delay_alu instid0(VALU_DEP_2) | instskip(NEXT) | instid1(VALU_DEP_2)
	v_lshlrev_b64_e64 v[0:1], v0, -1
	v_lshlrev_b64_e64 v[2:3], v2, 1
	s_delay_alu instid0(VALU_DEP_2) | instskip(NEXT) | instid1(VALU_DEP_3)
	v_bfi_b32 v1, v1, 0, 0
	v_bfi_b32 v0, v0, 0, v24
	s_delay_alu instid0(VALU_DEP_1) | instskip(SKIP_1) | instid1(VALU_DEP_1)
	v_cmp_eq_u64_e64 s7, v[0:1], v[2:3]
	v_lshrrev_b64 v[0:1], v98, v[24:25]
	v_mov_b64_e32 v[2:3], v[0:1]
	s_and_saveexec_b32 s42, s7
; %bb.10727:                            ;   in Loop: Header=BB6_7543 Depth=2
	v_bfe_u32 v24, v0, 21, 1
	s_delay_alu instid0(VALU_DEP_1) | instskip(NEXT) | instid1(VALU_DEP_1)
	v_add_nc_u64_e32 v[2:3], v[0:1], v[24:25]
	v_add_nc_u64_e32 v[2:3], -1, v[2:3]
; %bb.10728:                            ;   in Loop: Header=BB6_7543 Depth=2
	s_or_b32 exec_lo, exec_lo, s42
	v_add_nc_u32_e32 v1, 0xffffff81, v5
	v_lshrrev_b32_e32 v3, 23, v0
	s_mov_b32 s7, exec_lo
	s_delay_alu instid0(VALU_DEP_2) | instskip(NEXT) | instid1(VALU_DEP_1)
	v_cndmask_b32_e64 v1, v1, 0xffffff82, vcc_lo
	v_add3_u32 v3, v98, v1, v3
	v_and_b32_e32 v1, 0x1fffff, v2
                                        ; implicit-def: $vgpr2
	s_delay_alu instid0(VALU_DEP_1) | instskip(NEXT) | instid1(VALU_DEP_1)
	v_dual_add_nc_u32 v5, 14, v3 :: v_dual_add_nc_u32 v24, v1, v0
                                        ; implicit-def: $vgpr0_vgpr1
	v_cmpx_ne_u32_e32 0, v5
	s_xor_b32 s7, exec_lo, s7
; %bb.10729:                            ;   in Loop: Header=BB6_7543 Depth=2
	s_delay_alu instid0(VALU_DEP_2) | instskip(SKIP_1) | instid1(VALU_DEP_1)
	v_cmp_lt_u64_e32 vcc_lo, 0xffffff, v[24:25]
	v_add_nc_u32_e32 v0, 15, v3
	v_cndmask_b32_e32 v2, v5, v0, vcc_lo
	v_cndmask_b32_e64 v0, 0, 1, vcc_lo
	s_delay_alu instid0(VALU_DEP_1)
	v_lshrrev_b64 v[0:1], v0, v[24:25]
; %bb.10730:                            ;   in Loop: Header=BB6_7543 Depth=2
	s_and_not1_saveexec_b32 s7, s7
; %bb.10731:                            ;   in Loop: Header=BB6_7543 Depth=2
	v_mov_b64_e32 v[0:1], v[24:25]
	v_bfe_u32 v2, v24, 23, 1
; %bb.10732:                            ;   in Loop: Header=BB6_7543 Depth=2
	s_or_b32 exec_lo, exec_lo, s7
	s_delay_alu instid0(VALU_DEP_2) | instskip(NEXT) | instid1(VALU_DEP_2)
	v_lshrrev_b64 v[0:1], 21, v[0:1]
	v_cmp_gt_i32_e32 vcc_lo, 32, v2
	v_min_i32_e32 v3, 31, v2
	v_cmp_eq_u32_e64 s7, 0, v2
	s_delay_alu instid0(VALU_DEP_2) | instskip(SKIP_1) | instid1(VALU_DEP_2)
	v_dual_cndmask_b32 v1, 0, v1, vcc_lo :: v_dual_lshlrev_b32 v3, 2, v3
	v_cndmask_b32_e32 v0, 3, v0, vcc_lo
	v_and_b32_e32 v3, 0xfc, v3
	s_delay_alu instid0(VALU_DEP_2) | instskip(NEXT) | instid1(VALU_DEP_2)
	v_cmp_eq_u64_e32 vcc_lo, 0, v[0:1]
	v_and_or_b32 v0, v0, 3, v3
	s_and_b32 s7, s7, vcc_lo
	s_delay_alu instid0(VALU_DEP_1) | instid1(SALU_CYCLE_1)
	v_cndmask_b32_e64 v0, v0, 0, s7
	s_delay_alu instid0(VALU_DEP_1)
	v_or_b32_e32 v98, v0, v4
.LBB6_10733:                            ;   in Loop: Header=BB6_7543 Depth=2
	s_or_b32 exec_lo, exec_lo, s41
                                        ; implicit-def: $vgpr4
.LBB6_10734:                            ;   in Loop: Header=BB6_7543 Depth=2
	s_and_not1_saveexec_b32 s7, s14
; %bb.10735:                            ;   in Loop: Header=BB6_7543 Depth=2
	v_or_b32_e32 v98, 0x7b, v4
; %bb.10736:                            ;   in Loop: Header=BB6_7543 Depth=2
	s_or_b32 exec_lo, exec_lo, s7
                                        ; implicit-def: $vgpr1
                                        ; implicit-def: $vgpr0
.LBB6_10737:                            ;   in Loop: Header=BB6_7543 Depth=2
	s_and_not1_saveexec_b32 s7, s10
	s_cbranch_execz .LBB6_10743
; %bb.10738:                            ;   in Loop: Header=BB6_7543 Depth=2
	s_mov_b32 s10, exec_lo
                                        ; implicit-def: $vgpr98
	v_cmpx_ne_u64_e32 0, v[24:25]
	s_xor_b32 s10, exec_lo, s10
; %bb.10739:                            ;   in Loop: Header=BB6_7543 Depth=2
	v_or_b32_e32 v98, 0x7f, v0
                                        ; implicit-def: $vgpr1
; %bb.10740:                            ;   in Loop: Header=BB6_7543 Depth=2
	s_and_not1_saveexec_b32 s10, s10
; %bb.10741:                            ;   in Loop: Header=BB6_7543 Depth=2
	v_cmp_lt_i32_e32 vcc_lo, -1, v1
	v_cndmask_b32_e32 v98, 0xfc, v41, vcc_lo
; %bb.10742:                            ;   in Loop: Header=BB6_7543 Depth=2
	s_or_b32 exec_lo, exec_lo, s10
.LBB6_10743:                            ;   in Loop: Header=BB6_7543 Depth=2
	s_delay_alu instid0(SALU_CYCLE_1) | instskip(SKIP_4) | instid1(VALU_DEP_2)
	s_or_b32 exec_lo, exec_lo, s7
	v_lshrrev_b32_e32 v2, 16, v14
	v_lshrrev_b32_e32 v0, 16, v10
	s_and_not1_b32 vcc_lo, exec_lo, s13
	s_mov_b32 s10, -1
                                        ; implicit-def: $vgpr3
	v_and_b32_e32 v1, 0xff, v2
	s_delay_alu instid0(VALU_DEP_1)
	v_cmp_ne_u16_e64 s7, 0, v1
	s_cbranch_vccnz .LBB6_10765
; %bb.10744:                            ;   in Loop: Header=BB6_7543 Depth=2
	v_dual_mov_b32 v4, 0 :: v_dual_mov_b32 v3, 0
	s_and_saveexec_b32 s10, s7
	s_cbranch_execz .LBB6_10754
; %bb.10745:                            ;   in Loop: Header=BB6_7543 Depth=2
	v_bfrev_b32_e32 v3, 1
	s_mov_b32 s14, exec_lo
	v_cmpx_ne_u16_e32 0x80, v1
	s_cbranch_execz .LBB6_10753
; %bb.10746:                            ;   in Loop: Header=BB6_7543 Depth=2
	v_and_b32_e32 v3, 0x7c0000, v14
	v_bfe_u32 v5, v14, 16, 2
	s_delay_alu instid0(VALU_DEP_2) | instskip(SKIP_1) | instid1(SALU_CYCLE_1)
	v_cmp_ne_u32_e32 vcc_lo, 0x7c0000, v3
                                        ; implicit-def: $vgpr3
	s_and_saveexec_b32 s41, vcc_lo
	s_xor_b32 s41, exec_lo, s41
	s_cbranch_execz .LBB6_10750
; %bb.10747:                            ;   in Loop: Header=BB6_7543 Depth=2
	v_bfe_u32 v3, v14, 18, 5
	s_mov_b32 s42, exec_lo
	s_delay_alu instid0(VALU_DEP_1)
	v_cmpx_eq_u32_e32 0, v3
; %bb.10748:                            ;   in Loop: Header=BB6_7543 Depth=2
	v_clz_i32_u32_e32 v3, v5
	s_delay_alu instid0(VALU_DEP_1) | instskip(NEXT) | instid1(VALU_DEP_1)
	v_min_u32_e32 v3, 32, v3
	v_subrev_nc_u32_e32 v5, 29, v3
	s_delay_alu instid0(VALU_DEP_1) | instskip(NEXT) | instid1(VALU_DEP_1)
	v_lshlrev_b64_e32 v[100:101], v5, v[2:3]
	v_dual_sub_nc_u32 v3, 30, v3 :: v_dual_bitop2_b32 v5, 3, v100 bitop3:0x40
; %bb.10749:                            ;   in Loop: Header=BB6_7543 Depth=2
	s_or_b32 exec_lo, exec_lo, s42
	v_lshlrev_b32_e32 v24, 24, v2
	s_delay_alu instid0(VALU_DEP_1) | instskip(NEXT) | instid1(VALU_DEP_1)
	v_and_b32_e32 v24, 0x80000000, v24
	v_lshl_add_u32 v3, v3, 23, v24
	s_delay_alu instid0(VALU_DEP_1) | instskip(NEXT) | instid1(VALU_DEP_1)
	v_lshl_or_b32 v3, v5, 21, v3
                                        ; implicit-def: $vgpr5
	v_add_nc_u32_e32 v3, 0x38000000, v3
.LBB6_10750:                            ;   in Loop: Header=BB6_7543 Depth=2
	s_and_not1_saveexec_b32 s41, s41
; %bb.10751:                            ;   in Loop: Header=BB6_7543 Depth=2
	v_bfe_i32 v3, v2, 0, 8
	s_delay_alu instid0(VALU_DEP_1) | instskip(SKIP_2) | instid1(VALU_DEP_2)
	v_cmp_lt_i16_e32 vcc_lo, -1, v3
	v_cndmask_b32_e32 v3, 0xff800000, v75, vcc_lo
	v_cmp_eq_u32_e32 vcc_lo, 0, v5
	v_cndmask_b32_e32 v3, 0x7f800001, v3, vcc_lo
; %bb.10752:                            ;   in Loop: Header=BB6_7543 Depth=2
	s_or_b32 exec_lo, exec_lo, s41
.LBB6_10753:                            ;   in Loop: Header=BB6_7543 Depth=2
	s_delay_alu instid0(SALU_CYCLE_1)
	s_or_b32 exec_lo, exec_lo, s14
.LBB6_10754:                            ;   in Loop: Header=BB6_7543 Depth=2
	s_delay_alu instid0(SALU_CYCLE_1) | instskip(SKIP_2) | instid1(VALU_DEP_1)
	s_or_b32 exec_lo, exec_lo, s10
	v_and_b32_e32 v5, 0xff, v0
	s_mov_b32 s10, exec_lo
	v_cmpx_ne_u16_e32 0, v5
	s_cbranch_execz .LBB6_10764
; %bb.10755:                            ;   in Loop: Header=BB6_7543 Depth=2
	v_bfrev_b32_e32 v4, 1
	s_mov_b32 s14, exec_lo
	v_cmpx_ne_u16_e32 0x80, v5
	s_cbranch_execz .LBB6_10763
; %bb.10756:                            ;   in Loop: Header=BB6_7543 Depth=2
	v_and_b32_e32 v4, 0x7c0000, v10
	v_bfe_u32 v5, v10, 16, 2
	s_delay_alu instid0(VALU_DEP_2) | instskip(SKIP_1) | instid1(SALU_CYCLE_1)
	v_cmp_ne_u32_e32 vcc_lo, 0x7c0000, v4
                                        ; implicit-def: $vgpr4
	s_and_saveexec_b32 s41, vcc_lo
	s_xor_b32 s41, exec_lo, s41
	s_cbranch_execz .LBB6_10760
; %bb.10757:                            ;   in Loop: Header=BB6_7543 Depth=2
	v_bfe_u32 v4, v10, 18, 5
	s_mov_b32 s42, exec_lo
	s_delay_alu instid0(VALU_DEP_1)
	v_cmpx_eq_u32_e32 0, v4
; %bb.10758:                            ;   in Loop: Header=BB6_7543 Depth=2
	v_clz_i32_u32_e32 v4, v5
	s_delay_alu instid0(VALU_DEP_1) | instskip(NEXT) | instid1(VALU_DEP_1)
	v_min_u32_e32 v4, 32, v4
	v_subrev_nc_u32_e32 v5, 29, v4
	v_sub_nc_u32_e32 v4, 30, v4
	s_delay_alu instid0(VALU_DEP_2) | instskip(NEXT) | instid1(VALU_DEP_1)
	v_lshlrev_b64_e32 v[100:101], v5, v[0:1]
	v_and_b32_e32 v5, 3, v100
; %bb.10759:                            ;   in Loop: Header=BB6_7543 Depth=2
	s_or_b32 exec_lo, exec_lo, s42
	v_lshlrev_b32_e32 v24, 24, v0
	s_delay_alu instid0(VALU_DEP_1) | instskip(NEXT) | instid1(VALU_DEP_1)
	v_and_b32_e32 v24, 0x80000000, v24
	v_lshl_add_u32 v4, v4, 23, v24
	s_delay_alu instid0(VALU_DEP_1) | instskip(NEXT) | instid1(VALU_DEP_1)
	v_lshl_or_b32 v4, v5, 21, v4
                                        ; implicit-def: $vgpr5
	v_add_nc_u32_e32 v4, 0x38000000, v4
.LBB6_10760:                            ;   in Loop: Header=BB6_7543 Depth=2
	s_and_not1_saveexec_b32 s41, s41
; %bb.10761:                            ;   in Loop: Header=BB6_7543 Depth=2
	v_bfe_i32 v4, v0, 0, 8
	s_delay_alu instid0(VALU_DEP_1) | instskip(SKIP_2) | instid1(VALU_DEP_2)
	v_cmp_lt_i16_e32 vcc_lo, -1, v4
	v_cndmask_b32_e32 v4, 0xff800000, v75, vcc_lo
	v_cmp_eq_u32_e32 vcc_lo, 0, v5
	v_cndmask_b32_e32 v4, 0x7f800001, v4, vcc_lo
; %bb.10762:                            ;   in Loop: Header=BB6_7543 Depth=2
	s_or_b32 exec_lo, exec_lo, s41
.LBB6_10763:                            ;   in Loop: Header=BB6_7543 Depth=2
	s_delay_alu instid0(SALU_CYCLE_1)
	s_or_b32 exec_lo, exec_lo, s14
.LBB6_10764:                            ;   in Loop: Header=BB6_7543 Depth=2
	s_delay_alu instid0(SALU_CYCLE_1) | instskip(NEXT) | instid1(VALU_DEP_1)
	s_or_b32 exec_lo, exec_lo, s10
	v_dual_max_num_f32 v4, v4, v4 :: v_dual_max_num_f32 v3, v3, v3
	s_mov_b32 s10, 0
	s_delay_alu instid0(VALU_DEP_1)
	v_max_num_f32_e32 v3, v3, v4
.LBB6_10765:                            ;   in Loop: Header=BB6_7543 Depth=2
	s_and_b32 vcc_lo, exec_lo, s10
	s_cbranch_vccz .LBB6_10787
; %bb.10766:                            ;   in Loop: Header=BB6_7543 Depth=2
	v_dual_mov_b32 v4, 0 :: v_dual_mov_b32 v3, 0
	s_and_saveexec_b32 s10, s7
	s_cbranch_execz .LBB6_10776
; %bb.10767:                            ;   in Loop: Header=BB6_7543 Depth=2
	v_bfrev_b32_e32 v3, 1
	s_mov_b32 s7, exec_lo
	v_cmpx_ne_u16_e32 0x80, v1
	s_cbranch_execz .LBB6_10775
; %bb.10768:                            ;   in Loop: Header=BB6_7543 Depth=2
	v_and_b32_e32 v3, 0x7c0000, v14
	v_bfe_u32 v1, v14, 16, 2
	s_delay_alu instid0(VALU_DEP_2) | instskip(SKIP_1) | instid1(SALU_CYCLE_1)
	v_cmp_ne_u32_e32 vcc_lo, 0x7c0000, v3
                                        ; implicit-def: $vgpr3
	s_and_saveexec_b32 s14, vcc_lo
	s_xor_b32 s14, exec_lo, s14
	s_cbranch_execz .LBB6_10772
; %bb.10769:                            ;   in Loop: Header=BB6_7543 Depth=2
	v_bfe_u32 v3, v14, 18, 5
	s_mov_b32 s41, exec_lo
	s_delay_alu instid0(VALU_DEP_1)
	v_cmpx_eq_u32_e32 0, v3
; %bb.10770:                            ;   in Loop: Header=BB6_7543 Depth=2
	v_clz_i32_u32_e32 v1, v1
	s_delay_alu instid0(VALU_DEP_1) | instskip(NEXT) | instid1(VALU_DEP_1)
	v_min_u32_e32 v1, 32, v1
	v_subrev_nc_u32_e32 v3, 29, v1
	s_delay_alu instid0(VALU_DEP_1) | instskip(NEXT) | instid1(VALU_DEP_1)
	v_lshlrev_b64_e32 v[100:101], v3, v[2:3]
	v_dual_sub_nc_u32 v3, 30, v1 :: v_dual_bitop2_b32 v1, 3, v100 bitop3:0x40
; %bb.10771:                            ;   in Loop: Header=BB6_7543 Depth=2
	s_or_b32 exec_lo, exec_lo, s41
	v_lshlrev_b32_e32 v2, 24, v2
	s_delay_alu instid0(VALU_DEP_1) | instskip(NEXT) | instid1(VALU_DEP_1)
	v_and_b32_e32 v2, 0x80000000, v2
	v_lshl_add_u32 v2, v3, 23, v2
	s_delay_alu instid0(VALU_DEP_1) | instskip(NEXT) | instid1(VALU_DEP_1)
	v_lshl_or_b32 v1, v1, 21, v2
                                        ; implicit-def: $vgpr2
	v_add_nc_u32_e32 v3, 0x38000000, v1
                                        ; implicit-def: $vgpr1
.LBB6_10772:                            ;   in Loop: Header=BB6_7543 Depth=2
	s_and_not1_saveexec_b32 s14, s14
; %bb.10773:                            ;   in Loop: Header=BB6_7543 Depth=2
	v_bfe_i32 v2, v2, 0, 8
	s_delay_alu instid0(VALU_DEP_1) | instskip(SKIP_2) | instid1(VALU_DEP_2)
	v_cmp_lt_i16_e32 vcc_lo, -1, v2
	v_cndmask_b32_e32 v2, 0xff800000, v75, vcc_lo
	v_cmp_eq_u32_e32 vcc_lo, 0, v1
	v_cndmask_b32_e32 v3, 0x7f800001, v2, vcc_lo
; %bb.10774:                            ;   in Loop: Header=BB6_7543 Depth=2
	s_or_b32 exec_lo, exec_lo, s14
.LBB6_10775:                            ;   in Loop: Header=BB6_7543 Depth=2
	s_delay_alu instid0(SALU_CYCLE_1)
	s_or_b32 exec_lo, exec_lo, s7
.LBB6_10776:                            ;   in Loop: Header=BB6_7543 Depth=2
	s_delay_alu instid0(SALU_CYCLE_1) | instskip(SKIP_2) | instid1(VALU_DEP_1)
	s_or_b32 exec_lo, exec_lo, s10
	v_and_b32_e32 v1, 0xff, v0
	s_mov_b32 s7, exec_lo
	v_cmpx_ne_u16_e32 0, v1
	s_cbranch_execz .LBB6_10786
; %bb.10777:                            ;   in Loop: Header=BB6_7543 Depth=2
	v_bfrev_b32_e32 v4, 1
	s_mov_b32 s10, exec_lo
	v_cmpx_ne_u16_e32 0x80, v1
	s_cbranch_execz .LBB6_10785
; %bb.10778:                            ;   in Loop: Header=BB6_7543 Depth=2
	v_and_b32_e32 v2, 0x7c0000, v10
	v_bfe_u32 v1, v10, 16, 2
	s_mov_b32 s14, exec_lo
                                        ; implicit-def: $vgpr4
	s_delay_alu instid0(VALU_DEP_2)
	v_cmpx_ne_u32_e32 0x7c0000, v2
	s_xor_b32 s14, exec_lo, s14
	s_cbranch_execz .LBB6_10782
; %bb.10779:                            ;   in Loop: Header=BB6_7543 Depth=2
	v_bfe_u32 v2, v10, 18, 5
	s_mov_b32 s41, exec_lo
	s_delay_alu instid0(VALU_DEP_1)
	v_cmpx_eq_u32_e32 0, v2
; %bb.10780:                            ;   in Loop: Header=BB6_7543 Depth=2
	v_clz_i32_u32_e32 v1, v1
	s_delay_alu instid0(VALU_DEP_1) | instskip(NEXT) | instid1(VALU_DEP_1)
	v_min_u32_e32 v1, 32, v1
	v_subrev_nc_u32_e32 v2, 29, v1
	s_delay_alu instid0(VALU_DEP_1) | instskip(NEXT) | instid1(VALU_DEP_1)
	v_lshlrev_b64_e32 v[4:5], v2, v[0:1]
	v_dual_sub_nc_u32 v2, 30, v1 :: v_dual_bitop2_b32 v1, 3, v4 bitop3:0x40
; %bb.10781:                            ;   in Loop: Header=BB6_7543 Depth=2
	s_or_b32 exec_lo, exec_lo, s41
	v_lshlrev_b32_e32 v0, 24, v0
	s_delay_alu instid0(VALU_DEP_1) | instskip(NEXT) | instid1(VALU_DEP_1)
	v_and_b32_e32 v0, 0x80000000, v0
	v_lshl_add_u32 v0, v2, 23, v0
	s_delay_alu instid0(VALU_DEP_1) | instskip(NEXT) | instid1(VALU_DEP_1)
	v_lshl_or_b32 v0, v1, 21, v0
                                        ; implicit-def: $vgpr1
	v_add_nc_u32_e32 v4, 0x38000000, v0
                                        ; implicit-def: $vgpr0
.LBB6_10782:                            ;   in Loop: Header=BB6_7543 Depth=2
	s_and_not1_saveexec_b32 s14, s14
; %bb.10783:                            ;   in Loop: Header=BB6_7543 Depth=2
	v_bfe_i32 v0, v0, 0, 8
	s_delay_alu instid0(VALU_DEP_1) | instskip(SKIP_2) | instid1(VALU_DEP_2)
	v_cmp_lt_i16_e32 vcc_lo, -1, v0
	v_cndmask_b32_e32 v0, 0xff800000, v75, vcc_lo
	v_cmp_eq_u32_e32 vcc_lo, 0, v1
	v_cndmask_b32_e32 v4, 0x7f800001, v0, vcc_lo
; %bb.10784:                            ;   in Loop: Header=BB6_7543 Depth=2
	s_or_b32 exec_lo, exec_lo, s14
.LBB6_10785:                            ;   in Loop: Header=BB6_7543 Depth=2
	s_delay_alu instid0(SALU_CYCLE_1)
	s_or_b32 exec_lo, exec_lo, s10
.LBB6_10786:                            ;   in Loop: Header=BB6_7543 Depth=2
	s_delay_alu instid0(SALU_CYCLE_1) | instskip(NEXT) | instid1(VALU_DEP_1)
	s_or_b32 exec_lo, exec_lo, s7
	v_dual_max_num_f32 v0, v4, v4 :: v_dual_max_num_f32 v1, v3, v3
	s_delay_alu instid0(VALU_DEP_1)
	v_min_num_f32_e32 v3, v1, v0
.LBB6_10787:                            ;   in Loop: Header=BB6_7543 Depth=2
	s_delay_alu instid0(VALU_DEP_1) | instskip(SKIP_2) | instid1(VALU_DEP_2)
	v_and_b32_e32 v0, 0x7f800000, v3
	v_mov_b32_e32 v1, v25
	v_and_b32_e32 v24, 0x7fffff, v3
                                        ; implicit-def: $vgpr99
	v_cmp_ne_u64_e32 vcc_lo, 0x7f800000, v[0:1]
	v_lshrrev_b32_e32 v0, 24, v3
	s_and_saveexec_b32 s7, vcc_lo
	s_delay_alu instid0(SALU_CYCLE_1)
	s_xor_b32 s10, exec_lo, s7
	s_cbranch_execz .LBB6_10801
; %bb.10788:                            ;   in Loop: Header=BB6_7543 Depth=2
	v_and_b32_e32 v4, 0x7fffffff, v3
	v_mov_b32_e32 v5, v25
                                        ; implicit-def: $vgpr99
	s_delay_alu instid0(VALU_DEP_1) | instskip(SKIP_2) | instid1(SALU_CYCLE_1)
	v_cmp_gt_u64_e32 vcc_lo, 0x47600001, v[4:5]
	v_and_b32_e32 v4, 0x80, v0
	s_and_saveexec_b32 s7, vcc_lo
	s_xor_b32 s14, exec_lo, s7
	s_cbranch_execz .LBB6_10798
; %bb.10789:                            ;   in Loop: Header=BB6_7543 Depth=2
	v_mov_b32_e32 v99, 0
	s_mov_b32 s41, exec_lo
	v_cmpx_ne_u32_e32 0, v3
	s_cbranch_execz .LBB6_10797
; %bb.10790:                            ;   in Loop: Header=BB6_7543 Depth=2
	v_bfe_u32 v5, v3, 23, 8
	v_or_b32_e32 v1, 0x800000, v24
	s_delay_alu instid0(VALU_DEP_2) | instskip(SKIP_2) | instid1(VALU_DEP_2)
	v_cmp_gt_u32_e64 s7, 0x72, v5
	v_sub_nc_u32_e32 v0, 0x71, v5
	v_cmp_eq_u32_e32 vcc_lo, 0, v5
	v_cndmask_b32_e64 v0, 0, v0, s7
	s_delay_alu instid0(VALU_DEP_1) | instskip(NEXT) | instid1(VALU_DEP_1)
	v_cndmask_b32_e64 v99, v0, 0x70, vcc_lo
	v_dual_cndmask_b32 v24, v1, v24, vcc_lo :: v_dual_add_nc_u32 v0, 21, v99
	v_add_nc_u32_e32 v2, 20, v99
	s_delay_alu instid0(VALU_DEP_2) | instskip(NEXT) | instid1(VALU_DEP_2)
	v_lshlrev_b64_e64 v[0:1], v0, -1
	v_lshlrev_b64_e64 v[2:3], v2, 1
	s_delay_alu instid0(VALU_DEP_2) | instskip(NEXT) | instid1(VALU_DEP_3)
	v_bfi_b32 v1, v1, 0, 0
	v_bfi_b32 v0, v0, 0, v24
	s_delay_alu instid0(VALU_DEP_1) | instskip(SKIP_1) | instid1(VALU_DEP_1)
	v_cmp_eq_u64_e64 s7, v[0:1], v[2:3]
	v_lshrrev_b64 v[0:1], v99, v[24:25]
	v_mov_b64_e32 v[2:3], v[0:1]
	s_and_saveexec_b32 s42, s7
; %bb.10791:                            ;   in Loop: Header=BB6_7543 Depth=2
	v_bfe_u32 v24, v0, 21, 1
	s_delay_alu instid0(VALU_DEP_1) | instskip(NEXT) | instid1(VALU_DEP_1)
	v_add_nc_u64_e32 v[2:3], v[0:1], v[24:25]
	v_add_nc_u64_e32 v[2:3], -1, v[2:3]
; %bb.10792:                            ;   in Loop: Header=BB6_7543 Depth=2
	s_or_b32 exec_lo, exec_lo, s42
	v_add_nc_u32_e32 v1, 0xffffff81, v5
	v_lshrrev_b32_e32 v3, 23, v0
	s_mov_b32 s7, exec_lo
	s_delay_alu instid0(VALU_DEP_2) | instskip(NEXT) | instid1(VALU_DEP_1)
	v_cndmask_b32_e64 v1, v1, 0xffffff82, vcc_lo
	v_add3_u32 v3, v99, v1, v3
	v_and_b32_e32 v1, 0x1fffff, v2
                                        ; implicit-def: $vgpr2
	s_delay_alu instid0(VALU_DEP_1) | instskip(NEXT) | instid1(VALU_DEP_1)
	v_dual_add_nc_u32 v5, 14, v3 :: v_dual_add_nc_u32 v24, v1, v0
                                        ; implicit-def: $vgpr0_vgpr1
	v_cmpx_ne_u32_e32 0, v5
	s_xor_b32 s7, exec_lo, s7
; %bb.10793:                            ;   in Loop: Header=BB6_7543 Depth=2
	s_delay_alu instid0(VALU_DEP_2) | instskip(SKIP_1) | instid1(VALU_DEP_1)
	v_cmp_lt_u64_e32 vcc_lo, 0xffffff, v[24:25]
	v_add_nc_u32_e32 v0, 15, v3
	v_cndmask_b32_e32 v2, v5, v0, vcc_lo
	v_cndmask_b32_e64 v0, 0, 1, vcc_lo
	s_delay_alu instid0(VALU_DEP_1)
	v_lshrrev_b64 v[0:1], v0, v[24:25]
; %bb.10794:                            ;   in Loop: Header=BB6_7543 Depth=2
	s_and_not1_saveexec_b32 s7, s7
; %bb.10795:                            ;   in Loop: Header=BB6_7543 Depth=2
	v_mov_b64_e32 v[0:1], v[24:25]
	v_bfe_u32 v2, v24, 23, 1
; %bb.10796:                            ;   in Loop: Header=BB6_7543 Depth=2
	s_or_b32 exec_lo, exec_lo, s7
	s_delay_alu instid0(VALU_DEP_2) | instskip(NEXT) | instid1(VALU_DEP_2)
	v_lshrrev_b64 v[0:1], 21, v[0:1]
	v_cmp_gt_i32_e32 vcc_lo, 32, v2
	v_min_i32_e32 v3, 31, v2
	v_cmp_eq_u32_e64 s7, 0, v2
	s_delay_alu instid0(VALU_DEP_2) | instskip(SKIP_1) | instid1(VALU_DEP_2)
	v_dual_cndmask_b32 v1, 0, v1, vcc_lo :: v_dual_lshlrev_b32 v3, 2, v3
	v_cndmask_b32_e32 v0, 3, v0, vcc_lo
	v_and_b32_e32 v3, 0xfc, v3
	s_delay_alu instid0(VALU_DEP_2) | instskip(NEXT) | instid1(VALU_DEP_2)
	v_cmp_eq_u64_e32 vcc_lo, 0, v[0:1]
	v_and_or_b32 v0, v0, 3, v3
	s_and_b32 s7, s7, vcc_lo
	s_delay_alu instid0(VALU_DEP_1) | instid1(SALU_CYCLE_1)
	v_cndmask_b32_e64 v0, v0, 0, s7
	s_delay_alu instid0(VALU_DEP_1)
	v_or_b32_e32 v99, v0, v4
.LBB6_10797:                            ;   in Loop: Header=BB6_7543 Depth=2
	s_or_b32 exec_lo, exec_lo, s41
                                        ; implicit-def: $vgpr4
.LBB6_10798:                            ;   in Loop: Header=BB6_7543 Depth=2
	s_and_not1_saveexec_b32 s7, s14
; %bb.10799:                            ;   in Loop: Header=BB6_7543 Depth=2
	v_or_b32_e32 v99, 0x7b, v4
; %bb.10800:                            ;   in Loop: Header=BB6_7543 Depth=2
	s_or_b32 exec_lo, exec_lo, s7
                                        ; implicit-def: $vgpr3
                                        ; implicit-def: $vgpr0
.LBB6_10801:                            ;   in Loop: Header=BB6_7543 Depth=2
	s_and_not1_saveexec_b32 s7, s10
	s_cbranch_execz .LBB6_10807
; %bb.10802:                            ;   in Loop: Header=BB6_7543 Depth=2
	s_mov_b32 s10, exec_lo
                                        ; implicit-def: $vgpr99
	v_cmpx_ne_u64_e32 0, v[24:25]
	s_xor_b32 s10, exec_lo, s10
; %bb.10803:                            ;   in Loop: Header=BB6_7543 Depth=2
	v_or_b32_e32 v99, 0x7f, v0
                                        ; implicit-def: $vgpr3
; %bb.10804:                            ;   in Loop: Header=BB6_7543 Depth=2
	s_and_not1_saveexec_b32 s10, s10
; %bb.10805:                            ;   in Loop: Header=BB6_7543 Depth=2
	v_cmp_lt_i32_e32 vcc_lo, -1, v3
	v_cndmask_b32_e32 v99, 0xfc, v41, vcc_lo
; %bb.10806:                            ;   in Loop: Header=BB6_7543 Depth=2
	s_or_b32 exec_lo, exec_lo, s10
.LBB6_10807:                            ;   in Loop: Header=BB6_7543 Depth=2
	s_delay_alu instid0(SALU_CYCLE_1)
	s_or_b32 exec_lo, exec_lo, s7
	v_lshrrev_b32_e32 v2, 24, v14
	v_lshrrev_b32_e32 v0, 24, v10
	v_cmp_lt_u32_e64 s7, 0xffffff, v14
	s_and_not1_b32 vcc_lo, exec_lo, s13
	s_mov_b32 s10, -1
                                        ; implicit-def: $vgpr1
	s_cbranch_vccnz .LBB6_10829
; %bb.10808:                            ;   in Loop: Header=BB6_7543 Depth=2
	v_dual_mov_b32 v3, 0 :: v_dual_mov_b32 v1, 0
	s_and_saveexec_b32 s10, s7
	s_cbranch_execz .LBB6_10818
; %bb.10809:                            ;   in Loop: Header=BB6_7543 Depth=2
	v_bfrev_b32_e32 v1, 1
	s_mov_b32 s14, exec_lo
	v_cmpx_ne_u32_e32 0x80, v2
	s_cbranch_execz .LBB6_10817
; %bb.10810:                            ;   in Loop: Header=BB6_7543 Depth=2
	v_and_b32_e32 v1, 0x7c000000, v14
	v_bfe_u32 v4, v14, 24, 2
	s_delay_alu instid0(VALU_DEP_2) | instskip(SKIP_1) | instid1(SALU_CYCLE_1)
	v_cmp_ne_u32_e32 vcc_lo, 0x7c000000, v1
                                        ; implicit-def: $vgpr1
	s_and_saveexec_b32 s41, vcc_lo
	s_xor_b32 s41, exec_lo, s41
	s_cbranch_execz .LBB6_10814
; %bb.10811:                            ;   in Loop: Header=BB6_7543 Depth=2
	v_bfe_u32 v1, v14, 26, 5
	s_mov_b32 s42, exec_lo
	s_delay_alu instid0(VALU_DEP_1)
	v_cmpx_eq_u32_e32 0, v1
; %bb.10812:                            ;   in Loop: Header=BB6_7543 Depth=2
	v_clz_i32_u32_e32 v1, v4
	s_delay_alu instid0(VALU_DEP_1) | instskip(NEXT) | instid1(VALU_DEP_1)
	v_min_u32_e32 v1, 32, v1
	v_subrev_nc_u32_e32 v4, 29, v1
	s_delay_alu instid0(VALU_DEP_1) | instskip(NEXT) | instid1(VALU_DEP_1)
	v_lshlrev_b64_e32 v[4:5], v4, v[2:3]
	v_dual_sub_nc_u32 v1, 30, v1 :: v_dual_bitop2_b32 v4, 3, v4 bitop3:0x40
; %bb.10813:                            ;   in Loop: Header=BB6_7543 Depth=2
	s_or_b32 exec_lo, exec_lo, s42
	v_and_b32_e32 v5, 0x80000000, v14
	s_delay_alu instid0(VALU_DEP_1) | instskip(NEXT) | instid1(VALU_DEP_1)
	v_lshl_add_u32 v1, v1, 23, v5
	v_lshl_or_b32 v1, v4, 21, v1
                                        ; implicit-def: $vgpr4
	s_delay_alu instid0(VALU_DEP_1)
	v_add_nc_u32_e32 v1, 0x38000000, v1
.LBB6_10814:                            ;   in Loop: Header=BB6_7543 Depth=2
	s_and_not1_saveexec_b32 s41, s41
; %bb.10815:                            ;   in Loop: Header=BB6_7543 Depth=2
	v_cmp_lt_i32_e32 vcc_lo, -1, v14
	v_cndmask_b32_e32 v1, 0xff800000, v75, vcc_lo
	v_cmp_eq_u32_e32 vcc_lo, 0, v4
	s_delay_alu instid0(VALU_DEP_2)
	v_cndmask_b32_e32 v1, 0x7f800001, v1, vcc_lo
; %bb.10816:                            ;   in Loop: Header=BB6_7543 Depth=2
	s_or_b32 exec_lo, exec_lo, s41
.LBB6_10817:                            ;   in Loop: Header=BB6_7543 Depth=2
	s_delay_alu instid0(SALU_CYCLE_1)
	s_or_b32 exec_lo, exec_lo, s14
.LBB6_10818:                            ;   in Loop: Header=BB6_7543 Depth=2
	s_delay_alu instid0(SALU_CYCLE_1) | instskip(NEXT) | instid1(SALU_CYCLE_1)
	s_or_b32 exec_lo, exec_lo, s10
	s_mov_b32 s10, exec_lo
	v_cmpx_lt_u32_e32 0xffffff, v10
	s_cbranch_execz .LBB6_10828
; %bb.10819:                            ;   in Loop: Header=BB6_7543 Depth=2
	v_bfrev_b32_e32 v3, 1
	s_mov_b32 s14, exec_lo
	v_cmpx_ne_u32_e32 0x80, v0
	s_cbranch_execz .LBB6_10827
; %bb.10820:                            ;   in Loop: Header=BB6_7543 Depth=2
	v_and_b32_e32 v3, 0x7c000000, v10
	v_bfe_u32 v4, v10, 24, 2
	s_delay_alu instid0(VALU_DEP_2) | instskip(SKIP_1) | instid1(SALU_CYCLE_1)
	v_cmp_ne_u32_e32 vcc_lo, 0x7c000000, v3
                                        ; implicit-def: $vgpr3
	s_and_saveexec_b32 s41, vcc_lo
	s_xor_b32 s41, exec_lo, s41
	s_cbranch_execz .LBB6_10824
; %bb.10821:                            ;   in Loop: Header=BB6_7543 Depth=2
	v_bfe_u32 v3, v10, 26, 5
	s_mov_b32 s42, exec_lo
	s_delay_alu instid0(VALU_DEP_1)
	v_cmpx_eq_u32_e32 0, v3
; %bb.10822:                            ;   in Loop: Header=BB6_7543 Depth=2
	v_clz_i32_u32_e32 v3, v4
	s_delay_alu instid0(VALU_DEP_1) | instskip(NEXT) | instid1(VALU_DEP_1)
	v_min_u32_e32 v3, 32, v3
	v_subrev_nc_u32_e32 v4, 29, v3
	s_delay_alu instid0(VALU_DEP_1) | instskip(NEXT) | instid1(VALU_DEP_1)
	v_lshlrev_b64_e32 v[4:5], v4, v[0:1]
	v_dual_sub_nc_u32 v3, 30, v3 :: v_dual_bitop2_b32 v4, 3, v4 bitop3:0x40
; %bb.10823:                            ;   in Loop: Header=BB6_7543 Depth=2
	s_or_b32 exec_lo, exec_lo, s42
	v_and_b32_e32 v5, 0x80000000, v10
	s_delay_alu instid0(VALU_DEP_1) | instskip(NEXT) | instid1(VALU_DEP_1)
	v_lshl_add_u32 v3, v3, 23, v5
	v_lshl_or_b32 v3, v4, 21, v3
                                        ; implicit-def: $vgpr4
	s_delay_alu instid0(VALU_DEP_1)
	v_add_nc_u32_e32 v3, 0x38000000, v3
.LBB6_10824:                            ;   in Loop: Header=BB6_7543 Depth=2
	s_and_not1_saveexec_b32 s41, s41
; %bb.10825:                            ;   in Loop: Header=BB6_7543 Depth=2
	v_cmp_lt_i32_e32 vcc_lo, -1, v10
	v_cndmask_b32_e32 v3, 0xff800000, v75, vcc_lo
	v_cmp_eq_u32_e32 vcc_lo, 0, v4
	s_delay_alu instid0(VALU_DEP_2)
	v_cndmask_b32_e32 v3, 0x7f800001, v3, vcc_lo
; %bb.10826:                            ;   in Loop: Header=BB6_7543 Depth=2
	s_or_b32 exec_lo, exec_lo, s41
.LBB6_10827:                            ;   in Loop: Header=BB6_7543 Depth=2
	s_delay_alu instid0(SALU_CYCLE_1)
	s_or_b32 exec_lo, exec_lo, s14
.LBB6_10828:                            ;   in Loop: Header=BB6_7543 Depth=2
	s_delay_alu instid0(SALU_CYCLE_1) | instskip(NEXT) | instid1(VALU_DEP_1)
	s_or_b32 exec_lo, exec_lo, s10
	v_dual_max_num_f32 v3, v3, v3 :: v_dual_max_num_f32 v1, v1, v1
	s_mov_b32 s10, 0
	s_delay_alu instid0(VALU_DEP_1)
	v_max_num_f32_e32 v1, v1, v3
.LBB6_10829:                            ;   in Loop: Header=BB6_7543 Depth=2
	s_and_b32 vcc_lo, exec_lo, s10
	s_cbranch_vccz .LBB6_10851
; %bb.10830:                            ;   in Loop: Header=BB6_7543 Depth=2
	v_dual_mov_b32 v3, 0 :: v_dual_mov_b32 v1, 0
	s_and_saveexec_b32 s10, s7
	s_cbranch_execz .LBB6_10840
; %bb.10831:                            ;   in Loop: Header=BB6_7543 Depth=2
	v_bfrev_b32_e32 v1, 1
	s_mov_b32 s7, exec_lo
	v_cmpx_ne_u32_e32 0x80, v2
	s_cbranch_execz .LBB6_10839
; %bb.10832:                            ;   in Loop: Header=BB6_7543 Depth=2
	v_and_b32_e32 v1, 0x7c000000, v14
	v_bfe_u32 v4, v14, 24, 2
	s_delay_alu instid0(VALU_DEP_2) | instskip(SKIP_1) | instid1(SALU_CYCLE_1)
	v_cmp_ne_u32_e32 vcc_lo, 0x7c000000, v1
                                        ; implicit-def: $vgpr1
	s_and_saveexec_b32 s14, vcc_lo
	s_xor_b32 s14, exec_lo, s14
	s_cbranch_execz .LBB6_10836
; %bb.10833:                            ;   in Loop: Header=BB6_7543 Depth=2
	v_bfe_u32 v1, v14, 26, 5
	s_mov_b32 s41, exec_lo
	s_delay_alu instid0(VALU_DEP_1)
	v_cmpx_eq_u32_e32 0, v1
; %bb.10834:                            ;   in Loop: Header=BB6_7543 Depth=2
	v_clz_i32_u32_e32 v1, v4
	s_delay_alu instid0(VALU_DEP_1) | instskip(NEXT) | instid1(VALU_DEP_1)
	v_min_u32_e32 v1, 32, v1
	v_subrev_nc_u32_e32 v4, 29, v1
	s_delay_alu instid0(VALU_DEP_1) | instskip(NEXT) | instid1(VALU_DEP_1)
	v_lshlrev_b64_e32 v[4:5], v4, v[2:3]
	v_dual_sub_nc_u32 v1, 30, v1 :: v_dual_bitop2_b32 v4, 3, v4 bitop3:0x40
; %bb.10835:                            ;   in Loop: Header=BB6_7543 Depth=2
	s_or_b32 exec_lo, exec_lo, s41
	v_and_b32_e32 v2, 0x80000000, v14
	s_delay_alu instid0(VALU_DEP_1) | instskip(NEXT) | instid1(VALU_DEP_1)
	v_lshl_add_u32 v1, v1, 23, v2
	v_lshl_or_b32 v1, v4, 21, v1
                                        ; implicit-def: $vgpr4
	s_delay_alu instid0(VALU_DEP_1)
	v_add_nc_u32_e32 v1, 0x38000000, v1
.LBB6_10836:                            ;   in Loop: Header=BB6_7543 Depth=2
	s_and_not1_saveexec_b32 s14, s14
; %bb.10837:                            ;   in Loop: Header=BB6_7543 Depth=2
	v_cmp_lt_i32_e32 vcc_lo, -1, v14
	v_cndmask_b32_e32 v1, 0xff800000, v75, vcc_lo
	v_cmp_eq_u32_e32 vcc_lo, 0, v4
	s_delay_alu instid0(VALU_DEP_2)
	v_cndmask_b32_e32 v1, 0x7f800001, v1, vcc_lo
; %bb.10838:                            ;   in Loop: Header=BB6_7543 Depth=2
	s_or_b32 exec_lo, exec_lo, s14
.LBB6_10839:                            ;   in Loop: Header=BB6_7543 Depth=2
	s_delay_alu instid0(SALU_CYCLE_1)
	s_or_b32 exec_lo, exec_lo, s7
.LBB6_10840:                            ;   in Loop: Header=BB6_7543 Depth=2
	s_delay_alu instid0(SALU_CYCLE_1) | instskip(NEXT) | instid1(SALU_CYCLE_1)
	s_or_b32 exec_lo, exec_lo, s10
	s_mov_b32 s7, exec_lo
	v_cmpx_lt_u32_e32 0xffffff, v10
	s_cbranch_execz .LBB6_10850
; %bb.10841:                            ;   in Loop: Header=BB6_7543 Depth=2
	v_bfrev_b32_e32 v3, 1
	s_mov_b32 s10, exec_lo
	v_cmpx_ne_u32_e32 0x80, v0
	s_cbranch_execz .LBB6_10849
; %bb.10842:                            ;   in Loop: Header=BB6_7543 Depth=2
	v_and_b32_e32 v3, 0x7c000000, v10
	v_bfe_u32 v2, v10, 24, 2
	s_delay_alu instid0(VALU_DEP_2) | instskip(SKIP_1) | instid1(SALU_CYCLE_1)
	v_cmp_ne_u32_e32 vcc_lo, 0x7c000000, v3
                                        ; implicit-def: $vgpr3
	s_and_saveexec_b32 s14, vcc_lo
	s_xor_b32 s14, exec_lo, s14
	s_cbranch_execz .LBB6_10846
; %bb.10843:                            ;   in Loop: Header=BB6_7543 Depth=2
	v_bfe_u32 v3, v10, 26, 5
	s_mov_b32 s41, exec_lo
	s_delay_alu instid0(VALU_DEP_1)
	v_cmpx_eq_u32_e32 0, v3
; %bb.10844:                            ;   in Loop: Header=BB6_7543 Depth=2
	v_clz_i32_u32_e32 v2, v2
	s_delay_alu instid0(VALU_DEP_1) | instskip(NEXT) | instid1(VALU_DEP_1)
	v_min_u32_e32 v4, 32, v2
	v_subrev_nc_u32_e32 v2, 29, v4
	s_delay_alu instid0(VALU_DEP_1) | instskip(NEXT) | instid1(VALU_DEP_1)
	v_lshlrev_b64_e32 v[2:3], v2, v[0:1]
	v_dual_sub_nc_u32 v3, 30, v4 :: v_dual_bitop2_b32 v2, 3, v2 bitop3:0x40
; %bb.10845:                            ;   in Loop: Header=BB6_7543 Depth=2
	s_or_b32 exec_lo, exec_lo, s41
	v_and_b32_e32 v0, 0x80000000, v10
	s_delay_alu instid0(VALU_DEP_1) | instskip(NEXT) | instid1(VALU_DEP_1)
	v_lshl_add_u32 v0, v3, 23, v0
	v_lshl_or_b32 v0, v2, 21, v0
                                        ; implicit-def: $vgpr2
	s_delay_alu instid0(VALU_DEP_1)
	v_add_nc_u32_e32 v3, 0x38000000, v0
.LBB6_10846:                            ;   in Loop: Header=BB6_7543 Depth=2
	s_and_not1_saveexec_b32 s14, s14
; %bb.10847:                            ;   in Loop: Header=BB6_7543 Depth=2
	v_cmp_lt_i32_e32 vcc_lo, -1, v10
	v_cndmask_b32_e32 v0, 0xff800000, v75, vcc_lo
	v_cmp_eq_u32_e32 vcc_lo, 0, v2
	s_delay_alu instid0(VALU_DEP_2)
	v_cndmask_b32_e32 v3, 0x7f800001, v0, vcc_lo
; %bb.10848:                            ;   in Loop: Header=BB6_7543 Depth=2
	s_or_b32 exec_lo, exec_lo, s14
.LBB6_10849:                            ;   in Loop: Header=BB6_7543 Depth=2
	s_delay_alu instid0(SALU_CYCLE_1)
	s_or_b32 exec_lo, exec_lo, s10
.LBB6_10850:                            ;   in Loop: Header=BB6_7543 Depth=2
	s_delay_alu instid0(SALU_CYCLE_1) | instskip(NEXT) | instid1(VALU_DEP_1)
	s_or_b32 exec_lo, exec_lo, s7
	v_dual_max_num_f32 v0, v3, v3 :: v_dual_max_num_f32 v1, v1, v1
	s_delay_alu instid0(VALU_DEP_1)
	v_min_num_f32_e32 v1, v1, v0
.LBB6_10851:                            ;   in Loop: Header=BB6_7543 Depth=2
	s_delay_alu instid0(VALU_DEP_1) | instskip(SKIP_3) | instid1(VALU_DEP_2)
	v_and_b32_e32 v2, 0x7f800000, v1
	v_dual_mov_b32 v3, v25 :: v_dual_lshrrev_b32 v0, 24, v1
	v_and_b32_e32 v24, 0x7fffff, v1
                                        ; implicit-def: $vgpr100
	s_mov_b32 s7, exec_lo
	v_cmpx_ne_u64_e32 0x7f800000, v[2:3]
	s_xor_b32 s10, exec_lo, s7
	s_cbranch_execz .LBB6_10865
; %bb.10852:                            ;   in Loop: Header=BB6_7543 Depth=2
	v_and_b32_e32 v2, 0x7fffffff, v1
	v_mov_b32_e32 v3, v25
	v_and_b32_e32 v4, 0x80, v0
                                        ; implicit-def: $vgpr100
	s_mov_b32 s7, exec_lo
	s_delay_alu instid0(VALU_DEP_2)
	v_cmpx_gt_u64_e32 0x47600001, v[2:3]
	s_xor_b32 s14, exec_lo, s7
	s_cbranch_execz .LBB6_10862
; %bb.10853:                            ;   in Loop: Header=BB6_7543 Depth=2
	v_mov_b32_e32 v100, 0
	s_mov_b32 s41, exec_lo
	v_cmpx_ne_u32_e32 0, v1
	s_cbranch_execz .LBB6_10861
; %bb.10854:                            ;   in Loop: Header=BB6_7543 Depth=2
	v_bfe_u32 v5, v1, 23, 8
	v_or_b32_e32 v1, 0x800000, v24
	s_delay_alu instid0(VALU_DEP_2) | instskip(SKIP_2) | instid1(VALU_DEP_2)
	v_cmp_gt_u32_e64 s7, 0x72, v5
	v_sub_nc_u32_e32 v0, 0x71, v5
	v_cmp_eq_u32_e32 vcc_lo, 0, v5
	v_cndmask_b32_e64 v0, 0, v0, s7
	v_cndmask_b32_e32 v24, v1, v24, vcc_lo
	s_delay_alu instid0(VALU_DEP_2) | instskip(NEXT) | instid1(VALU_DEP_1)
	v_cndmask_b32_e64 v100, v0, 0x70, vcc_lo
	v_dual_add_nc_u32 v0, 21, v100 :: v_dual_add_nc_u32 v2, 20, v100
	s_delay_alu instid0(VALU_DEP_1) | instskip(NEXT) | instid1(VALU_DEP_2)
	v_lshlrev_b64_e64 v[0:1], v0, -1
	v_lshlrev_b64_e64 v[2:3], v2, 1
	s_delay_alu instid0(VALU_DEP_2) | instskip(NEXT) | instid1(VALU_DEP_3)
	v_bfi_b32 v1, v1, 0, 0
	v_bfi_b32 v0, v0, 0, v24
	s_delay_alu instid0(VALU_DEP_1) | instskip(SKIP_1) | instid1(VALU_DEP_1)
	v_cmp_eq_u64_e64 s7, v[0:1], v[2:3]
	v_lshrrev_b64 v[0:1], v100, v[24:25]
	v_mov_b64_e32 v[2:3], v[0:1]
	s_and_saveexec_b32 s42, s7
; %bb.10855:                            ;   in Loop: Header=BB6_7543 Depth=2
	v_bfe_u32 v24, v0, 21, 1
	s_delay_alu instid0(VALU_DEP_1) | instskip(NEXT) | instid1(VALU_DEP_1)
	v_add_nc_u64_e32 v[2:3], v[0:1], v[24:25]
	v_add_nc_u64_e32 v[2:3], -1, v[2:3]
; %bb.10856:                            ;   in Loop: Header=BB6_7543 Depth=2
	s_or_b32 exec_lo, exec_lo, s42
	v_add_nc_u32_e32 v1, 0xffffff81, v5
	v_lshrrev_b32_e32 v3, 23, v0
	s_mov_b32 s7, exec_lo
	s_delay_alu instid0(VALU_DEP_2) | instskip(NEXT) | instid1(VALU_DEP_1)
	v_cndmask_b32_e64 v1, v1, 0xffffff82, vcc_lo
	v_add3_u32 v5, v100, v1, v3
	v_and_b32_e32 v1, 0x1fffff, v2
                                        ; implicit-def: $vgpr2
	s_delay_alu instid0(VALU_DEP_1) | instskip(NEXT) | instid1(VALU_DEP_1)
	v_dual_add_nc_u32 v3, 14, v5 :: v_dual_add_nc_u32 v24, v1, v0
                                        ; implicit-def: $vgpr0_vgpr1
	v_cmpx_ne_u32_e32 0, v3
	s_xor_b32 s7, exec_lo, s7
; %bb.10857:                            ;   in Loop: Header=BB6_7543 Depth=2
	s_delay_alu instid0(VALU_DEP_2) | instskip(SKIP_1) | instid1(VALU_DEP_1)
	v_cmp_lt_u64_e32 vcc_lo, 0xffffff, v[24:25]
	v_add_nc_u32_e32 v0, 15, v5
	v_cndmask_b32_e32 v2, v3, v0, vcc_lo
	v_cndmask_b32_e64 v0, 0, 1, vcc_lo
	s_delay_alu instid0(VALU_DEP_1)
	v_lshrrev_b64 v[0:1], v0, v[24:25]
; %bb.10858:                            ;   in Loop: Header=BB6_7543 Depth=2
	s_and_not1_saveexec_b32 s7, s7
; %bb.10859:                            ;   in Loop: Header=BB6_7543 Depth=2
	v_mov_b64_e32 v[0:1], v[24:25]
	v_bfe_u32 v2, v24, 23, 1
; %bb.10860:                            ;   in Loop: Header=BB6_7543 Depth=2
	s_or_b32 exec_lo, exec_lo, s7
	s_delay_alu instid0(VALU_DEP_2) | instskip(NEXT) | instid1(VALU_DEP_2)
	v_lshrrev_b64 v[0:1], 21, v[0:1]
	v_cmp_gt_i32_e32 vcc_lo, 32, v2
	v_min_i32_e32 v3, 31, v2
	v_cmp_eq_u32_e64 s7, 0, v2
	s_delay_alu instid0(VALU_DEP_2) | instskip(SKIP_1) | instid1(VALU_DEP_2)
	v_dual_cndmask_b32 v1, 0, v1, vcc_lo :: v_dual_lshlrev_b32 v3, 2, v3
	v_cndmask_b32_e32 v0, 3, v0, vcc_lo
	v_and_b32_e32 v3, 0xfc, v3
	s_delay_alu instid0(VALU_DEP_2) | instskip(NEXT) | instid1(VALU_DEP_2)
	v_cmp_eq_u64_e32 vcc_lo, 0, v[0:1]
	v_and_or_b32 v0, v0, 3, v3
	s_and_b32 s7, s7, vcc_lo
	s_delay_alu instid0(VALU_DEP_1) | instid1(SALU_CYCLE_1)
	v_cndmask_b32_e64 v0, v0, 0, s7
	s_delay_alu instid0(VALU_DEP_1)
	v_or_b32_e32 v100, v0, v4
.LBB6_10861:                            ;   in Loop: Header=BB6_7543 Depth=2
	s_or_b32 exec_lo, exec_lo, s41
                                        ; implicit-def: $vgpr4
.LBB6_10862:                            ;   in Loop: Header=BB6_7543 Depth=2
	s_and_not1_saveexec_b32 s7, s14
; %bb.10863:                            ;   in Loop: Header=BB6_7543 Depth=2
	v_or_b32_e32 v100, 0x7b, v4
; %bb.10864:                            ;   in Loop: Header=BB6_7543 Depth=2
	s_or_b32 exec_lo, exec_lo, s7
                                        ; implicit-def: $vgpr1
                                        ; implicit-def: $vgpr0
.LBB6_10865:                            ;   in Loop: Header=BB6_7543 Depth=2
	s_and_not1_saveexec_b32 s7, s10
	s_cbranch_execz .LBB6_10871
; %bb.10866:                            ;   in Loop: Header=BB6_7543 Depth=2
	s_mov_b32 s10, exec_lo
                                        ; implicit-def: $vgpr100
	v_cmpx_ne_u64_e32 0, v[24:25]
	s_xor_b32 s10, exec_lo, s10
; %bb.10867:                            ;   in Loop: Header=BB6_7543 Depth=2
	v_or_b32_e32 v100, 0x7f, v0
                                        ; implicit-def: $vgpr1
; %bb.10868:                            ;   in Loop: Header=BB6_7543 Depth=2
	s_and_not1_saveexec_b32 s10, s10
; %bb.10869:                            ;   in Loop: Header=BB6_7543 Depth=2
	v_cmp_lt_i32_e32 vcc_lo, -1, v1
	v_cndmask_b32_e32 v100, 0xfc, v41, vcc_lo
; %bb.10870:                            ;   in Loop: Header=BB6_7543 Depth=2
	s_or_b32 exec_lo, exec_lo, s10
.LBB6_10871:                            ;   in Loop: Header=BB6_7543 Depth=2
	s_delay_alu instid0(SALU_CYCLE_1) | instskip(SKIP_4) | instid1(VALU_DEP_3)
	s_or_b32 exec_lo, exec_lo, s7
	v_and_b32_e32 v2, 0xff, v15
	v_dual_mov_b32 v24, v15 :: v_dual_mov_b32 v0, v11
	v_mov_b32_e32 v1, v25
	s_mov_b32 s10, -1
	v_cmp_ne_u16_e64 s7, 0, v2
	s_and_not1_b32 vcc_lo, exec_lo, s13
                                        ; implicit-def: $vgpr4
	s_cbranch_vccnz .LBB6_10893
; %bb.10872:                            ;   in Loop: Header=BB6_7543 Depth=2
	v_dual_mov_b32 v4, 0 :: v_dual_mov_b32 v3, 0
	s_and_saveexec_b32 s14, s7
	s_cbranch_execz .LBB6_10882
; %bb.10873:                            ;   in Loop: Header=BB6_7543 Depth=2
	v_bfrev_b32_e32 v3, 1
	s_mov_b32 s41, exec_lo
	v_cmpx_ne_u16_e32 0x80, v2
	s_cbranch_execz .LBB6_10881
; %bb.10874:                            ;   in Loop: Header=BB6_7543 Depth=2
	v_and_b32_e32 v3, 0x7c, v15
	v_and_b32_e32 v5, 3, v15
	s_delay_alu instid0(VALU_DEP_2) | instskip(SKIP_1) | instid1(SALU_CYCLE_1)
	v_cmp_ne_u32_e32 vcc_lo, 0x7c, v3
                                        ; implicit-def: $vgpr3
	s_and_saveexec_b32 s10, vcc_lo
	s_xor_b32 s10, exec_lo, s10
	s_cbranch_execz .LBB6_10878
; %bb.10875:                            ;   in Loop: Header=BB6_7543 Depth=2
	v_bfe_u32 v3, v15, 2, 5
	s_mov_b32 s42, exec_lo
	s_delay_alu instid0(VALU_DEP_1)
	v_cmpx_eq_u32_e32 0, v3
; %bb.10876:                            ;   in Loop: Header=BB6_7543 Depth=2
	v_clz_i32_u32_e32 v3, v5
	s_delay_alu instid0(VALU_DEP_1) | instskip(NEXT) | instid1(VALU_DEP_1)
	v_min_u32_e32 v3, 32, v3
	v_subrev_nc_u32_e32 v5, 29, v3
	s_delay_alu instid0(VALU_DEP_1) | instskip(NEXT) | instid1(VALU_DEP_1)
	v_lshlrev_b64_e32 v[102:103], v5, v[24:25]
	v_dual_sub_nc_u32 v3, 30, v3 :: v_dual_bitop2_b32 v5, 3, v102 bitop3:0x40
; %bb.10877:                            ;   in Loop: Header=BB6_7543 Depth=2
	s_or_b32 exec_lo, exec_lo, s42
	v_lshlrev_b32_e32 v101, 24, v15
	s_delay_alu instid0(VALU_DEP_1) | instskip(NEXT) | instid1(VALU_DEP_1)
	v_and_b32_e32 v101, 0x80000000, v101
	v_lshl_add_u32 v3, v3, 23, v101
	s_delay_alu instid0(VALU_DEP_1) | instskip(NEXT) | instid1(VALU_DEP_1)
	v_lshl_or_b32 v3, v5, 21, v3
                                        ; implicit-def: $vgpr5
	v_add_nc_u32_e32 v3, 0x38000000, v3
.LBB6_10878:                            ;   in Loop: Header=BB6_7543 Depth=2
	s_and_not1_saveexec_b32 s42, s10
; %bb.10879:                            ;   in Loop: Header=BB6_7543 Depth=2
	v_bfe_i32 v3, v15, 0, 8
	v_cmp_eq_u32_e32 vcc_lo, 0, v5
	s_delay_alu instid0(VALU_DEP_2) | instskip(NEXT) | instid1(VALU_DEP_1)
	v_cmp_lt_i16_e64 s10, -1, v3
	v_cndmask_b32_e64 v3, 0xff800000, v75, s10
	s_delay_alu instid0(VALU_DEP_1)
	v_cndmask_b32_e32 v3, 0x7f800001, v3, vcc_lo
; %bb.10880:                            ;   in Loop: Header=BB6_7543 Depth=2
	s_or_b32 exec_lo, exec_lo, s42
.LBB6_10881:                            ;   in Loop: Header=BB6_7543 Depth=2
	s_delay_alu instid0(SALU_CYCLE_1)
	s_or_b32 exec_lo, exec_lo, s41
.LBB6_10882:                            ;   in Loop: Header=BB6_7543 Depth=2
	s_delay_alu instid0(SALU_CYCLE_1) | instskip(SKIP_2) | instid1(VALU_DEP_1)
	s_or_b32 exec_lo, exec_lo, s14
	v_and_b32_e32 v5, 0xff, v11
	s_mov_b32 s14, exec_lo
	v_cmpx_ne_u16_e32 0, v5
	s_cbranch_execz .LBB6_10892
; %bb.10883:                            ;   in Loop: Header=BB6_7543 Depth=2
	v_bfrev_b32_e32 v4, 1
	s_mov_b32 s41, exec_lo
	v_cmpx_ne_u16_e32 0x80, v5
	s_cbranch_execz .LBB6_10891
; %bb.10884:                            ;   in Loop: Header=BB6_7543 Depth=2
	v_and_b32_e32 v4, 0x7c, v11
	v_and_b32_e32 v5, 3, v11
	s_delay_alu instid0(VALU_DEP_2) | instskip(SKIP_1) | instid1(SALU_CYCLE_1)
	v_cmp_ne_u32_e32 vcc_lo, 0x7c, v4
                                        ; implicit-def: $vgpr4
	s_and_saveexec_b32 s10, vcc_lo
	s_xor_b32 s10, exec_lo, s10
	s_cbranch_execz .LBB6_10888
; %bb.10885:                            ;   in Loop: Header=BB6_7543 Depth=2
	v_bfe_u32 v4, v11, 2, 5
	s_mov_b32 s42, exec_lo
	s_delay_alu instid0(VALU_DEP_1)
	v_cmpx_eq_u32_e32 0, v4
; %bb.10886:                            ;   in Loop: Header=BB6_7543 Depth=2
	v_clz_i32_u32_e32 v4, v5
	s_delay_alu instid0(VALU_DEP_1) | instskip(NEXT) | instid1(VALU_DEP_1)
	v_min_u32_e32 v4, 32, v4
	v_subrev_nc_u32_e32 v5, 29, v4
	s_delay_alu instid0(VALU_DEP_1) | instskip(NEXT) | instid1(VALU_DEP_1)
	v_lshlrev_b64_e32 v[102:103], v5, v[0:1]
	v_dual_sub_nc_u32 v4, 30, v4 :: v_dual_bitop2_b32 v5, 3, v102 bitop3:0x40
; %bb.10887:                            ;   in Loop: Header=BB6_7543 Depth=2
	s_or_b32 exec_lo, exec_lo, s42
	v_lshlrev_b32_e32 v101, 24, v11
	s_delay_alu instid0(VALU_DEP_1) | instskip(NEXT) | instid1(VALU_DEP_1)
	v_and_b32_e32 v101, 0x80000000, v101
	v_lshl_add_u32 v4, v4, 23, v101
	s_delay_alu instid0(VALU_DEP_1) | instskip(NEXT) | instid1(VALU_DEP_1)
	v_lshl_or_b32 v4, v5, 21, v4
                                        ; implicit-def: $vgpr5
	v_add_nc_u32_e32 v4, 0x38000000, v4
.LBB6_10888:                            ;   in Loop: Header=BB6_7543 Depth=2
	s_and_not1_saveexec_b32 s42, s10
; %bb.10889:                            ;   in Loop: Header=BB6_7543 Depth=2
	v_bfe_i32 v4, v11, 0, 8
	v_cmp_eq_u32_e32 vcc_lo, 0, v5
	s_delay_alu instid0(VALU_DEP_2) | instskip(NEXT) | instid1(VALU_DEP_1)
	v_cmp_lt_i16_e64 s10, -1, v4
	v_cndmask_b32_e64 v4, 0xff800000, v75, s10
	s_delay_alu instid0(VALU_DEP_1)
	v_cndmask_b32_e32 v4, 0x7f800001, v4, vcc_lo
; %bb.10890:                            ;   in Loop: Header=BB6_7543 Depth=2
	s_or_b32 exec_lo, exec_lo, s42
.LBB6_10891:                            ;   in Loop: Header=BB6_7543 Depth=2
	s_delay_alu instid0(SALU_CYCLE_1)
	s_or_b32 exec_lo, exec_lo, s41
.LBB6_10892:                            ;   in Loop: Header=BB6_7543 Depth=2
	s_delay_alu instid0(SALU_CYCLE_1) | instskip(NEXT) | instid1(VALU_DEP_1)
	s_or_b32 exec_lo, exec_lo, s14
	v_dual_max_num_f32 v4, v4, v4 :: v_dual_max_num_f32 v3, v3, v3
	s_mov_b32 s10, 0
	s_delay_alu instid0(VALU_DEP_1)
	v_max_num_f32_e32 v4, v3, v4
.LBB6_10893:                            ;   in Loop: Header=BB6_7543 Depth=2
	s_and_b32 vcc_lo, exec_lo, s10
	s_cbranch_vccz .LBB6_10915
; %bb.10894:                            ;   in Loop: Header=BB6_7543 Depth=2
	v_dual_mov_b32 v4, 0 :: v_dual_mov_b32 v3, 0
	s_and_saveexec_b32 s10, s7
	s_cbranch_execz .LBB6_10904
; %bb.10895:                            ;   in Loop: Header=BB6_7543 Depth=2
	v_bfrev_b32_e32 v3, 1
	s_mov_b32 s14, exec_lo
	v_cmpx_ne_u16_e32 0x80, v2
	s_cbranch_execz .LBB6_10903
; %bb.10896:                            ;   in Loop: Header=BB6_7543 Depth=2
	v_and_b32_e32 v3, 0x7c, v15
	v_and_b32_e32 v2, 3, v15
	s_delay_alu instid0(VALU_DEP_2) | instskip(SKIP_1) | instid1(SALU_CYCLE_1)
	v_cmp_ne_u32_e32 vcc_lo, 0x7c, v3
                                        ; implicit-def: $vgpr3
	s_and_saveexec_b32 s7, vcc_lo
	s_xor_b32 s7, exec_lo, s7
	s_cbranch_execz .LBB6_10900
; %bb.10897:                            ;   in Loop: Header=BB6_7543 Depth=2
	v_bfe_u32 v3, v15, 2, 5
	s_mov_b32 s41, exec_lo
	s_delay_alu instid0(VALU_DEP_1)
	v_cmpx_eq_u32_e32 0, v3
; %bb.10898:                            ;   in Loop: Header=BB6_7543 Depth=2
	v_clz_i32_u32_e32 v2, v2
	s_delay_alu instid0(VALU_DEP_1) | instskip(NEXT) | instid1(VALU_DEP_1)
	v_min_u32_e32 v5, 32, v2
	v_subrev_nc_u32_e32 v2, 29, v5
	s_delay_alu instid0(VALU_DEP_1) | instskip(NEXT) | instid1(VALU_DEP_1)
	v_lshlrev_b64_e32 v[2:3], v2, v[24:25]
	v_dual_sub_nc_u32 v3, 30, v5 :: v_dual_bitop2_b32 v2, 3, v2 bitop3:0x40
; %bb.10899:                            ;   in Loop: Header=BB6_7543 Depth=2
	s_or_b32 exec_lo, exec_lo, s41
	v_lshlrev_b32_e32 v5, 24, v15
	s_delay_alu instid0(VALU_DEP_1) | instskip(NEXT) | instid1(VALU_DEP_1)
	v_and_b32_e32 v5, 0x80000000, v5
	v_lshl_add_u32 v3, v3, 23, v5
	s_delay_alu instid0(VALU_DEP_1) | instskip(NEXT) | instid1(VALU_DEP_1)
	v_lshl_or_b32 v2, v2, 21, v3
	v_add_nc_u32_e32 v3, 0x38000000, v2
                                        ; implicit-def: $vgpr2
.LBB6_10900:                            ;   in Loop: Header=BB6_7543 Depth=2
	s_and_not1_saveexec_b32 s41, s7
; %bb.10901:                            ;   in Loop: Header=BB6_7543 Depth=2
	v_bfe_i32 v3, v15, 0, 8
	v_cmp_eq_u32_e32 vcc_lo, 0, v2
	s_delay_alu instid0(VALU_DEP_2) | instskip(NEXT) | instid1(VALU_DEP_1)
	v_cmp_lt_i16_e64 s7, -1, v3
	v_cndmask_b32_e64 v2, 0xff800000, v75, s7
	s_delay_alu instid0(VALU_DEP_1)
	v_cndmask_b32_e32 v3, 0x7f800001, v2, vcc_lo
; %bb.10902:                            ;   in Loop: Header=BB6_7543 Depth=2
	s_or_b32 exec_lo, exec_lo, s41
.LBB6_10903:                            ;   in Loop: Header=BB6_7543 Depth=2
	s_delay_alu instid0(SALU_CYCLE_1)
	s_or_b32 exec_lo, exec_lo, s14
.LBB6_10904:                            ;   in Loop: Header=BB6_7543 Depth=2
	s_delay_alu instid0(SALU_CYCLE_1) | instskip(SKIP_2) | instid1(VALU_DEP_1)
	s_or_b32 exec_lo, exec_lo, s10
	v_and_b32_e32 v2, 0xff, v11
	s_mov_b32 s10, exec_lo
	v_cmpx_ne_u16_e32 0, v2
	s_cbranch_execz .LBB6_10914
; %bb.10905:                            ;   in Loop: Header=BB6_7543 Depth=2
	v_bfrev_b32_e32 v4, 1
	s_mov_b32 s14, exec_lo
	v_cmpx_ne_u16_e32 0x80, v2
	s_cbranch_execz .LBB6_10913
; %bb.10906:                            ;   in Loop: Header=BB6_7543 Depth=2
	v_and_b32_e32 v4, 0x7c, v11
	v_and_b32_e32 v2, 3, v11
	s_delay_alu instid0(VALU_DEP_2) | instskip(SKIP_1) | instid1(SALU_CYCLE_1)
	v_cmp_ne_u32_e32 vcc_lo, 0x7c, v4
                                        ; implicit-def: $vgpr4
	s_and_saveexec_b32 s7, vcc_lo
	s_xor_b32 s7, exec_lo, s7
	s_cbranch_execz .LBB6_10910
; %bb.10907:                            ;   in Loop: Header=BB6_7543 Depth=2
	v_bfe_u32 v4, v11, 2, 5
	s_mov_b32 s41, exec_lo
	s_delay_alu instid0(VALU_DEP_1)
	v_cmpx_eq_u32_e32 0, v4
; %bb.10908:                            ;   in Loop: Header=BB6_7543 Depth=2
	v_clz_i32_u32_e32 v2, v2
	s_delay_alu instid0(VALU_DEP_1) | instskip(NEXT) | instid1(VALU_DEP_1)
	v_min_u32_e32 v2, 32, v2
	v_subrev_nc_u32_e32 v4, 29, v2
	s_delay_alu instid0(VALU_DEP_1) | instskip(SKIP_1) | instid1(VALU_DEP_2)
	v_lshlrev_b64_e32 v[102:103], v4, v[0:1]
	v_sub_nc_u32_e32 v4, 30, v2
	v_and_b32_e32 v2, 3, v102
; %bb.10909:                            ;   in Loop: Header=BB6_7543 Depth=2
	s_or_b32 exec_lo, exec_lo, s41
	v_lshlrev_b32_e32 v1, 24, v11
	s_delay_alu instid0(VALU_DEP_1) | instskip(NEXT) | instid1(VALU_DEP_1)
	v_and_b32_e32 v1, 0x80000000, v1
	v_lshl_add_u32 v1, v4, 23, v1
	s_delay_alu instid0(VALU_DEP_1) | instskip(NEXT) | instid1(VALU_DEP_1)
	v_lshl_or_b32 v1, v2, 21, v1
                                        ; implicit-def: $vgpr2
	v_add_nc_u32_e32 v4, 0x38000000, v1
.LBB6_10910:                            ;   in Loop: Header=BB6_7543 Depth=2
	s_and_not1_saveexec_b32 s41, s7
; %bb.10911:                            ;   in Loop: Header=BB6_7543 Depth=2
	v_bfe_i32 v1, v11, 0, 8
	v_cmp_eq_u32_e32 vcc_lo, 0, v2
	s_delay_alu instid0(VALU_DEP_2) | instskip(NEXT) | instid1(VALU_DEP_1)
	v_cmp_lt_i16_e64 s7, -1, v1
	v_cndmask_b32_e64 v1, 0xff800000, v75, s7
	s_delay_alu instid0(VALU_DEP_1)
	v_cndmask_b32_e32 v4, 0x7f800001, v1, vcc_lo
; %bb.10912:                            ;   in Loop: Header=BB6_7543 Depth=2
	s_or_b32 exec_lo, exec_lo, s41
.LBB6_10913:                            ;   in Loop: Header=BB6_7543 Depth=2
	s_delay_alu instid0(SALU_CYCLE_1)
	s_or_b32 exec_lo, exec_lo, s14
.LBB6_10914:                            ;   in Loop: Header=BB6_7543 Depth=2
	s_delay_alu instid0(SALU_CYCLE_1) | instskip(NEXT) | instid1(VALU_DEP_1)
	s_or_b32 exec_lo, exec_lo, s10
	v_dual_max_num_f32 v1, v4, v4 :: v_dual_max_num_f32 v2, v3, v3
	s_delay_alu instid0(VALU_DEP_1)
	v_min_num_f32_e32 v4, v2, v1
.LBB6_10915:                            ;   in Loop: Header=BB6_7543 Depth=2
	s_delay_alu instid0(VALU_DEP_1) | instskip(SKIP_4) | instid1(VALU_DEP_3)
	v_and_b32_e32 v102, 0x7f800000, v4
	v_dual_mov_b32 v103, v25 :: v_dual_mov_b32 v3, v25
	v_and_b32_e32 v2, 0x7fffff, v4
	v_lshrrev_b32_e32 v1, 24, v4
                                        ; implicit-def: $vgpr101
	s_mov_b32 s7, exec_lo
	v_cmpx_ne_u64_e32 0x7f800000, v[102:103]
	s_xor_b32 s10, exec_lo, s7
	s_cbranch_execz .LBB6_10929
; %bb.10916:                            ;   in Loop: Header=BB6_7543 Depth=2
	v_and_b32_e32 v102, 0x7fffffff, v4
	v_mov_b32_e32 v103, v25
	v_and_b32_e32 v1, 0x80, v1
                                        ; implicit-def: $vgpr101
	s_mov_b32 s7, exec_lo
	s_delay_alu instid0(VALU_DEP_2)
	v_cmpx_gt_u64_e32 0x47600001, v[102:103]
	s_xor_b32 s14, exec_lo, s7
	s_cbranch_execz .LBB6_10926
; %bb.10917:                            ;   in Loop: Header=BB6_7543 Depth=2
	v_mov_b32_e32 v101, 0
	s_mov_b32 s41, exec_lo
	v_cmpx_ne_u32_e32 0, v4
	s_cbranch_execz .LBB6_10925
; %bb.10918:                            ;   in Loop: Header=BB6_7543 Depth=2
	v_bfe_u32 v101, v4, 23, 8
	v_or_b32_e32 v5, 0x800000, v2
	s_delay_alu instid0(VALU_DEP_2) | instskip(SKIP_2) | instid1(VALU_DEP_2)
	v_cmp_gt_u32_e64 s7, 0x72, v101
	v_sub_nc_u32_e32 v4, 0x71, v101
	v_cmp_eq_u32_e32 vcc_lo, 0, v101
	v_dual_cndmask_b32 v4, 0, v4, s7 :: v_dual_cndmask_b32 v2, v5, v2, vcc_lo
	s_delay_alu instid0(VALU_DEP_1) | instskip(NEXT) | instid1(VALU_DEP_1)
	v_cndmask_b32_e64 v102, v4, 0x70, vcc_lo
	v_dual_add_nc_u32 v4, 21, v102 :: v_dual_add_nc_u32 v103, 20, v102
	s_delay_alu instid0(VALU_DEP_1) | instskip(NEXT) | instid1(VALU_DEP_2)
	v_lshlrev_b64_e64 v[4:5], v4, -1
	v_lshlrev_b64_e64 v[112:113], v103, 1
	s_delay_alu instid0(VALU_DEP_2) | instskip(SKIP_1) | instid1(VALU_DEP_4)
	v_bfi_b32 v4, v4, 0, v2
	v_lshrrev_b64 v[2:3], v102, v[2:3]
	v_bfi_b32 v5, v5, 0, 0
	s_delay_alu instid0(VALU_DEP_1) | instskip(NEXT) | instid1(VALU_DEP_3)
	v_cmp_eq_u64_e64 s7, v[4:5], v[112:113]
	v_mov_b64_e32 v[4:5], v[2:3]
	s_and_saveexec_b32 s42, s7
; %bb.10919:                            ;   in Loop: Header=BB6_7543 Depth=2
	v_bfe_u32 v4, v2, 21, 1
	v_mov_b32_e32 v5, v25
	s_delay_alu instid0(VALU_DEP_1) | instskip(NEXT) | instid1(VALU_DEP_1)
	v_add_nc_u64_e32 v[4:5], v[2:3], v[4:5]
	v_add_nc_u64_e32 v[4:5], -1, v[4:5]
; %bb.10920:                            ;   in Loop: Header=BB6_7543 Depth=2
	s_or_b32 exec_lo, exec_lo, s42
	v_add_nc_u32_e32 v3, 0xffffff81, v101
	v_lshrrev_b32_e32 v5, 23, v2
	s_mov_b32 s7, exec_lo
	s_delay_alu instid0(VALU_DEP_2) | instskip(NEXT) | instid1(VALU_DEP_1)
	v_cndmask_b32_e64 v3, v3, 0xffffff82, vcc_lo
	v_add3_u32 v101, v102, v3, v5
	v_and_b32_e32 v3, 0x1fffff, v4
                                        ; implicit-def: $vgpr4
	s_delay_alu instid0(VALU_DEP_1) | instskip(SKIP_1) | instid1(VALU_DEP_2)
	v_dual_add_nc_u32 v5, 14, v101 :: v_dual_add_nc_u32 v2, v3, v2
	v_mov_b32_e32 v3, v25
	v_cmpx_ne_u32_e32 0, v5
	s_xor_b32 s7, exec_lo, s7
; %bb.10921:                            ;   in Loop: Header=BB6_7543 Depth=2
	s_delay_alu instid0(VALU_DEP_2) | instskip(SKIP_1) | instid1(VALU_DEP_1)
	v_cmp_lt_u64_e32 vcc_lo, 0xffffff, v[2:3]
	v_add_nc_u32_e32 v4, 15, v101
	v_cndmask_b32_e32 v4, v5, v4, vcc_lo
	v_cndmask_b32_e64 v5, 0, 1, vcc_lo
	s_delay_alu instid0(VALU_DEP_1)
	v_lshrrev_b64 v[2:3], v5, v[2:3]
; %bb.10922:                            ;   in Loop: Header=BB6_7543 Depth=2
	s_and_not1_saveexec_b32 s7, s7
; %bb.10923:                            ;   in Loop: Header=BB6_7543 Depth=2
	s_delay_alu instid0(VALU_DEP_1)
	v_bfe_u32 v4, v2, 23, 1
; %bb.10924:                            ;   in Loop: Header=BB6_7543 Depth=2
	s_or_b32 exec_lo, exec_lo, s7
	s_delay_alu instid0(VALU_DEP_2) | instskip(NEXT) | instid1(VALU_DEP_2)
	v_lshrrev_b64 v[2:3], 21, v[2:3]
	v_cmp_gt_i32_e32 vcc_lo, 32, v4
	v_min_i32_e32 v5, 31, v4
	v_cmp_eq_u32_e64 s7, 0, v4
	s_delay_alu instid0(VALU_DEP_2) | instskip(SKIP_1) | instid1(VALU_DEP_2)
	v_dual_cndmask_b32 v3, 0, v3, vcc_lo :: v_dual_lshlrev_b32 v5, 2, v5
	v_cndmask_b32_e32 v2, 3, v2, vcc_lo
	v_and_b32_e32 v5, 0xfc, v5
	s_delay_alu instid0(VALU_DEP_2) | instskip(NEXT) | instid1(VALU_DEP_2)
	v_cmp_eq_u64_e32 vcc_lo, 0, v[2:3]
	v_and_or_b32 v2, v2, 3, v5
	s_and_b32 s7, s7, vcc_lo
	s_delay_alu instid0(VALU_DEP_1) | instid1(SALU_CYCLE_1)
	v_cndmask_b32_e64 v2, v2, 0, s7
	s_delay_alu instid0(VALU_DEP_1)
	v_or_b32_e32 v101, v2, v1
.LBB6_10925:                            ;   in Loop: Header=BB6_7543 Depth=2
	s_or_b32 exec_lo, exec_lo, s41
                                        ; implicit-def: $vgpr1
.LBB6_10926:                            ;   in Loop: Header=BB6_7543 Depth=2
	s_and_not1_saveexec_b32 s7, s14
; %bb.10927:                            ;   in Loop: Header=BB6_7543 Depth=2
	v_or_b32_e32 v101, 0x7b, v1
; %bb.10928:                            ;   in Loop: Header=BB6_7543 Depth=2
	s_or_b32 exec_lo, exec_lo, s7
                                        ; implicit-def: $vgpr4
                                        ; implicit-def: $vgpr2_vgpr3
                                        ; implicit-def: $vgpr1
.LBB6_10929:                            ;   in Loop: Header=BB6_7543 Depth=2
	s_and_not1_saveexec_b32 s7, s10
	s_cbranch_execz .LBB6_10935
; %bb.10930:                            ;   in Loop: Header=BB6_7543 Depth=2
	s_mov_b32 s10, exec_lo
                                        ; implicit-def: $vgpr101
	v_cmpx_ne_u64_e32 0, v[2:3]
	s_xor_b32 s10, exec_lo, s10
; %bb.10931:                            ;   in Loop: Header=BB6_7543 Depth=2
	v_or_b32_e32 v101, 0x7f, v1
                                        ; implicit-def: $vgpr4
; %bb.10932:                            ;   in Loop: Header=BB6_7543 Depth=2
	s_and_not1_saveexec_b32 s10, s10
; %bb.10933:                            ;   in Loop: Header=BB6_7543 Depth=2
	v_cmp_lt_i32_e32 vcc_lo, -1, v4
	v_cndmask_b32_e32 v101, 0xfc, v41, vcc_lo
; %bb.10934:                            ;   in Loop: Header=BB6_7543 Depth=2
	s_or_b32 exec_lo, exec_lo, s10
.LBB6_10935:                            ;   in Loop: Header=BB6_7543 Depth=2
	s_delay_alu instid0(SALU_CYCLE_1) | instskip(SKIP_4) | instid1(VALU_DEP_2)
	s_or_b32 exec_lo, exec_lo, s7
	v_lshrrev_b16 v4, 8, v24
	v_lshrrev_b16 v2, 8, v0
	s_mov_b32 s10, -1
	s_and_not1_b32 vcc_lo, exec_lo, s13
                                        ; implicit-def: $vgpr3
	v_and_b32_e32 v1, 0xffff, v4
	v_cmp_ne_u16_e64 s7, 0, v4
	s_cbranch_vccnz .LBB6_10957
; %bb.10936:                            ;   in Loop: Header=BB6_7543 Depth=2
	v_dual_mov_b32 v3, 0 :: v_dual_mov_b32 v5, 0
	s_and_saveexec_b32 s14, s7
	s_cbranch_execz .LBB6_10946
; %bb.10937:                            ;   in Loop: Header=BB6_7543 Depth=2
	v_bfrev_b32_e32 v5, 1
	s_mov_b32 s41, exec_lo
	v_cmpx_ne_u16_e32 0x80, v4
	s_cbranch_execz .LBB6_10945
; %bb.10938:                            ;   in Loop: Header=BB6_7543 Depth=2
	v_and_b32_e32 v5, 0x7c, v1
	v_and_b32_e32 v102, 3, v1
	s_delay_alu instid0(VALU_DEP_2) | instskip(SKIP_1) | instid1(SALU_CYCLE_1)
	v_cmp_ne_u32_e32 vcc_lo, 0x7c, v5
                                        ; implicit-def: $vgpr5
	s_and_saveexec_b32 s10, vcc_lo
	s_xor_b32 s10, exec_lo, s10
	s_cbranch_execz .LBB6_10942
; %bb.10939:                            ;   in Loop: Header=BB6_7543 Depth=2
	v_bfe_u32 v5, v1, 2, 5
	s_mov_b32 s42, exec_lo
	s_delay_alu instid0(VALU_DEP_1)
	v_cmpx_eq_u32_e32 0, v5
; %bb.10940:                            ;   in Loop: Header=BB6_7543 Depth=2
	v_clz_i32_u32_e32 v5, v102
	s_delay_alu instid0(VALU_DEP_1) | instskip(SKIP_1) | instid1(VALU_DEP_2)
	v_min_u32_e32 v112, 32, v5
	v_mov_b32_e32 v5, v25
	v_subrev_nc_u32_e32 v102, 29, v112
	s_delay_alu instid0(VALU_DEP_1) | instskip(NEXT) | instid1(VALU_DEP_1)
	v_lshlrev_b64_e32 v[102:103], v102, v[4:5]
	v_dual_sub_nc_u32 v5, 30, v112 :: v_dual_bitop2_b32 v102, 3, v102 bitop3:0x40
; %bb.10941:                            ;   in Loop: Header=BB6_7543 Depth=2
	s_or_b32 exec_lo, exec_lo, s42
	v_lshlrev_b32_e32 v103, 16, v24
	s_delay_alu instid0(VALU_DEP_1) | instskip(NEXT) | instid1(VALU_DEP_1)
	v_and_b32_e32 v103, 0x80000000, v103
	v_lshl_add_u32 v5, v5, 23, v103
	s_delay_alu instid0(VALU_DEP_1) | instskip(NEXT) | instid1(VALU_DEP_1)
	v_lshl_or_b32 v5, v102, 21, v5
                                        ; implicit-def: $vgpr102
	v_add_nc_u32_e32 v5, 0x38000000, v5
.LBB6_10942:                            ;   in Loop: Header=BB6_7543 Depth=2
	s_and_not1_saveexec_b32 s42, s10
; %bb.10943:                            ;   in Loop: Header=BB6_7543 Depth=2
	v_cmp_lt_i16_e64 s10, -1, v24
	v_cmp_eq_u32_e32 vcc_lo, 0, v102
	s_delay_alu instid0(VALU_DEP_2) | instskip(NEXT) | instid1(VALU_DEP_1)
	v_cndmask_b32_e64 v5, 0xff800000, v75, s10
	v_cndmask_b32_e32 v5, 0x7f800001, v5, vcc_lo
; %bb.10944:                            ;   in Loop: Header=BB6_7543 Depth=2
	s_or_b32 exec_lo, exec_lo, s42
.LBB6_10945:                            ;   in Loop: Header=BB6_7543 Depth=2
	s_delay_alu instid0(SALU_CYCLE_1)
	s_or_b32 exec_lo, exec_lo, s41
.LBB6_10946:                            ;   in Loop: Header=BB6_7543 Depth=2
	s_delay_alu instid0(SALU_CYCLE_1) | instskip(NEXT) | instid1(SALU_CYCLE_1)
	s_or_b32 exec_lo, exec_lo, s14
	s_mov_b32 s14, exec_lo
	v_cmpx_ne_u16_e32 0, v2
	s_cbranch_execz .LBB6_10956
; %bb.10947:                            ;   in Loop: Header=BB6_7543 Depth=2
	v_bfrev_b32_e32 v3, 1
	s_mov_b32 s41, exec_lo
	v_cmpx_ne_u16_e32 0x80, v2
	s_cbranch_execz .LBB6_10955
; %bb.10948:                            ;   in Loop: Header=BB6_7543 Depth=2
	v_and_b32_e32 v103, 0xffff, v2
	s_delay_alu instid0(VALU_DEP_1) | instskip(SKIP_1) | instid1(VALU_DEP_2)
	v_and_b32_e32 v3, 0x7c, v103
	v_and_b32_e32 v102, 3, v103
	v_cmp_ne_u32_e32 vcc_lo, 0x7c, v3
                                        ; implicit-def: $vgpr3
	s_and_saveexec_b32 s10, vcc_lo
	s_delay_alu instid0(SALU_CYCLE_1)
	s_xor_b32 s10, exec_lo, s10
	s_cbranch_execz .LBB6_10952
; %bb.10949:                            ;   in Loop: Header=BB6_7543 Depth=2
	v_bfe_u32 v3, v103, 2, 5
	s_mov_b32 s42, exec_lo
	s_delay_alu instid0(VALU_DEP_1)
	v_cmpx_eq_u32_e32 0, v3
; %bb.10950:                            ;   in Loop: Header=BB6_7543 Depth=2
	v_clz_i32_u32_e32 v3, v102
	s_delay_alu instid0(VALU_DEP_1) | instskip(SKIP_1) | instid1(VALU_DEP_2)
	v_min_u32_e32 v112, 32, v3
	v_mov_b32_e32 v3, v25
	v_subrev_nc_u32_e32 v102, 29, v112
	s_delay_alu instid0(VALU_DEP_1) | instskip(NEXT) | instid1(VALU_DEP_1)
	v_lshlrev_b64_e32 v[102:103], v102, v[2:3]
	v_dual_sub_nc_u32 v3, 30, v112 :: v_dual_bitop2_b32 v102, 3, v102 bitop3:0x40
; %bb.10951:                            ;   in Loop: Header=BB6_7543 Depth=2
	s_or_b32 exec_lo, exec_lo, s42
	v_lshlrev_b32_e32 v103, 16, v0
	s_delay_alu instid0(VALU_DEP_1) | instskip(NEXT) | instid1(VALU_DEP_1)
	v_and_b32_e32 v103, 0x80000000, v103
	v_lshl_add_u32 v3, v3, 23, v103
	s_delay_alu instid0(VALU_DEP_1) | instskip(NEXT) | instid1(VALU_DEP_1)
	v_lshl_or_b32 v3, v102, 21, v3
                                        ; implicit-def: $vgpr102
	v_add_nc_u32_e32 v3, 0x38000000, v3
.LBB6_10952:                            ;   in Loop: Header=BB6_7543 Depth=2
	s_and_not1_saveexec_b32 s42, s10
; %bb.10953:                            ;   in Loop: Header=BB6_7543 Depth=2
	v_cmp_lt_i16_e64 s10, -1, v0
	v_cmp_eq_u32_e32 vcc_lo, 0, v102
	s_delay_alu instid0(VALU_DEP_2) | instskip(NEXT) | instid1(VALU_DEP_1)
	v_cndmask_b32_e64 v3, 0xff800000, v75, s10
	v_cndmask_b32_e32 v3, 0x7f800001, v3, vcc_lo
; %bb.10954:                            ;   in Loop: Header=BB6_7543 Depth=2
	s_or_b32 exec_lo, exec_lo, s42
.LBB6_10955:                            ;   in Loop: Header=BB6_7543 Depth=2
	s_delay_alu instid0(SALU_CYCLE_1)
	s_or_b32 exec_lo, exec_lo, s41
.LBB6_10956:                            ;   in Loop: Header=BB6_7543 Depth=2
	s_delay_alu instid0(SALU_CYCLE_1) | instskip(NEXT) | instid1(VALU_DEP_1)
	s_or_b32 exec_lo, exec_lo, s14
	v_dual_max_num_f32 v3, v3, v3 :: v_dual_max_num_f32 v5, v5, v5
	s_mov_b32 s10, 0
	s_delay_alu instid0(VALU_DEP_1)
	v_max_num_f32_e32 v3, v5, v3
.LBB6_10957:                            ;   in Loop: Header=BB6_7543 Depth=2
	s_and_b32 vcc_lo, exec_lo, s10
	s_cbranch_vccz .LBB6_10979
; %bb.10958:                            ;   in Loop: Header=BB6_7543 Depth=2
	v_dual_mov_b32 v3, 0 :: v_dual_mov_b32 v5, 0
	s_and_saveexec_b32 s10, s7
	s_cbranch_execz .LBB6_10968
; %bb.10959:                            ;   in Loop: Header=BB6_7543 Depth=2
	v_bfrev_b32_e32 v5, 1
	s_mov_b32 s14, exec_lo
	v_cmpx_ne_u16_e32 0x80, v4
	s_cbranch_execz .LBB6_10967
; %bb.10960:                            ;   in Loop: Header=BB6_7543 Depth=2
	v_and_b32_e32 v5, 0x7c, v1
	v_and_b32_e32 v102, 3, v1
	s_delay_alu instid0(VALU_DEP_2) | instskip(SKIP_1) | instid1(SALU_CYCLE_1)
	v_cmp_ne_u32_e32 vcc_lo, 0x7c, v5
                                        ; implicit-def: $vgpr5
	s_and_saveexec_b32 s7, vcc_lo
	s_xor_b32 s7, exec_lo, s7
	s_cbranch_execz .LBB6_10964
; %bb.10961:                            ;   in Loop: Header=BB6_7543 Depth=2
	v_bfe_u32 v1, v1, 2, 5
	s_mov_b32 s41, exec_lo
	s_delay_alu instid0(VALU_DEP_1)
	v_cmpx_eq_u32_e32 0, v1
	s_cbranch_execz .LBB6_10963
; %bb.10962:                            ;   in Loop: Header=BB6_7543 Depth=2
	v_clz_i32_u32_e32 v1, v102
	s_delay_alu instid0(VALU_DEP_1) | instskip(SKIP_1) | instid1(VALU_DEP_2)
	v_min_u32_e32 v1, 32, v1
	v_mov_b32_e32 v5, v25
	v_subrev_nc_u32_e32 v102, 29, v1
	v_sub_nc_u32_e32 v1, 30, v1
	s_delay_alu instid0(VALU_DEP_2) | instskip(NEXT) | instid1(VALU_DEP_1)
	v_lshlrev_b64_e32 v[4:5], v102, v[4:5]
	v_and_b32_e32 v102, 3, v4
.LBB6_10963:                            ;   in Loop: Header=BB6_7543 Depth=2
	s_or_b32 exec_lo, exec_lo, s41
	v_lshlrev_b32_e32 v4, 16, v24
	s_delay_alu instid0(VALU_DEP_1) | instskip(NEXT) | instid1(VALU_DEP_1)
	v_and_b32_e32 v4, 0x80000000, v4
	v_lshl_add_u32 v1, v1, 23, v4
	s_delay_alu instid0(VALU_DEP_1) | instskip(NEXT) | instid1(VALU_DEP_1)
	v_lshl_or_b32 v1, v102, 21, v1
                                        ; implicit-def: $vgpr102
	v_add_nc_u32_e32 v5, 0x38000000, v1
.LBB6_10964:                            ;   in Loop: Header=BB6_7543 Depth=2
	s_and_not1_saveexec_b32 s41, s7
; %bb.10965:                            ;   in Loop: Header=BB6_7543 Depth=2
	v_cmp_lt_i16_e64 s7, -1, v24
	v_cmp_eq_u32_e32 vcc_lo, 0, v102
	s_delay_alu instid0(VALU_DEP_2) | instskip(NEXT) | instid1(VALU_DEP_1)
	v_cndmask_b32_e64 v1, 0xff800000, v75, s7
	v_cndmask_b32_e32 v5, 0x7f800001, v1, vcc_lo
; %bb.10966:                            ;   in Loop: Header=BB6_7543 Depth=2
	s_or_b32 exec_lo, exec_lo, s41
.LBB6_10967:                            ;   in Loop: Header=BB6_7543 Depth=2
	s_delay_alu instid0(SALU_CYCLE_1)
	s_or_b32 exec_lo, exec_lo, s14
.LBB6_10968:                            ;   in Loop: Header=BB6_7543 Depth=2
	s_delay_alu instid0(SALU_CYCLE_1) | instskip(NEXT) | instid1(SALU_CYCLE_1)
	s_or_b32 exec_lo, exec_lo, s10
	s_mov_b32 s7, exec_lo
	v_cmpx_ne_u16_e32 0, v2
	s_cbranch_execz .LBB6_10978
; %bb.10969:                            ;   in Loop: Header=BB6_7543 Depth=2
	v_bfrev_b32_e32 v3, 1
	s_mov_b32 s10, exec_lo
	v_cmpx_ne_u16_e32 0x80, v2
	s_cbranch_execz .LBB6_10977
; %bb.10970:                            ;   in Loop: Header=BB6_7543 Depth=2
	v_and_b32_e32 v1, 0xffff, v2
	s_delay_alu instid0(VALU_DEP_1) | instskip(SKIP_1) | instid1(VALU_DEP_2)
	v_and_b32_e32 v3, 0x7c, v1
	v_and_b32_e32 v4, 3, v1
	v_cmp_ne_u32_e32 vcc_lo, 0x7c, v3
                                        ; implicit-def: $vgpr3
	s_and_saveexec_b32 s14, vcc_lo
	s_delay_alu instid0(SALU_CYCLE_1)
	s_xor_b32 s14, exec_lo, s14
	s_cbranch_execz .LBB6_10974
; %bb.10971:                            ;   in Loop: Header=BB6_7543 Depth=2
	v_bfe_u32 v1, v1, 2, 5
	s_mov_b32 s41, exec_lo
	s_delay_alu instid0(VALU_DEP_1)
	v_cmpx_eq_u32_e32 0, v1
	s_cbranch_execz .LBB6_10973
; %bb.10972:                            ;   in Loop: Header=BB6_7543 Depth=2
	v_clz_i32_u32_e32 v1, v4
	s_delay_alu instid0(VALU_DEP_1) | instskip(SKIP_1) | instid1(VALU_DEP_2)
	v_min_u32_e32 v1, 32, v1
	v_mov_b32_e32 v3, v25
	v_subrev_nc_u32_e32 v4, 29, v1
	v_sub_nc_u32_e32 v1, 30, v1
	s_delay_alu instid0(VALU_DEP_2) | instskip(NEXT) | instid1(VALU_DEP_1)
	v_lshlrev_b64_e32 v[2:3], v4, v[2:3]
	v_and_b32_e32 v4, 3, v2
.LBB6_10973:                            ;   in Loop: Header=BB6_7543 Depth=2
	s_or_b32 exec_lo, exec_lo, s41
	v_lshlrev_b32_e32 v0, 16, v0
	s_delay_alu instid0(VALU_DEP_1) | instskip(NEXT) | instid1(VALU_DEP_1)
	v_and_b32_e32 v0, 0x80000000, v0
	v_lshl_add_u32 v0, v1, 23, v0
	s_delay_alu instid0(VALU_DEP_1) | instskip(NEXT) | instid1(VALU_DEP_1)
	v_lshl_or_b32 v0, v4, 21, v0
                                        ; implicit-def: $vgpr4
	v_add_nc_u32_e32 v3, 0x38000000, v0
                                        ; implicit-def: $vgpr0_vgpr1
.LBB6_10974:                            ;   in Loop: Header=BB6_7543 Depth=2
	s_and_not1_saveexec_b32 s14, s14
; %bb.10975:                            ;   in Loop: Header=BB6_7543 Depth=2
	v_cmp_lt_i16_e32 vcc_lo, -1, v0
	v_cndmask_b32_e32 v0, 0xff800000, v75, vcc_lo
	v_cmp_eq_u32_e32 vcc_lo, 0, v4
	s_delay_alu instid0(VALU_DEP_2)
	v_cndmask_b32_e32 v3, 0x7f800001, v0, vcc_lo
; %bb.10976:                            ;   in Loop: Header=BB6_7543 Depth=2
	s_or_b32 exec_lo, exec_lo, s14
.LBB6_10977:                            ;   in Loop: Header=BB6_7543 Depth=2
	s_delay_alu instid0(SALU_CYCLE_1)
	s_or_b32 exec_lo, exec_lo, s10
.LBB6_10978:                            ;   in Loop: Header=BB6_7543 Depth=2
	s_delay_alu instid0(SALU_CYCLE_1) | instskip(NEXT) | instid1(VALU_DEP_1)
	s_or_b32 exec_lo, exec_lo, s7
	v_dual_max_num_f32 v0, v3, v3 :: v_dual_max_num_f32 v1, v5, v5
	s_delay_alu instid0(VALU_DEP_1)
	v_min_num_f32_e32 v3, v1, v0
.LBB6_10979:                            ;   in Loop: Header=BB6_7543 Depth=2
	s_delay_alu instid0(VALU_DEP_1) | instskip(SKIP_2) | instid1(VALU_DEP_2)
	v_and_b32_e32 v0, 0x7f800000, v3
	v_mov_b32_e32 v1, v25
	v_and_b32_e32 v24, 0x7fffff, v3
                                        ; implicit-def: $vgpr102
	v_cmp_ne_u64_e32 vcc_lo, 0x7f800000, v[0:1]
	v_lshrrev_b32_e32 v0, 24, v3
	s_and_saveexec_b32 s7, vcc_lo
	s_delay_alu instid0(SALU_CYCLE_1)
	s_xor_b32 s10, exec_lo, s7
	s_cbranch_execz .LBB6_10993
; %bb.10980:                            ;   in Loop: Header=BB6_7543 Depth=2
	v_and_b32_e32 v4, 0x7fffffff, v3
	v_mov_b32_e32 v5, v25
                                        ; implicit-def: $vgpr102
	s_delay_alu instid0(VALU_DEP_1) | instskip(SKIP_2) | instid1(SALU_CYCLE_1)
	v_cmp_gt_u64_e32 vcc_lo, 0x47600001, v[4:5]
	v_and_b32_e32 v4, 0x80, v0
	s_and_saveexec_b32 s7, vcc_lo
	s_xor_b32 s14, exec_lo, s7
	s_cbranch_execz .LBB6_10990
; %bb.10981:                            ;   in Loop: Header=BB6_7543 Depth=2
	v_mov_b32_e32 v102, 0
	s_mov_b32 s41, exec_lo
	v_cmpx_ne_u32_e32 0, v3
	s_cbranch_execz .LBB6_10989
; %bb.10982:                            ;   in Loop: Header=BB6_7543 Depth=2
	v_bfe_u32 v5, v3, 23, 8
	v_or_b32_e32 v1, 0x800000, v24
	s_delay_alu instid0(VALU_DEP_2) | instskip(SKIP_2) | instid1(VALU_DEP_2)
	v_cmp_gt_u32_e64 s7, 0x72, v5
	v_sub_nc_u32_e32 v0, 0x71, v5
	v_cmp_eq_u32_e32 vcc_lo, 0, v5
	v_cndmask_b32_e64 v0, 0, v0, s7
	s_delay_alu instid0(VALU_DEP_1) | instskip(NEXT) | instid1(VALU_DEP_1)
	v_cndmask_b32_e64 v102, v0, 0x70, vcc_lo
	v_dual_cndmask_b32 v24, v1, v24, vcc_lo :: v_dual_add_nc_u32 v0, 21, v102
	v_add_nc_u32_e32 v2, 20, v102
	s_delay_alu instid0(VALU_DEP_2) | instskip(NEXT) | instid1(VALU_DEP_2)
	v_lshlrev_b64_e64 v[0:1], v0, -1
	v_lshlrev_b64_e64 v[2:3], v2, 1
	s_delay_alu instid0(VALU_DEP_2) | instskip(NEXT) | instid1(VALU_DEP_3)
	v_bfi_b32 v1, v1, 0, 0
	v_bfi_b32 v0, v0, 0, v24
	s_delay_alu instid0(VALU_DEP_1) | instskip(SKIP_1) | instid1(VALU_DEP_1)
	v_cmp_eq_u64_e64 s7, v[0:1], v[2:3]
	v_lshrrev_b64 v[0:1], v102, v[24:25]
	v_mov_b64_e32 v[2:3], v[0:1]
	s_and_saveexec_b32 s42, s7
; %bb.10983:                            ;   in Loop: Header=BB6_7543 Depth=2
	v_bfe_u32 v24, v0, 21, 1
	s_delay_alu instid0(VALU_DEP_1) | instskip(NEXT) | instid1(VALU_DEP_1)
	v_add_nc_u64_e32 v[2:3], v[0:1], v[24:25]
	v_add_nc_u64_e32 v[2:3], -1, v[2:3]
; %bb.10984:                            ;   in Loop: Header=BB6_7543 Depth=2
	s_or_b32 exec_lo, exec_lo, s42
	v_add_nc_u32_e32 v1, 0xffffff81, v5
	v_lshrrev_b32_e32 v3, 23, v0
	s_mov_b32 s7, exec_lo
	s_delay_alu instid0(VALU_DEP_2) | instskip(NEXT) | instid1(VALU_DEP_1)
	v_cndmask_b32_e64 v1, v1, 0xffffff82, vcc_lo
	v_add3_u32 v5, v102, v1, v3
	v_and_b32_e32 v1, 0x1fffff, v2
                                        ; implicit-def: $vgpr2
	s_delay_alu instid0(VALU_DEP_1) | instskip(NEXT) | instid1(VALU_DEP_1)
	v_dual_add_nc_u32 v3, 14, v5 :: v_dual_add_nc_u32 v24, v1, v0
                                        ; implicit-def: $vgpr0_vgpr1
	v_cmpx_ne_u32_e32 0, v3
	s_xor_b32 s7, exec_lo, s7
; %bb.10985:                            ;   in Loop: Header=BB6_7543 Depth=2
	s_delay_alu instid0(VALU_DEP_2) | instskip(SKIP_1) | instid1(VALU_DEP_1)
	v_cmp_lt_u64_e32 vcc_lo, 0xffffff, v[24:25]
	v_add_nc_u32_e32 v0, 15, v5
	v_cndmask_b32_e32 v2, v3, v0, vcc_lo
	v_cndmask_b32_e64 v0, 0, 1, vcc_lo
	s_delay_alu instid0(VALU_DEP_1)
	v_lshrrev_b64 v[0:1], v0, v[24:25]
; %bb.10986:                            ;   in Loop: Header=BB6_7543 Depth=2
	s_and_not1_saveexec_b32 s7, s7
; %bb.10987:                            ;   in Loop: Header=BB6_7543 Depth=2
	v_mov_b64_e32 v[0:1], v[24:25]
	v_bfe_u32 v2, v24, 23, 1
; %bb.10988:                            ;   in Loop: Header=BB6_7543 Depth=2
	s_or_b32 exec_lo, exec_lo, s7
	s_delay_alu instid0(VALU_DEP_2) | instskip(NEXT) | instid1(VALU_DEP_2)
	v_lshrrev_b64 v[0:1], 21, v[0:1]
	v_cmp_gt_i32_e32 vcc_lo, 32, v2
	v_min_i32_e32 v3, 31, v2
	v_cmp_eq_u32_e64 s7, 0, v2
	s_delay_alu instid0(VALU_DEP_2) | instskip(SKIP_1) | instid1(VALU_DEP_2)
	v_dual_cndmask_b32 v1, 0, v1, vcc_lo :: v_dual_lshlrev_b32 v3, 2, v3
	v_cndmask_b32_e32 v0, 3, v0, vcc_lo
	v_and_b32_e32 v3, 0xfc, v3
	s_delay_alu instid0(VALU_DEP_2) | instskip(NEXT) | instid1(VALU_DEP_2)
	v_cmp_eq_u64_e32 vcc_lo, 0, v[0:1]
	v_and_or_b32 v0, v0, 3, v3
	s_and_b32 s7, s7, vcc_lo
	s_delay_alu instid0(VALU_DEP_1) | instid1(SALU_CYCLE_1)
	v_cndmask_b32_e64 v0, v0, 0, s7
	s_delay_alu instid0(VALU_DEP_1)
	v_or_b32_e32 v102, v0, v4
.LBB6_10989:                            ;   in Loop: Header=BB6_7543 Depth=2
	s_or_b32 exec_lo, exec_lo, s41
                                        ; implicit-def: $vgpr4
.LBB6_10990:                            ;   in Loop: Header=BB6_7543 Depth=2
	s_and_not1_saveexec_b32 s7, s14
; %bb.10991:                            ;   in Loop: Header=BB6_7543 Depth=2
	v_or_b32_e32 v102, 0x7b, v4
; %bb.10992:                            ;   in Loop: Header=BB6_7543 Depth=2
	s_or_b32 exec_lo, exec_lo, s7
                                        ; implicit-def: $vgpr3
                                        ; implicit-def: $vgpr0
.LBB6_10993:                            ;   in Loop: Header=BB6_7543 Depth=2
	s_and_not1_saveexec_b32 s7, s10
	s_cbranch_execz .LBB6_10999
; %bb.10994:                            ;   in Loop: Header=BB6_7543 Depth=2
	s_mov_b32 s10, exec_lo
                                        ; implicit-def: $vgpr102
	v_cmpx_ne_u64_e32 0, v[24:25]
	s_xor_b32 s10, exec_lo, s10
; %bb.10995:                            ;   in Loop: Header=BB6_7543 Depth=2
	v_or_b32_e32 v102, 0x7f, v0
                                        ; implicit-def: $vgpr3
; %bb.10996:                            ;   in Loop: Header=BB6_7543 Depth=2
	s_and_not1_saveexec_b32 s10, s10
; %bb.10997:                            ;   in Loop: Header=BB6_7543 Depth=2
	v_cmp_lt_i32_e32 vcc_lo, -1, v3
	v_cndmask_b32_e32 v102, 0xfc, v41, vcc_lo
; %bb.10998:                            ;   in Loop: Header=BB6_7543 Depth=2
	s_or_b32 exec_lo, exec_lo, s10
.LBB6_10999:                            ;   in Loop: Header=BB6_7543 Depth=2
	s_delay_alu instid0(SALU_CYCLE_1) | instskip(SKIP_4) | instid1(VALU_DEP_2)
	s_or_b32 exec_lo, exec_lo, s7
	v_lshrrev_b32_e32 v2, 16, v15
	v_lshrrev_b32_e32 v0, 16, v11
	s_mov_b32 s10, -1
	s_and_not1_b32 vcc_lo, exec_lo, s13
                                        ; implicit-def: $vgpr3
	v_and_b32_e32 v1, 0xff, v2
	s_delay_alu instid0(VALU_DEP_1)
	v_cmp_ne_u16_e64 s7, 0, v1
	s_cbranch_vccnz .LBB6_11021
; %bb.11000:                            ;   in Loop: Header=BB6_7543 Depth=2
	v_dual_mov_b32 v4, 0 :: v_dual_mov_b32 v3, 0
	s_and_saveexec_b32 s14, s7
	s_cbranch_execz .LBB6_11010
; %bb.11001:                            ;   in Loop: Header=BB6_7543 Depth=2
	v_bfrev_b32_e32 v3, 1
	s_mov_b32 s41, exec_lo
	v_cmpx_ne_u16_e32 0x80, v1
	s_cbranch_execz .LBB6_11009
; %bb.11002:                            ;   in Loop: Header=BB6_7543 Depth=2
	v_and_b32_e32 v3, 0x7c0000, v15
	v_bfe_u32 v5, v15, 16, 2
	s_delay_alu instid0(VALU_DEP_2) | instskip(SKIP_1) | instid1(SALU_CYCLE_1)
	v_cmp_ne_u32_e32 vcc_lo, 0x7c0000, v3
                                        ; implicit-def: $vgpr3
	s_and_saveexec_b32 s10, vcc_lo
	s_xor_b32 s10, exec_lo, s10
	s_cbranch_execz .LBB6_11006
; %bb.11003:                            ;   in Loop: Header=BB6_7543 Depth=2
	v_bfe_u32 v3, v15, 18, 5
	s_mov_b32 s42, exec_lo
	s_delay_alu instid0(VALU_DEP_1)
	v_cmpx_eq_u32_e32 0, v3
; %bb.11004:                            ;   in Loop: Header=BB6_7543 Depth=2
	v_clz_i32_u32_e32 v3, v5
	s_delay_alu instid0(VALU_DEP_1) | instskip(NEXT) | instid1(VALU_DEP_1)
	v_min_u32_e32 v3, 32, v3
	v_subrev_nc_u32_e32 v5, 29, v3
	s_delay_alu instid0(VALU_DEP_1) | instskip(NEXT) | instid1(VALU_DEP_1)
	v_lshlrev_b64_e32 v[112:113], v5, v[2:3]
	v_dual_sub_nc_u32 v3, 30, v3 :: v_dual_bitop2_b32 v5, 3, v112 bitop3:0x40
; %bb.11005:                            ;   in Loop: Header=BB6_7543 Depth=2
	s_or_b32 exec_lo, exec_lo, s42
	v_lshlrev_b32_e32 v24, 24, v2
	s_delay_alu instid0(VALU_DEP_1) | instskip(NEXT) | instid1(VALU_DEP_1)
	v_and_b32_e32 v24, 0x80000000, v24
	v_lshl_add_u32 v3, v3, 23, v24
	s_delay_alu instid0(VALU_DEP_1) | instskip(NEXT) | instid1(VALU_DEP_1)
	v_lshl_or_b32 v3, v5, 21, v3
                                        ; implicit-def: $vgpr5
	v_add_nc_u32_e32 v3, 0x38000000, v3
.LBB6_11006:                            ;   in Loop: Header=BB6_7543 Depth=2
	s_and_not1_saveexec_b32 s42, s10
; %bb.11007:                            ;   in Loop: Header=BB6_7543 Depth=2
	v_bfe_i32 v3, v2, 0, 8
	v_cmp_eq_u32_e32 vcc_lo, 0, v5
	s_delay_alu instid0(VALU_DEP_2) | instskip(NEXT) | instid1(VALU_DEP_1)
	v_cmp_lt_i16_e64 s10, -1, v3
	v_cndmask_b32_e64 v3, 0xff800000, v75, s10
	s_delay_alu instid0(VALU_DEP_1)
	v_cndmask_b32_e32 v3, 0x7f800001, v3, vcc_lo
; %bb.11008:                            ;   in Loop: Header=BB6_7543 Depth=2
	s_or_b32 exec_lo, exec_lo, s42
.LBB6_11009:                            ;   in Loop: Header=BB6_7543 Depth=2
	s_delay_alu instid0(SALU_CYCLE_1)
	s_or_b32 exec_lo, exec_lo, s41
.LBB6_11010:                            ;   in Loop: Header=BB6_7543 Depth=2
	s_delay_alu instid0(SALU_CYCLE_1) | instskip(SKIP_2) | instid1(VALU_DEP_1)
	s_or_b32 exec_lo, exec_lo, s14
	v_and_b32_e32 v5, 0xff, v0
	s_mov_b32 s14, exec_lo
	v_cmpx_ne_u16_e32 0, v5
	s_cbranch_execz .LBB6_11020
; %bb.11011:                            ;   in Loop: Header=BB6_7543 Depth=2
	v_bfrev_b32_e32 v4, 1
	s_mov_b32 s41, exec_lo
	v_cmpx_ne_u16_e32 0x80, v5
	s_cbranch_execz .LBB6_11019
; %bb.11012:                            ;   in Loop: Header=BB6_7543 Depth=2
	v_and_b32_e32 v4, 0x7c0000, v11
	v_bfe_u32 v5, v11, 16, 2
	s_delay_alu instid0(VALU_DEP_2) | instskip(SKIP_1) | instid1(SALU_CYCLE_1)
	v_cmp_ne_u32_e32 vcc_lo, 0x7c0000, v4
                                        ; implicit-def: $vgpr4
	s_and_saveexec_b32 s10, vcc_lo
	s_xor_b32 s10, exec_lo, s10
	s_cbranch_execz .LBB6_11016
; %bb.11013:                            ;   in Loop: Header=BB6_7543 Depth=2
	v_bfe_u32 v4, v11, 18, 5
	s_mov_b32 s42, exec_lo
	s_delay_alu instid0(VALU_DEP_1)
	v_cmpx_eq_u32_e32 0, v4
; %bb.11014:                            ;   in Loop: Header=BB6_7543 Depth=2
	v_clz_i32_u32_e32 v4, v5
	s_delay_alu instid0(VALU_DEP_1) | instskip(NEXT) | instid1(VALU_DEP_1)
	v_min_u32_e32 v4, 32, v4
	v_subrev_nc_u32_e32 v5, 29, v4
	v_sub_nc_u32_e32 v4, 30, v4
	s_delay_alu instid0(VALU_DEP_2) | instskip(NEXT) | instid1(VALU_DEP_1)
	v_lshlrev_b64_e32 v[112:113], v5, v[0:1]
	v_and_b32_e32 v5, 3, v112
; %bb.11015:                            ;   in Loop: Header=BB6_7543 Depth=2
	s_or_b32 exec_lo, exec_lo, s42
	v_lshlrev_b32_e32 v24, 24, v0
	s_delay_alu instid0(VALU_DEP_1) | instskip(NEXT) | instid1(VALU_DEP_1)
	v_and_b32_e32 v24, 0x80000000, v24
	v_lshl_add_u32 v4, v4, 23, v24
	s_delay_alu instid0(VALU_DEP_1) | instskip(NEXT) | instid1(VALU_DEP_1)
	v_lshl_or_b32 v4, v5, 21, v4
                                        ; implicit-def: $vgpr5
	v_add_nc_u32_e32 v4, 0x38000000, v4
.LBB6_11016:                            ;   in Loop: Header=BB6_7543 Depth=2
	s_and_not1_saveexec_b32 s42, s10
; %bb.11017:                            ;   in Loop: Header=BB6_7543 Depth=2
	v_bfe_i32 v4, v0, 0, 8
	v_cmp_eq_u32_e32 vcc_lo, 0, v5
	s_delay_alu instid0(VALU_DEP_2) | instskip(NEXT) | instid1(VALU_DEP_1)
	v_cmp_lt_i16_e64 s10, -1, v4
	v_cndmask_b32_e64 v4, 0xff800000, v75, s10
	s_delay_alu instid0(VALU_DEP_1)
	v_cndmask_b32_e32 v4, 0x7f800001, v4, vcc_lo
; %bb.11018:                            ;   in Loop: Header=BB6_7543 Depth=2
	s_or_b32 exec_lo, exec_lo, s42
.LBB6_11019:                            ;   in Loop: Header=BB6_7543 Depth=2
	s_delay_alu instid0(SALU_CYCLE_1)
	s_or_b32 exec_lo, exec_lo, s41
.LBB6_11020:                            ;   in Loop: Header=BB6_7543 Depth=2
	s_delay_alu instid0(SALU_CYCLE_1) | instskip(NEXT) | instid1(VALU_DEP_1)
	s_or_b32 exec_lo, exec_lo, s14
	v_dual_max_num_f32 v4, v4, v4 :: v_dual_max_num_f32 v3, v3, v3
	s_mov_b32 s10, 0
	s_delay_alu instid0(VALU_DEP_1)
	v_max_num_f32_e32 v3, v3, v4
.LBB6_11021:                            ;   in Loop: Header=BB6_7543 Depth=2
	s_and_b32 vcc_lo, exec_lo, s10
	s_cbranch_vccz .LBB6_11043
; %bb.11022:                            ;   in Loop: Header=BB6_7543 Depth=2
	v_dual_mov_b32 v4, 0 :: v_dual_mov_b32 v3, 0
	s_and_saveexec_b32 s10, s7
	s_cbranch_execz .LBB6_11032
; %bb.11023:                            ;   in Loop: Header=BB6_7543 Depth=2
	v_bfrev_b32_e32 v3, 1
	s_mov_b32 s14, exec_lo
	v_cmpx_ne_u16_e32 0x80, v1
	s_cbranch_execz .LBB6_11031
; %bb.11024:                            ;   in Loop: Header=BB6_7543 Depth=2
	v_and_b32_e32 v3, 0x7c0000, v15
	v_bfe_u32 v1, v15, 16, 2
	s_delay_alu instid0(VALU_DEP_2) | instskip(SKIP_1) | instid1(SALU_CYCLE_1)
	v_cmp_ne_u32_e32 vcc_lo, 0x7c0000, v3
                                        ; implicit-def: $vgpr3
	s_and_saveexec_b32 s7, vcc_lo
	s_xor_b32 s7, exec_lo, s7
	s_cbranch_execz .LBB6_11028
; %bb.11025:                            ;   in Loop: Header=BB6_7543 Depth=2
	v_bfe_u32 v3, v15, 18, 5
	s_mov_b32 s41, exec_lo
	s_delay_alu instid0(VALU_DEP_1)
	v_cmpx_eq_u32_e32 0, v3
; %bb.11026:                            ;   in Loop: Header=BB6_7543 Depth=2
	v_clz_i32_u32_e32 v1, v1
	s_delay_alu instid0(VALU_DEP_1) | instskip(NEXT) | instid1(VALU_DEP_1)
	v_min_u32_e32 v1, 32, v1
	v_subrev_nc_u32_e32 v3, 29, v1
	s_delay_alu instid0(VALU_DEP_1) | instskip(NEXT) | instid1(VALU_DEP_1)
	v_lshlrev_b64_e32 v[112:113], v3, v[2:3]
	v_dual_sub_nc_u32 v3, 30, v1 :: v_dual_bitop2_b32 v1, 3, v112 bitop3:0x40
; %bb.11027:                            ;   in Loop: Header=BB6_7543 Depth=2
	s_or_b32 exec_lo, exec_lo, s41
	v_lshlrev_b32_e32 v2, 24, v2
	s_delay_alu instid0(VALU_DEP_1) | instskip(NEXT) | instid1(VALU_DEP_1)
	v_and_b32_e32 v2, 0x80000000, v2
	v_lshl_add_u32 v2, v3, 23, v2
	s_delay_alu instid0(VALU_DEP_1) | instskip(NEXT) | instid1(VALU_DEP_1)
	v_lshl_or_b32 v1, v1, 21, v2
                                        ; implicit-def: $vgpr2
	v_add_nc_u32_e32 v3, 0x38000000, v1
                                        ; implicit-def: $vgpr1
.LBB6_11028:                            ;   in Loop: Header=BB6_7543 Depth=2
	s_and_not1_saveexec_b32 s41, s7
; %bb.11029:                            ;   in Loop: Header=BB6_7543 Depth=2
	v_bfe_i32 v2, v2, 0, 8
	v_cmp_eq_u32_e32 vcc_lo, 0, v1
	s_delay_alu instid0(VALU_DEP_2) | instskip(NEXT) | instid1(VALU_DEP_1)
	v_cmp_lt_i16_e64 s7, -1, v2
	v_cndmask_b32_e64 v1, 0xff800000, v75, s7
	s_delay_alu instid0(VALU_DEP_1)
	v_cndmask_b32_e32 v3, 0x7f800001, v1, vcc_lo
; %bb.11030:                            ;   in Loop: Header=BB6_7543 Depth=2
	s_or_b32 exec_lo, exec_lo, s41
.LBB6_11031:                            ;   in Loop: Header=BB6_7543 Depth=2
	s_delay_alu instid0(SALU_CYCLE_1)
	s_or_b32 exec_lo, exec_lo, s14
.LBB6_11032:                            ;   in Loop: Header=BB6_7543 Depth=2
	s_delay_alu instid0(SALU_CYCLE_1) | instskip(SKIP_2) | instid1(VALU_DEP_1)
	s_or_b32 exec_lo, exec_lo, s10
	v_and_b32_e32 v1, 0xff, v0
	s_mov_b32 s10, exec_lo
	v_cmpx_ne_u16_e32 0, v1
	s_cbranch_execz .LBB6_11042
; %bb.11033:                            ;   in Loop: Header=BB6_7543 Depth=2
	v_bfrev_b32_e32 v4, 1
	s_mov_b32 s14, exec_lo
	v_cmpx_ne_u16_e32 0x80, v1
	s_cbranch_execz .LBB6_11041
; %bb.11034:                            ;   in Loop: Header=BB6_7543 Depth=2
	v_and_b32_e32 v2, 0x7c0000, v11
	v_bfe_u32 v1, v11, 16, 2
	s_mov_b32 s7, exec_lo
                                        ; implicit-def: $vgpr4
	s_delay_alu instid0(VALU_DEP_2)
	v_cmpx_ne_u32_e32 0x7c0000, v2
	s_xor_b32 s7, exec_lo, s7
	s_cbranch_execz .LBB6_11038
; %bb.11035:                            ;   in Loop: Header=BB6_7543 Depth=2
	v_bfe_u32 v2, v11, 18, 5
	s_mov_b32 s41, exec_lo
	s_delay_alu instid0(VALU_DEP_1)
	v_cmpx_eq_u32_e32 0, v2
; %bb.11036:                            ;   in Loop: Header=BB6_7543 Depth=2
	v_clz_i32_u32_e32 v1, v1
	s_delay_alu instid0(VALU_DEP_1) | instskip(NEXT) | instid1(VALU_DEP_1)
	v_min_u32_e32 v1, 32, v1
	v_subrev_nc_u32_e32 v2, 29, v1
	s_delay_alu instid0(VALU_DEP_1) | instskip(NEXT) | instid1(VALU_DEP_1)
	v_lshlrev_b64_e32 v[4:5], v2, v[0:1]
	v_dual_sub_nc_u32 v2, 30, v1 :: v_dual_bitop2_b32 v1, 3, v4 bitop3:0x40
; %bb.11037:                            ;   in Loop: Header=BB6_7543 Depth=2
	s_or_b32 exec_lo, exec_lo, s41
	v_lshlrev_b32_e32 v0, 24, v0
	s_delay_alu instid0(VALU_DEP_1) | instskip(NEXT) | instid1(VALU_DEP_1)
	v_and_b32_e32 v0, 0x80000000, v0
	v_lshl_add_u32 v0, v2, 23, v0
	s_delay_alu instid0(VALU_DEP_1) | instskip(NEXT) | instid1(VALU_DEP_1)
	v_lshl_or_b32 v0, v1, 21, v0
                                        ; implicit-def: $vgpr1
	v_add_nc_u32_e32 v4, 0x38000000, v0
                                        ; implicit-def: $vgpr0
.LBB6_11038:                            ;   in Loop: Header=BB6_7543 Depth=2
	s_and_not1_saveexec_b32 s41, s7
; %bb.11039:                            ;   in Loop: Header=BB6_7543 Depth=2
	v_bfe_i32 v0, v0, 0, 8
	v_cmp_eq_u32_e32 vcc_lo, 0, v1
	s_delay_alu instid0(VALU_DEP_2) | instskip(NEXT) | instid1(VALU_DEP_1)
	v_cmp_lt_i16_e64 s7, -1, v0
	v_cndmask_b32_e64 v0, 0xff800000, v75, s7
	s_delay_alu instid0(VALU_DEP_1)
	v_cndmask_b32_e32 v4, 0x7f800001, v0, vcc_lo
; %bb.11040:                            ;   in Loop: Header=BB6_7543 Depth=2
	s_or_b32 exec_lo, exec_lo, s41
.LBB6_11041:                            ;   in Loop: Header=BB6_7543 Depth=2
	s_delay_alu instid0(SALU_CYCLE_1)
	s_or_b32 exec_lo, exec_lo, s14
.LBB6_11042:                            ;   in Loop: Header=BB6_7543 Depth=2
	s_delay_alu instid0(SALU_CYCLE_1) | instskip(NEXT) | instid1(VALU_DEP_1)
	s_or_b32 exec_lo, exec_lo, s10
	v_dual_max_num_f32 v0, v4, v4 :: v_dual_max_num_f32 v1, v3, v3
	s_delay_alu instid0(VALU_DEP_1)
	v_min_num_f32_e32 v3, v1, v0
.LBB6_11043:                            ;   in Loop: Header=BB6_7543 Depth=2
	s_delay_alu instid0(VALU_DEP_1) | instskip(SKIP_2) | instid1(VALU_DEP_2)
	v_and_b32_e32 v0, 0x7f800000, v3
	v_mov_b32_e32 v1, v25
	v_and_b32_e32 v24, 0x7fffff, v3
                                        ; implicit-def: $vgpr103
	v_cmp_ne_u64_e32 vcc_lo, 0x7f800000, v[0:1]
	v_lshrrev_b32_e32 v0, 24, v3
	s_and_saveexec_b32 s7, vcc_lo
	s_delay_alu instid0(SALU_CYCLE_1)
	s_xor_b32 s10, exec_lo, s7
	s_cbranch_execz .LBB6_11057
; %bb.11044:                            ;   in Loop: Header=BB6_7543 Depth=2
	v_and_b32_e32 v4, 0x7fffffff, v3
	v_mov_b32_e32 v5, v25
                                        ; implicit-def: $vgpr103
	s_delay_alu instid0(VALU_DEP_1) | instskip(SKIP_2) | instid1(SALU_CYCLE_1)
	v_cmp_gt_u64_e32 vcc_lo, 0x47600001, v[4:5]
	v_and_b32_e32 v4, 0x80, v0
	s_and_saveexec_b32 s7, vcc_lo
	s_xor_b32 s14, exec_lo, s7
	s_cbranch_execz .LBB6_11054
; %bb.11045:                            ;   in Loop: Header=BB6_7543 Depth=2
	v_mov_b32_e32 v103, 0
	s_mov_b32 s41, exec_lo
	v_cmpx_ne_u32_e32 0, v3
	s_cbranch_execz .LBB6_11053
; %bb.11046:                            ;   in Loop: Header=BB6_7543 Depth=2
	v_bfe_u32 v5, v3, 23, 8
	v_or_b32_e32 v1, 0x800000, v24
	s_delay_alu instid0(VALU_DEP_2) | instskip(SKIP_2) | instid1(VALU_DEP_2)
	v_cmp_gt_u32_e64 s7, 0x72, v5
	v_sub_nc_u32_e32 v0, 0x71, v5
	v_cmp_eq_u32_e32 vcc_lo, 0, v5
	v_cndmask_b32_e64 v0, 0, v0, s7
	s_delay_alu instid0(VALU_DEP_1) | instskip(NEXT) | instid1(VALU_DEP_1)
	v_cndmask_b32_e64 v103, v0, 0x70, vcc_lo
	v_dual_cndmask_b32 v24, v1, v24, vcc_lo :: v_dual_add_nc_u32 v0, 21, v103
	v_add_nc_u32_e32 v2, 20, v103
	s_delay_alu instid0(VALU_DEP_2) | instskip(NEXT) | instid1(VALU_DEP_2)
	v_lshlrev_b64_e64 v[0:1], v0, -1
	v_lshlrev_b64_e64 v[2:3], v2, 1
	s_delay_alu instid0(VALU_DEP_2) | instskip(NEXT) | instid1(VALU_DEP_3)
	v_bfi_b32 v1, v1, 0, 0
	v_bfi_b32 v0, v0, 0, v24
	s_delay_alu instid0(VALU_DEP_1) | instskip(SKIP_1) | instid1(VALU_DEP_1)
	v_cmp_eq_u64_e64 s7, v[0:1], v[2:3]
	v_lshrrev_b64 v[0:1], v103, v[24:25]
	v_mov_b64_e32 v[2:3], v[0:1]
	s_and_saveexec_b32 s42, s7
; %bb.11047:                            ;   in Loop: Header=BB6_7543 Depth=2
	v_bfe_u32 v24, v0, 21, 1
	s_delay_alu instid0(VALU_DEP_1) | instskip(NEXT) | instid1(VALU_DEP_1)
	v_add_nc_u64_e32 v[2:3], v[0:1], v[24:25]
	v_add_nc_u64_e32 v[2:3], -1, v[2:3]
; %bb.11048:                            ;   in Loop: Header=BB6_7543 Depth=2
	s_or_b32 exec_lo, exec_lo, s42
	v_add_nc_u32_e32 v1, 0xffffff81, v5
	v_lshrrev_b32_e32 v3, 23, v0
	s_mov_b32 s7, exec_lo
	s_delay_alu instid0(VALU_DEP_2) | instskip(NEXT) | instid1(VALU_DEP_1)
	v_cndmask_b32_e64 v1, v1, 0xffffff82, vcc_lo
	v_add3_u32 v5, v103, v1, v3
	v_and_b32_e32 v1, 0x1fffff, v2
                                        ; implicit-def: $vgpr2
	s_delay_alu instid0(VALU_DEP_1) | instskip(NEXT) | instid1(VALU_DEP_1)
	v_dual_add_nc_u32 v3, 14, v5 :: v_dual_add_nc_u32 v24, v1, v0
                                        ; implicit-def: $vgpr0_vgpr1
	v_cmpx_ne_u32_e32 0, v3
	s_xor_b32 s7, exec_lo, s7
; %bb.11049:                            ;   in Loop: Header=BB6_7543 Depth=2
	s_delay_alu instid0(VALU_DEP_2) | instskip(SKIP_1) | instid1(VALU_DEP_1)
	v_cmp_lt_u64_e32 vcc_lo, 0xffffff, v[24:25]
	v_add_nc_u32_e32 v0, 15, v5
	v_cndmask_b32_e32 v2, v3, v0, vcc_lo
	v_cndmask_b32_e64 v0, 0, 1, vcc_lo
	s_delay_alu instid0(VALU_DEP_1)
	v_lshrrev_b64 v[0:1], v0, v[24:25]
; %bb.11050:                            ;   in Loop: Header=BB6_7543 Depth=2
	s_and_not1_saveexec_b32 s7, s7
; %bb.11051:                            ;   in Loop: Header=BB6_7543 Depth=2
	v_mov_b64_e32 v[0:1], v[24:25]
	v_bfe_u32 v2, v24, 23, 1
; %bb.11052:                            ;   in Loop: Header=BB6_7543 Depth=2
	s_or_b32 exec_lo, exec_lo, s7
	s_delay_alu instid0(VALU_DEP_2) | instskip(NEXT) | instid1(VALU_DEP_2)
	v_lshrrev_b64 v[0:1], 21, v[0:1]
	v_cmp_gt_i32_e32 vcc_lo, 32, v2
	v_min_i32_e32 v3, 31, v2
	v_cmp_eq_u32_e64 s7, 0, v2
	s_delay_alu instid0(VALU_DEP_2) | instskip(SKIP_1) | instid1(VALU_DEP_2)
	v_dual_cndmask_b32 v1, 0, v1, vcc_lo :: v_dual_lshlrev_b32 v3, 2, v3
	v_cndmask_b32_e32 v0, 3, v0, vcc_lo
	v_and_b32_e32 v3, 0xfc, v3
	s_delay_alu instid0(VALU_DEP_2) | instskip(NEXT) | instid1(VALU_DEP_2)
	v_cmp_eq_u64_e32 vcc_lo, 0, v[0:1]
	v_and_or_b32 v0, v0, 3, v3
	s_and_b32 s7, s7, vcc_lo
	s_delay_alu instid0(VALU_DEP_1) | instid1(SALU_CYCLE_1)
	v_cndmask_b32_e64 v0, v0, 0, s7
	s_delay_alu instid0(VALU_DEP_1)
	v_or_b32_e32 v103, v0, v4
.LBB6_11053:                            ;   in Loop: Header=BB6_7543 Depth=2
	s_or_b32 exec_lo, exec_lo, s41
                                        ; implicit-def: $vgpr4
.LBB6_11054:                            ;   in Loop: Header=BB6_7543 Depth=2
	s_and_not1_saveexec_b32 s7, s14
; %bb.11055:                            ;   in Loop: Header=BB6_7543 Depth=2
	v_or_b32_e32 v103, 0x7b, v4
; %bb.11056:                            ;   in Loop: Header=BB6_7543 Depth=2
	s_or_b32 exec_lo, exec_lo, s7
                                        ; implicit-def: $vgpr3
                                        ; implicit-def: $vgpr0
.LBB6_11057:                            ;   in Loop: Header=BB6_7543 Depth=2
	s_and_not1_saveexec_b32 s7, s10
	s_cbranch_execz .LBB6_11063
; %bb.11058:                            ;   in Loop: Header=BB6_7543 Depth=2
	s_mov_b32 s10, exec_lo
                                        ; implicit-def: $vgpr103
	v_cmpx_ne_u64_e32 0, v[24:25]
	s_xor_b32 s10, exec_lo, s10
; %bb.11059:                            ;   in Loop: Header=BB6_7543 Depth=2
	v_or_b32_e32 v103, 0x7f, v0
                                        ; implicit-def: $vgpr3
; %bb.11060:                            ;   in Loop: Header=BB6_7543 Depth=2
	s_and_not1_saveexec_b32 s10, s10
; %bb.11061:                            ;   in Loop: Header=BB6_7543 Depth=2
	v_cmp_lt_i32_e32 vcc_lo, -1, v3
	v_cndmask_b32_e32 v103, 0xfc, v41, vcc_lo
; %bb.11062:                            ;   in Loop: Header=BB6_7543 Depth=2
	s_or_b32 exec_lo, exec_lo, s10
.LBB6_11063:                            ;   in Loop: Header=BB6_7543 Depth=2
	s_delay_alu instid0(SALU_CYCLE_1)
	s_or_b32 exec_lo, exec_lo, s7
	v_cmp_lt_u64_e64 s7, s[16:17], v[14:15]
	v_lshrrev_b32_e32 v2, 24, v15
	v_lshrrev_b32_e32 v0, 24, v11
	s_mov_b32 s10, -1
	s_and_not1_b32 vcc_lo, exec_lo, s13
                                        ; implicit-def: $vgpr1
	s_cbranch_vccnz .LBB6_11085
; %bb.11064:                            ;   in Loop: Header=BB6_7543 Depth=2
	v_dual_mov_b32 v3, 0 :: v_dual_mov_b32 v1, 0
	s_and_saveexec_b32 s14, s7
	s_cbranch_execz .LBB6_11074
; %bb.11065:                            ;   in Loop: Header=BB6_7543 Depth=2
	v_bfrev_b32_e32 v1, 1
	s_mov_b32 s41, exec_lo
	v_cmpx_ne_u32_e32 0x80, v2
	s_cbranch_execz .LBB6_11073
; %bb.11066:                            ;   in Loop: Header=BB6_7543 Depth=2
	v_and_b32_e32 v1, 0x7c000000, v15
	v_bfe_u32 v4, v15, 24, 2
	s_delay_alu instid0(VALU_DEP_2) | instskip(SKIP_1) | instid1(SALU_CYCLE_1)
	v_cmp_ne_u32_e32 vcc_lo, 0x7c000000, v1
                                        ; implicit-def: $vgpr1
	s_and_saveexec_b32 s10, vcc_lo
	s_xor_b32 s10, exec_lo, s10
	s_cbranch_execz .LBB6_11070
; %bb.11067:                            ;   in Loop: Header=BB6_7543 Depth=2
	v_bfe_u32 v1, v15, 26, 5
	s_mov_b32 s42, exec_lo
	s_delay_alu instid0(VALU_DEP_1)
	v_cmpx_eq_u32_e32 0, v1
; %bb.11068:                            ;   in Loop: Header=BB6_7543 Depth=2
	v_clz_i32_u32_e32 v1, v4
	s_delay_alu instid0(VALU_DEP_1) | instskip(NEXT) | instid1(VALU_DEP_1)
	v_min_u32_e32 v1, 32, v1
	v_subrev_nc_u32_e32 v4, 29, v1
	s_delay_alu instid0(VALU_DEP_1) | instskip(NEXT) | instid1(VALU_DEP_1)
	v_lshlrev_b64_e32 v[4:5], v4, v[2:3]
	v_dual_sub_nc_u32 v1, 30, v1 :: v_dual_bitop2_b32 v4, 3, v4 bitop3:0x40
; %bb.11069:                            ;   in Loop: Header=BB6_7543 Depth=2
	s_or_b32 exec_lo, exec_lo, s42
	v_and_b32_e32 v5, 0x80000000, v15
	s_delay_alu instid0(VALU_DEP_1) | instskip(NEXT) | instid1(VALU_DEP_1)
	v_lshl_add_u32 v1, v1, 23, v5
	v_lshl_or_b32 v1, v4, 21, v1
                                        ; implicit-def: $vgpr4
	s_delay_alu instid0(VALU_DEP_1)
	v_add_nc_u32_e32 v1, 0x38000000, v1
.LBB6_11070:                            ;   in Loop: Header=BB6_7543 Depth=2
	s_and_not1_saveexec_b32 s42, s10
; %bb.11071:                            ;   in Loop: Header=BB6_7543 Depth=2
	v_cmp_lt_i64_e64 s10, -1, v[14:15]
	v_cmp_eq_u32_e32 vcc_lo, 0, v4
	s_delay_alu instid0(VALU_DEP_2) | instskip(NEXT) | instid1(VALU_DEP_1)
	v_cndmask_b32_e64 v1, 0xff800000, v75, s10
	v_cndmask_b32_e32 v1, 0x7f800001, v1, vcc_lo
; %bb.11072:                            ;   in Loop: Header=BB6_7543 Depth=2
	s_or_b32 exec_lo, exec_lo, s42
.LBB6_11073:                            ;   in Loop: Header=BB6_7543 Depth=2
	s_delay_alu instid0(SALU_CYCLE_1)
	s_or_b32 exec_lo, exec_lo, s41
.LBB6_11074:                            ;   in Loop: Header=BB6_7543 Depth=2
	s_delay_alu instid0(SALU_CYCLE_1) | instskip(NEXT) | instid1(SALU_CYCLE_1)
	s_or_b32 exec_lo, exec_lo, s14
	s_mov_b32 s14, exec_lo
	v_cmpx_lt_u64_e64 s[16:17], v[10:11]
	s_cbranch_execz .LBB6_11084
; %bb.11075:                            ;   in Loop: Header=BB6_7543 Depth=2
	v_bfrev_b32_e32 v3, 1
	s_mov_b32 s41, exec_lo
	v_cmpx_ne_u32_e32 0x80, v0
	s_cbranch_execz .LBB6_11083
; %bb.11076:                            ;   in Loop: Header=BB6_7543 Depth=2
	v_and_b32_e32 v3, 0x7c000000, v11
	v_bfe_u32 v4, v11, 24, 2
	s_delay_alu instid0(VALU_DEP_2) | instskip(SKIP_1) | instid1(SALU_CYCLE_1)
	v_cmp_ne_u32_e32 vcc_lo, 0x7c000000, v3
                                        ; implicit-def: $vgpr3
	s_and_saveexec_b32 s10, vcc_lo
	s_xor_b32 s10, exec_lo, s10
	s_cbranch_execz .LBB6_11080
; %bb.11077:                            ;   in Loop: Header=BB6_7543 Depth=2
	v_bfe_u32 v3, v11, 26, 5
	s_mov_b32 s42, exec_lo
	s_delay_alu instid0(VALU_DEP_1)
	v_cmpx_eq_u32_e32 0, v3
; %bb.11078:                            ;   in Loop: Header=BB6_7543 Depth=2
	v_clz_i32_u32_e32 v3, v4
	s_delay_alu instid0(VALU_DEP_1) | instskip(NEXT) | instid1(VALU_DEP_1)
	v_min_u32_e32 v3, 32, v3
	v_subrev_nc_u32_e32 v4, 29, v3
	s_delay_alu instid0(VALU_DEP_1) | instskip(NEXT) | instid1(VALU_DEP_1)
	v_lshlrev_b64_e32 v[4:5], v4, v[0:1]
	v_dual_sub_nc_u32 v3, 30, v3 :: v_dual_bitop2_b32 v4, 3, v4 bitop3:0x40
; %bb.11079:                            ;   in Loop: Header=BB6_7543 Depth=2
	s_or_b32 exec_lo, exec_lo, s42
	v_and_b32_e32 v5, 0x80000000, v11
	s_delay_alu instid0(VALU_DEP_1) | instskip(NEXT) | instid1(VALU_DEP_1)
	v_lshl_add_u32 v3, v3, 23, v5
	v_lshl_or_b32 v3, v4, 21, v3
                                        ; implicit-def: $vgpr4
	s_delay_alu instid0(VALU_DEP_1)
	v_add_nc_u32_e32 v3, 0x38000000, v3
.LBB6_11080:                            ;   in Loop: Header=BB6_7543 Depth=2
	s_and_not1_saveexec_b32 s42, s10
; %bb.11081:                            ;   in Loop: Header=BB6_7543 Depth=2
	v_cmp_lt_i64_e64 s10, -1, v[10:11]
	v_cmp_eq_u32_e32 vcc_lo, 0, v4
	s_delay_alu instid0(VALU_DEP_2) | instskip(NEXT) | instid1(VALU_DEP_1)
	v_cndmask_b32_e64 v3, 0xff800000, v75, s10
	v_cndmask_b32_e32 v3, 0x7f800001, v3, vcc_lo
; %bb.11082:                            ;   in Loop: Header=BB6_7543 Depth=2
	s_or_b32 exec_lo, exec_lo, s42
.LBB6_11083:                            ;   in Loop: Header=BB6_7543 Depth=2
	s_delay_alu instid0(SALU_CYCLE_1)
	s_or_b32 exec_lo, exec_lo, s41
.LBB6_11084:                            ;   in Loop: Header=BB6_7543 Depth=2
	s_delay_alu instid0(SALU_CYCLE_1) | instskip(NEXT) | instid1(VALU_DEP_1)
	s_or_b32 exec_lo, exec_lo, s14
	v_dual_max_num_f32 v3, v3, v3 :: v_dual_max_num_f32 v1, v1, v1
	s_mov_b32 s10, 0
	s_delay_alu instid0(VALU_DEP_1)
	v_max_num_f32_e32 v1, v1, v3
.LBB6_11085:                            ;   in Loop: Header=BB6_7543 Depth=2
	s_and_b32 vcc_lo, exec_lo, s10
	s_cbranch_vccz .LBB6_11107
; %bb.11086:                            ;   in Loop: Header=BB6_7543 Depth=2
	v_dual_mov_b32 v1, 0 :: v_dual_mov_b32 v3, 0
	s_and_saveexec_b32 s10, s7
	s_cbranch_execz .LBB6_11096
; %bb.11087:                            ;   in Loop: Header=BB6_7543 Depth=2
	v_bfrev_b32_e32 v3, 1
	s_mov_b32 s14, exec_lo
	v_cmpx_ne_u32_e32 0x80, v2
	s_cbranch_execz .LBB6_11095
; %bb.11088:                            ;   in Loop: Header=BB6_7543 Depth=2
	v_and_b32_e32 v3, 0x7c000000, v15
	v_bfe_u32 v4, v15, 24, 2
	s_delay_alu instid0(VALU_DEP_2) | instskip(SKIP_1) | instid1(SALU_CYCLE_1)
	v_cmp_ne_u32_e32 vcc_lo, 0x7c000000, v3
                                        ; implicit-def: $vgpr3
	s_and_saveexec_b32 s7, vcc_lo
	s_xor_b32 s7, exec_lo, s7
	s_cbranch_execz .LBB6_11092
; %bb.11089:                            ;   in Loop: Header=BB6_7543 Depth=2
	v_bfe_u32 v3, v15, 26, 5
	s_mov_b32 s41, exec_lo
	s_delay_alu instid0(VALU_DEP_1)
	v_cmpx_eq_u32_e32 0, v3
; %bb.11090:                            ;   in Loop: Header=BB6_7543 Depth=2
	v_clz_i32_u32_e32 v3, v4
	s_delay_alu instid0(VALU_DEP_1) | instskip(NEXT) | instid1(VALU_DEP_1)
	v_min_u32_e32 v4, 32, v3
	v_subrev_nc_u32_e32 v3, 29, v4
	s_delay_alu instid0(VALU_DEP_1) | instskip(NEXT) | instid1(VALU_DEP_1)
	v_lshlrev_b64_e32 v[2:3], v3, v[2:3]
	v_dual_sub_nc_u32 v3, 30, v4 :: v_dual_bitop2_b32 v4, 3, v2 bitop3:0x40
; %bb.11091:                            ;   in Loop: Header=BB6_7543 Depth=2
	s_or_b32 exec_lo, exec_lo, s41
	v_and_b32_e32 v2, 0x80000000, v15
	s_delay_alu instid0(VALU_DEP_1) | instskip(NEXT) | instid1(VALU_DEP_1)
	v_lshl_add_u32 v2, v3, 23, v2
	v_lshl_or_b32 v2, v4, 21, v2
                                        ; implicit-def: $vgpr4
	s_delay_alu instid0(VALU_DEP_1)
	v_add_nc_u32_e32 v3, 0x38000000, v2
.LBB6_11092:                            ;   in Loop: Header=BB6_7543 Depth=2
	s_and_not1_saveexec_b32 s41, s7
; %bb.11093:                            ;   in Loop: Header=BB6_7543 Depth=2
	v_cmp_lt_i64_e64 s7, -1, v[14:15]
	v_cmp_eq_u32_e32 vcc_lo, 0, v4
	s_delay_alu instid0(VALU_DEP_2) | instskip(NEXT) | instid1(VALU_DEP_1)
	v_cndmask_b32_e64 v2, 0xff800000, v75, s7
	v_cndmask_b32_e32 v3, 0x7f800001, v2, vcc_lo
; %bb.11094:                            ;   in Loop: Header=BB6_7543 Depth=2
	s_or_b32 exec_lo, exec_lo, s41
.LBB6_11095:                            ;   in Loop: Header=BB6_7543 Depth=2
	s_delay_alu instid0(SALU_CYCLE_1)
	s_or_b32 exec_lo, exec_lo, s14
.LBB6_11096:                            ;   in Loop: Header=BB6_7543 Depth=2
	s_delay_alu instid0(SALU_CYCLE_1) | instskip(NEXT) | instid1(SALU_CYCLE_1)
	s_or_b32 exec_lo, exec_lo, s10
	s_mov_b32 s7, exec_lo
	v_cmpx_lt_u64_e64 s[16:17], v[10:11]
	s_cbranch_execz .LBB6_11106
; %bb.11097:                            ;   in Loop: Header=BB6_7543 Depth=2
	v_bfrev_b32_e32 v1, 1
	s_mov_b32 s10, exec_lo
	v_cmpx_ne_u32_e32 0x80, v0
	s_cbranch_execz .LBB6_11105
; %bb.11098:                            ;   in Loop: Header=BB6_7543 Depth=2
	v_and_b32_e32 v1, 0x7c000000, v11
	v_bfe_u32 v2, v11, 24, 2
	s_delay_alu instid0(VALU_DEP_2) | instskip(SKIP_1) | instid1(SALU_CYCLE_1)
	v_cmp_ne_u32_e32 vcc_lo, 0x7c000000, v1
                                        ; implicit-def: $vgpr1
	s_and_saveexec_b32 s14, vcc_lo
	s_xor_b32 s14, exec_lo, s14
	s_cbranch_execz .LBB6_11102
; %bb.11099:                            ;   in Loop: Header=BB6_7543 Depth=2
	v_bfe_u32 v1, v11, 26, 5
	s_mov_b32 s41, exec_lo
	s_delay_alu instid0(VALU_DEP_1)
	v_cmpx_eq_u32_e32 0, v1
; %bb.11100:                            ;   in Loop: Header=BB6_7543 Depth=2
	v_clz_i32_u32_e32 v1, v2
	s_delay_alu instid0(VALU_DEP_1) | instskip(NEXT) | instid1(VALU_DEP_1)
	v_min_u32_e32 v2, 32, v1
	v_subrev_nc_u32_e32 v1, 29, v2
	s_delay_alu instid0(VALU_DEP_1) | instskip(NEXT) | instid1(VALU_DEP_1)
	v_lshlrev_b64_e32 v[0:1], v1, v[0:1]
	v_dual_sub_nc_u32 v1, 30, v2 :: v_dual_bitop2_b32 v2, 3, v0 bitop3:0x40
; %bb.11101:                            ;   in Loop: Header=BB6_7543 Depth=2
	s_or_b32 exec_lo, exec_lo, s41
	v_and_b32_e32 v0, 0x80000000, v11
	s_delay_alu instid0(VALU_DEP_1) | instskip(NEXT) | instid1(VALU_DEP_1)
	v_lshl_add_u32 v0, v1, 23, v0
	v_lshl_or_b32 v0, v2, 21, v0
                                        ; implicit-def: $vgpr2
	s_delay_alu instid0(VALU_DEP_1)
	v_add_nc_u32_e32 v1, 0x38000000, v0
.LBB6_11102:                            ;   in Loop: Header=BB6_7543 Depth=2
	s_and_not1_saveexec_b32 s14, s14
; %bb.11103:                            ;   in Loop: Header=BB6_7543 Depth=2
	v_cmp_lt_i64_e32 vcc_lo, -1, v[10:11]
	v_cndmask_b32_e32 v0, 0xff800000, v75, vcc_lo
	v_cmp_eq_u32_e32 vcc_lo, 0, v2
	s_delay_alu instid0(VALU_DEP_2)
	v_cndmask_b32_e32 v1, 0x7f800001, v0, vcc_lo
; %bb.11104:                            ;   in Loop: Header=BB6_7543 Depth=2
	s_or_b32 exec_lo, exec_lo, s14
.LBB6_11105:                            ;   in Loop: Header=BB6_7543 Depth=2
	s_delay_alu instid0(SALU_CYCLE_1)
	s_or_b32 exec_lo, exec_lo, s10
.LBB6_11106:                            ;   in Loop: Header=BB6_7543 Depth=2
	s_delay_alu instid0(SALU_CYCLE_1) | instskip(NEXT) | instid1(VALU_DEP_1)
	s_or_b32 exec_lo, exec_lo, s7
	v_dual_max_num_f32 v0, v1, v1 :: v_dual_max_num_f32 v1, v3, v3
	s_delay_alu instid0(VALU_DEP_1)
	v_min_num_f32_e32 v1, v1, v0
.LBB6_11107:                            ;   in Loop: Header=BB6_7543 Depth=2
	s_delay_alu instid0(VALU_DEP_1) | instskip(SKIP_3) | instid1(VALU_DEP_2)
	v_and_b32_e32 v2, 0x7f800000, v1
	v_dual_mov_b32 v3, v25 :: v_dual_lshrrev_b32 v0, 24, v1
	v_and_b32_e32 v24, 0x7fffff, v1
                                        ; implicit-def: $vgpr10
	s_mov_b32 s7, exec_lo
	v_cmpx_ne_u64_e32 0x7f800000, v[2:3]
	s_xor_b32 s10, exec_lo, s7
	s_cbranch_execz .LBB6_11121
; %bb.11108:                            ;   in Loop: Header=BB6_7543 Depth=2
	v_and_b32_e32 v2, 0x7fffffff, v1
	v_mov_b32_e32 v3, v25
	v_and_b32_e32 v4, 0x80, v0
                                        ; implicit-def: $vgpr10
	s_mov_b32 s7, exec_lo
	s_delay_alu instid0(VALU_DEP_2)
	v_cmpx_gt_u64_e32 0x47600001, v[2:3]
	s_xor_b32 s14, exec_lo, s7
	s_cbranch_execz .LBB6_11118
; %bb.11109:                            ;   in Loop: Header=BB6_7543 Depth=2
	v_mov_b32_e32 v10, 0
	s_mov_b32 s41, exec_lo
	v_cmpx_ne_u32_e32 0, v1
	s_cbranch_execz .LBB6_11117
; %bb.11110:                            ;   in Loop: Header=BB6_7543 Depth=2
	v_bfe_u32 v5, v1, 23, 8
	v_or_b32_e32 v1, 0x800000, v24
	s_delay_alu instid0(VALU_DEP_2) | instskip(SKIP_2) | instid1(VALU_DEP_2)
	v_cmp_gt_u32_e64 s7, 0x72, v5
	v_sub_nc_u32_e32 v0, 0x71, v5
	v_cmp_eq_u32_e32 vcc_lo, 0, v5
	v_cndmask_b32_e64 v0, 0, v0, s7
	s_delay_alu instid0(VALU_DEP_1) | instskip(NEXT) | instid1(VALU_DEP_1)
	v_cndmask_b32_e64 v10, v0, 0x70, vcc_lo
	v_dual_cndmask_b32 v24, v1, v24, vcc_lo :: v_dual_add_nc_u32 v0, 21, v10
	v_add_nc_u32_e32 v2, 20, v10
	s_delay_alu instid0(VALU_DEP_2) | instskip(NEXT) | instid1(VALU_DEP_2)
	v_lshlrev_b64_e64 v[0:1], v0, -1
	v_lshlrev_b64_e64 v[2:3], v2, 1
	s_delay_alu instid0(VALU_DEP_2) | instskip(NEXT) | instid1(VALU_DEP_3)
	v_bfi_b32 v1, v1, 0, 0
	v_bfi_b32 v0, v0, 0, v24
	s_delay_alu instid0(VALU_DEP_1) | instskip(SKIP_1) | instid1(VALU_DEP_1)
	v_cmp_eq_u64_e64 s7, v[0:1], v[2:3]
	v_lshrrev_b64 v[0:1], v10, v[24:25]
	v_mov_b64_e32 v[2:3], v[0:1]
	s_and_saveexec_b32 s42, s7
; %bb.11111:                            ;   in Loop: Header=BB6_7543 Depth=2
	v_bfe_u32 v24, v0, 21, 1
	s_delay_alu instid0(VALU_DEP_1) | instskip(NEXT) | instid1(VALU_DEP_1)
	v_add_nc_u64_e32 v[2:3], v[0:1], v[24:25]
	v_add_nc_u64_e32 v[2:3], -1, v[2:3]
; %bb.11112:                            ;   in Loop: Header=BB6_7543 Depth=2
	s_or_b32 exec_lo, exec_lo, s42
	v_add_nc_u32_e32 v1, 0xffffff81, v5
	v_lshrrev_b32_e32 v3, 23, v0
	s_mov_b32 s7, exec_lo
	s_delay_alu instid0(VALU_DEP_2) | instskip(NEXT) | instid1(VALU_DEP_1)
	v_cndmask_b32_e64 v1, v1, 0xffffff82, vcc_lo
	v_add3_u32 v5, v10, v1, v3
	v_and_b32_e32 v1, 0x1fffff, v2
                                        ; implicit-def: $vgpr2
	s_delay_alu instid0(VALU_DEP_1) | instskip(NEXT) | instid1(VALU_DEP_1)
	v_dual_add_nc_u32 v3, 14, v5 :: v_dual_add_nc_u32 v24, v1, v0
                                        ; implicit-def: $vgpr0_vgpr1
	v_cmpx_ne_u32_e32 0, v3
	s_xor_b32 s7, exec_lo, s7
; %bb.11113:                            ;   in Loop: Header=BB6_7543 Depth=2
	s_delay_alu instid0(VALU_DEP_2) | instskip(SKIP_1) | instid1(VALU_DEP_1)
	v_cmp_lt_u64_e32 vcc_lo, 0xffffff, v[24:25]
	v_add_nc_u32_e32 v0, 15, v5
	v_cndmask_b32_e32 v2, v3, v0, vcc_lo
	v_cndmask_b32_e64 v0, 0, 1, vcc_lo
	s_delay_alu instid0(VALU_DEP_1)
	v_lshrrev_b64 v[0:1], v0, v[24:25]
; %bb.11114:                            ;   in Loop: Header=BB6_7543 Depth=2
	s_and_not1_saveexec_b32 s7, s7
; %bb.11115:                            ;   in Loop: Header=BB6_7543 Depth=2
	v_mov_b64_e32 v[0:1], v[24:25]
	v_bfe_u32 v2, v24, 23, 1
; %bb.11116:                            ;   in Loop: Header=BB6_7543 Depth=2
	s_or_b32 exec_lo, exec_lo, s7
	s_delay_alu instid0(VALU_DEP_2) | instskip(NEXT) | instid1(VALU_DEP_2)
	v_lshrrev_b64 v[0:1], 21, v[0:1]
	v_cmp_gt_i32_e32 vcc_lo, 32, v2
	v_min_i32_e32 v3, 31, v2
	v_cmp_eq_u32_e64 s7, 0, v2
	s_delay_alu instid0(VALU_DEP_2) | instskip(SKIP_1) | instid1(VALU_DEP_2)
	v_dual_cndmask_b32 v1, 0, v1, vcc_lo :: v_dual_lshlrev_b32 v3, 2, v3
	v_cndmask_b32_e32 v0, 3, v0, vcc_lo
	v_and_b32_e32 v3, 0xfc, v3
	s_delay_alu instid0(VALU_DEP_2) | instskip(NEXT) | instid1(VALU_DEP_2)
	v_cmp_eq_u64_e32 vcc_lo, 0, v[0:1]
	v_and_or_b32 v0, v0, 3, v3
	s_and_b32 s7, s7, vcc_lo
	s_delay_alu instid0(VALU_DEP_1) | instid1(SALU_CYCLE_1)
	v_cndmask_b32_e64 v0, v0, 0, s7
	s_delay_alu instid0(VALU_DEP_1)
	v_or_b32_e32 v10, v0, v4
.LBB6_11117:                            ;   in Loop: Header=BB6_7543 Depth=2
	s_or_b32 exec_lo, exec_lo, s41
                                        ; implicit-def: $vgpr4
.LBB6_11118:                            ;   in Loop: Header=BB6_7543 Depth=2
	s_and_not1_saveexec_b32 s7, s14
; %bb.11119:                            ;   in Loop: Header=BB6_7543 Depth=2
	v_or_b32_e32 v10, 0x7b, v4
; %bb.11120:                            ;   in Loop: Header=BB6_7543 Depth=2
	s_or_b32 exec_lo, exec_lo, s7
                                        ; implicit-def: $vgpr1
                                        ; implicit-def: $vgpr0
.LBB6_11121:                            ;   in Loop: Header=BB6_7543 Depth=2
	s_and_not1_saveexec_b32 s7, s10
	s_cbranch_execz .LBB6_11127
; %bb.11122:                            ;   in Loop: Header=BB6_7543 Depth=2
	s_mov_b32 s10, exec_lo
                                        ; implicit-def: $vgpr10
	v_cmpx_ne_u64_e32 0, v[24:25]
	s_xor_b32 s10, exec_lo, s10
; %bb.11123:                            ;   in Loop: Header=BB6_7543 Depth=2
	v_or_b32_e32 v10, 0x7f, v0
                                        ; implicit-def: $vgpr1
; %bb.11124:                            ;   in Loop: Header=BB6_7543 Depth=2
	s_and_not1_saveexec_b32 s10, s10
; %bb.11125:                            ;   in Loop: Header=BB6_7543 Depth=2
	v_cmp_lt_i32_e32 vcc_lo, -1, v1
	v_cndmask_b32_e32 v10, 0xfc, v41, vcc_lo
; %bb.11126:                            ;   in Loop: Header=BB6_7543 Depth=2
	s_or_b32 exec_lo, exec_lo, s10
.LBB6_11127:                            ;   in Loop: Header=BB6_7543 Depth=2
	s_delay_alu instid0(SALU_CYCLE_1)
	s_or_b32 exec_lo, exec_lo, s7
	v_and_b32_e32 v2, 0xff, v16
	v_bfe_i32 v1, v16, 0, 8
	v_bfe_i32 v0, v12, 0, 8
	s_and_not1_b32 vcc_lo, exec_lo, s13
	s_mov_b32 s10, -1
	v_cmp_ne_u16_e64 s7, 0, v2
                                        ; implicit-def: $vgpr2
	s_cbranch_vccnz .LBB6_11149
; %bb.11128:                            ;   in Loop: Header=BB6_7543 Depth=2
	v_dual_mov_b32 v3, 0 :: v_dual_mov_b32 v2, 0
	s_and_saveexec_b32 s14, s7
	s_cbranch_execz .LBB6_11138
; %bb.11129:                            ;   in Loop: Header=BB6_7543 Depth=2
	v_bfrev_b32_e32 v2, 1
	s_mov_b32 s41, exec_lo
	v_cmpx_ne_u16_e32 0xff80, v1
	s_cbranch_execz .LBB6_11137
; %bb.11130:                            ;   in Loop: Header=BB6_7543 Depth=2
	v_and_b32_e32 v2, 0x7c, v16
	v_and_b32_e32 v4, 3, v16
	s_delay_alu instid0(VALU_DEP_2) | instskip(SKIP_1) | instid1(SALU_CYCLE_1)
	v_cmp_ne_u32_e32 vcc_lo, 0x7c, v2
                                        ; implicit-def: $vgpr2
	s_and_saveexec_b32 s10, vcc_lo
	s_xor_b32 s10, exec_lo, s10
	s_cbranch_execz .LBB6_11134
; %bb.11131:                            ;   in Loop: Header=BB6_7543 Depth=2
	v_bfe_u32 v2, v16, 2, 5
	s_mov_b32 s42, exec_lo
	s_delay_alu instid0(VALU_DEP_1)
	v_cmpx_eq_u32_e32 0, v2
; %bb.11132:                            ;   in Loop: Header=BB6_7543 Depth=2
	v_clz_i32_u32_e32 v2, v4
	s_delay_alu instid0(VALU_DEP_1) | instskip(NEXT) | instid1(VALU_DEP_1)
	v_min_u32_e32 v2, 32, v2
	v_subrev_nc_u32_e32 v4, 29, v2
	s_delay_alu instid0(VALU_DEP_1) | instskip(NEXT) | instid1(VALU_DEP_1)
	v_lshlrev_b64_e32 v[4:5], v4, v[16:17]
	v_dual_sub_nc_u32 v2, 30, v2 :: v_dual_bitop2_b32 v4, 3, v4 bitop3:0x40
; %bb.11133:                            ;   in Loop: Header=BB6_7543 Depth=2
	s_or_b32 exec_lo, exec_lo, s42
	v_lshlrev_b32_e32 v5, 24, v16
	s_delay_alu instid0(VALU_DEP_1) | instskip(NEXT) | instid1(VALU_DEP_1)
	v_and_b32_e32 v5, 0x80000000, v5
	v_lshl_add_u32 v2, v2, 23, v5
	s_delay_alu instid0(VALU_DEP_1) | instskip(NEXT) | instid1(VALU_DEP_1)
	v_lshl_or_b32 v2, v4, 21, v2
                                        ; implicit-def: $vgpr4
	v_add_nc_u32_e32 v2, 0x38000000, v2
.LBB6_11134:                            ;   in Loop: Header=BB6_7543 Depth=2
	s_and_not1_saveexec_b32 s42, s10
; %bb.11135:                            ;   in Loop: Header=BB6_7543 Depth=2
	v_cmp_lt_i16_e64 s10, -1, v1
	v_cmp_eq_u32_e32 vcc_lo, 0, v4
	s_delay_alu instid0(VALU_DEP_2) | instskip(NEXT) | instid1(VALU_DEP_1)
	v_cndmask_b32_e64 v2, 0xff800000, v75, s10
	v_cndmask_b32_e32 v2, 0x7f800001, v2, vcc_lo
; %bb.11136:                            ;   in Loop: Header=BB6_7543 Depth=2
	s_or_b32 exec_lo, exec_lo, s42
.LBB6_11137:                            ;   in Loop: Header=BB6_7543 Depth=2
	s_delay_alu instid0(SALU_CYCLE_1)
	s_or_b32 exec_lo, exec_lo, s41
.LBB6_11138:                            ;   in Loop: Header=BB6_7543 Depth=2
	s_delay_alu instid0(SALU_CYCLE_1) | instskip(NEXT) | instid1(SALU_CYCLE_1)
	s_or_b32 exec_lo, exec_lo, s14
	s_mov_b32 s14, exec_lo
	v_cmpx_ne_u16_e32 0, v0
	s_cbranch_execz .LBB6_11148
; %bb.11139:                            ;   in Loop: Header=BB6_7543 Depth=2
	v_bfrev_b32_e32 v3, 1
	s_mov_b32 s41, exec_lo
	v_cmpx_ne_u16_e32 0xff80, v0
	s_cbranch_execz .LBB6_11147
; %bb.11140:                            ;   in Loop: Header=BB6_7543 Depth=2
	v_and_b32_e32 v3, 0x7c, v12
	v_and_b32_e32 v4, 3, v12
	s_delay_alu instid0(VALU_DEP_2) | instskip(SKIP_1) | instid1(SALU_CYCLE_1)
	v_cmp_ne_u32_e32 vcc_lo, 0x7c, v3
                                        ; implicit-def: $vgpr3
	s_and_saveexec_b32 s10, vcc_lo
	s_xor_b32 s10, exec_lo, s10
	s_cbranch_execz .LBB6_11144
; %bb.11141:                            ;   in Loop: Header=BB6_7543 Depth=2
	v_bfe_u32 v3, v12, 2, 5
	s_mov_b32 s42, exec_lo
	s_delay_alu instid0(VALU_DEP_1)
	v_cmpx_eq_u32_e32 0, v3
; %bb.11142:                            ;   in Loop: Header=BB6_7543 Depth=2
	v_clz_i32_u32_e32 v3, v4
	s_delay_alu instid0(VALU_DEP_1) | instskip(NEXT) | instid1(VALU_DEP_1)
	v_min_u32_e32 v3, 32, v3
	v_subrev_nc_u32_e32 v4, 29, v3
	s_delay_alu instid0(VALU_DEP_1) | instskip(NEXT) | instid1(VALU_DEP_1)
	v_lshlrev_b64_e32 v[4:5], v4, v[12:13]
	v_dual_sub_nc_u32 v3, 30, v3 :: v_dual_bitop2_b32 v4, 3, v4 bitop3:0x40
; %bb.11143:                            ;   in Loop: Header=BB6_7543 Depth=2
	s_or_b32 exec_lo, exec_lo, s42
	v_lshlrev_b32_e32 v5, 24, v12
	s_delay_alu instid0(VALU_DEP_1) | instskip(NEXT) | instid1(VALU_DEP_1)
	v_and_b32_e32 v5, 0x80000000, v5
	v_lshl_add_u32 v3, v3, 23, v5
	s_delay_alu instid0(VALU_DEP_1) | instskip(NEXT) | instid1(VALU_DEP_1)
	v_lshl_or_b32 v3, v4, 21, v3
                                        ; implicit-def: $vgpr4
	v_add_nc_u32_e32 v3, 0x38000000, v3
.LBB6_11144:                            ;   in Loop: Header=BB6_7543 Depth=2
	s_and_not1_saveexec_b32 s42, s10
; %bb.11145:                            ;   in Loop: Header=BB6_7543 Depth=2
	v_cmp_lt_i16_e64 s10, -1, v0
	v_cmp_eq_u32_e32 vcc_lo, 0, v4
	s_delay_alu instid0(VALU_DEP_2) | instskip(NEXT) | instid1(VALU_DEP_1)
	v_cndmask_b32_e64 v3, 0xff800000, v75, s10
	v_cndmask_b32_e32 v3, 0x7f800001, v3, vcc_lo
; %bb.11146:                            ;   in Loop: Header=BB6_7543 Depth=2
	s_or_b32 exec_lo, exec_lo, s42
.LBB6_11147:                            ;   in Loop: Header=BB6_7543 Depth=2
	s_delay_alu instid0(SALU_CYCLE_1)
	s_or_b32 exec_lo, exec_lo, s41
.LBB6_11148:                            ;   in Loop: Header=BB6_7543 Depth=2
	s_delay_alu instid0(SALU_CYCLE_1) | instskip(NEXT) | instid1(VALU_DEP_1)
	s_or_b32 exec_lo, exec_lo, s14
	v_dual_max_num_f32 v3, v3, v3 :: v_dual_max_num_f32 v2, v2, v2
	s_mov_b32 s10, 0
	s_delay_alu instid0(VALU_DEP_1)
	v_max_num_f32_e32 v2, v2, v3
.LBB6_11149:                            ;   in Loop: Header=BB6_7543 Depth=2
	s_and_b32 vcc_lo, exec_lo, s10
	s_cbranch_vccz .LBB6_11171
; %bb.11150:                            ;   in Loop: Header=BB6_7543 Depth=2
	v_dual_mov_b32 v3, 0 :: v_dual_mov_b32 v2, 0
	s_and_saveexec_b32 s10, s7
	s_cbranch_execz .LBB6_11160
; %bb.11151:                            ;   in Loop: Header=BB6_7543 Depth=2
	v_bfrev_b32_e32 v2, 1
	s_mov_b32 s7, exec_lo
	v_cmpx_ne_u16_e32 0xff80, v1
	s_cbranch_execz .LBB6_11159
; %bb.11152:                            ;   in Loop: Header=BB6_7543 Depth=2
	v_and_b32_e32 v2, 0x7c, v16
	v_and_b32_e32 v4, 3, v16
	s_delay_alu instid0(VALU_DEP_2) | instskip(SKIP_1) | instid1(SALU_CYCLE_1)
	v_cmp_ne_u32_e32 vcc_lo, 0x7c, v2
                                        ; implicit-def: $vgpr2
	s_and_saveexec_b32 s14, vcc_lo
	s_xor_b32 s14, exec_lo, s14
	s_cbranch_execz .LBB6_11156
; %bb.11153:                            ;   in Loop: Header=BB6_7543 Depth=2
	v_bfe_u32 v1, v16, 2, 5
	s_mov_b32 s41, exec_lo
	s_delay_alu instid0(VALU_DEP_1)
	v_cmpx_eq_u32_e32 0, v1
; %bb.11154:                            ;   in Loop: Header=BB6_7543 Depth=2
	v_clz_i32_u32_e32 v1, v4
	s_delay_alu instid0(VALU_DEP_1) | instskip(NEXT) | instid1(VALU_DEP_1)
	v_min_u32_e32 v1, 32, v1
	v_subrev_nc_u32_e32 v2, 29, v1
	s_delay_alu instid0(VALU_DEP_1) | instskip(NEXT) | instid1(VALU_DEP_1)
	v_lshlrev_b64_e32 v[4:5], v2, v[16:17]
	v_dual_sub_nc_u32 v1, 30, v1 :: v_dual_bitop2_b32 v4, 3, v4 bitop3:0x40
; %bb.11155:                            ;   in Loop: Header=BB6_7543 Depth=2
	s_or_b32 exec_lo, exec_lo, s41
	v_lshlrev_b32_e32 v2, 24, v16
	s_delay_alu instid0(VALU_DEP_1) | instskip(NEXT) | instid1(VALU_DEP_1)
	v_and_b32_e32 v2, 0x80000000, v2
	v_lshl_add_u32 v1, v1, 23, v2
	s_delay_alu instid0(VALU_DEP_1) | instskip(NEXT) | instid1(VALU_DEP_1)
	v_lshl_or_b32 v1, v4, 21, v1
                                        ; implicit-def: $vgpr4
	v_add_nc_u32_e32 v2, 0x38000000, v1
                                        ; implicit-def: $vgpr1
.LBB6_11156:                            ;   in Loop: Header=BB6_7543 Depth=2
	s_and_not1_saveexec_b32 s14, s14
; %bb.11157:                            ;   in Loop: Header=BB6_7543 Depth=2
	v_cmp_lt_i16_e32 vcc_lo, -1, v1
	v_cndmask_b32_e32 v1, 0xff800000, v75, vcc_lo
	v_cmp_eq_u32_e32 vcc_lo, 0, v4
	s_delay_alu instid0(VALU_DEP_2)
	v_cndmask_b32_e32 v2, 0x7f800001, v1, vcc_lo
; %bb.11158:                            ;   in Loop: Header=BB6_7543 Depth=2
	s_or_b32 exec_lo, exec_lo, s14
.LBB6_11159:                            ;   in Loop: Header=BB6_7543 Depth=2
	s_delay_alu instid0(SALU_CYCLE_1)
	s_or_b32 exec_lo, exec_lo, s7
.LBB6_11160:                            ;   in Loop: Header=BB6_7543 Depth=2
	s_delay_alu instid0(SALU_CYCLE_1) | instskip(NEXT) | instid1(SALU_CYCLE_1)
	s_or_b32 exec_lo, exec_lo, s10
	s_mov_b32 s7, exec_lo
	v_cmpx_ne_u16_e32 0, v0
	s_cbranch_execz .LBB6_11170
; %bb.11161:                            ;   in Loop: Header=BB6_7543 Depth=2
	v_bfrev_b32_e32 v3, 1
	s_mov_b32 s10, exec_lo
	v_cmpx_ne_u16_e32 0xff80, v0
	s_cbranch_execz .LBB6_11169
; %bb.11162:                            ;   in Loop: Header=BB6_7543 Depth=2
	v_and_b32_e32 v3, 0x7c, v12
	v_and_b32_e32 v1, 3, v12
	s_delay_alu instid0(VALU_DEP_2) | instskip(SKIP_1) | instid1(SALU_CYCLE_1)
	v_cmp_ne_u32_e32 vcc_lo, 0x7c, v3
                                        ; implicit-def: $vgpr3
	s_and_saveexec_b32 s14, vcc_lo
	s_xor_b32 s14, exec_lo, s14
	s_cbranch_execz .LBB6_11166
; %bb.11163:                            ;   in Loop: Header=BB6_7543 Depth=2
	v_bfe_u32 v0, v12, 2, 5
	s_mov_b32 s41, exec_lo
	s_delay_alu instid0(VALU_DEP_1)
	v_cmpx_eq_u32_e32 0, v0
; %bb.11164:                            ;   in Loop: Header=BB6_7543 Depth=2
	v_clz_i32_u32_e32 v0, v1
	s_delay_alu instid0(VALU_DEP_1) | instskip(NEXT) | instid1(VALU_DEP_1)
	v_min_u32_e32 v0, 32, v0
	v_subrev_nc_u32_e32 v1, 29, v0
	v_sub_nc_u32_e32 v0, 30, v0
	s_delay_alu instid0(VALU_DEP_2) | instskip(NEXT) | instid1(VALU_DEP_1)
	v_lshlrev_b64_e32 v[4:5], v1, v[12:13]
	v_and_b32_e32 v1, 3, v4
; %bb.11165:                            ;   in Loop: Header=BB6_7543 Depth=2
	s_or_b32 exec_lo, exec_lo, s41
	v_lshlrev_b32_e32 v3, 24, v12
	s_delay_alu instid0(VALU_DEP_1) | instskip(NEXT) | instid1(VALU_DEP_1)
	v_and_b32_e32 v3, 0x80000000, v3
	v_lshl_add_u32 v0, v0, 23, v3
	s_delay_alu instid0(VALU_DEP_1) | instskip(NEXT) | instid1(VALU_DEP_1)
	v_lshl_or_b32 v0, v1, 21, v0
                                        ; implicit-def: $vgpr1
	v_add_nc_u32_e32 v3, 0x38000000, v0
                                        ; implicit-def: $vgpr0
.LBB6_11166:                            ;   in Loop: Header=BB6_7543 Depth=2
	s_and_not1_saveexec_b32 s14, s14
; %bb.11167:                            ;   in Loop: Header=BB6_7543 Depth=2
	v_cmp_lt_i16_e32 vcc_lo, -1, v0
	v_cndmask_b32_e32 v0, 0xff800000, v75, vcc_lo
	v_cmp_eq_u32_e32 vcc_lo, 0, v1
	s_delay_alu instid0(VALU_DEP_2)
	v_cndmask_b32_e32 v3, 0x7f800001, v0, vcc_lo
; %bb.11168:                            ;   in Loop: Header=BB6_7543 Depth=2
	s_or_b32 exec_lo, exec_lo, s14
.LBB6_11169:                            ;   in Loop: Header=BB6_7543 Depth=2
	s_delay_alu instid0(SALU_CYCLE_1)
	s_or_b32 exec_lo, exec_lo, s10
.LBB6_11170:                            ;   in Loop: Header=BB6_7543 Depth=2
	s_delay_alu instid0(SALU_CYCLE_1) | instskip(NEXT) | instid1(VALU_DEP_1)
	s_or_b32 exec_lo, exec_lo, s7
	v_dual_max_num_f32 v0, v3, v3 :: v_dual_max_num_f32 v1, v2, v2
	s_delay_alu instid0(VALU_DEP_1)
	v_min_num_f32_e32 v2, v1, v0
.LBB6_11171:                            ;   in Loop: Header=BB6_7543 Depth=2
	s_delay_alu instid0(VALU_DEP_1) | instskip(SKIP_2) | instid1(VALU_DEP_2)
	v_and_b32_e32 v0, 0x7f800000, v2
	v_mov_b32_e32 v1, v25
	v_and_b32_e32 v24, 0x7fffff, v2
                                        ; implicit-def: $vgpr11
	v_cmp_ne_u64_e32 vcc_lo, 0x7f800000, v[0:1]
	v_lshrrev_b32_e32 v0, 24, v2
	s_and_saveexec_b32 s7, vcc_lo
	s_delay_alu instid0(SALU_CYCLE_1)
	s_xor_b32 s10, exec_lo, s7
	s_cbranch_execz .LBB6_11185
; %bb.11172:                            ;   in Loop: Header=BB6_7543 Depth=2
	v_and_b32_e32 v4, 0x7fffffff, v2
	v_mov_b32_e32 v5, v25
                                        ; implicit-def: $vgpr11
	s_delay_alu instid0(VALU_DEP_1) | instskip(SKIP_2) | instid1(SALU_CYCLE_1)
	v_cmp_gt_u64_e32 vcc_lo, 0x47600001, v[4:5]
	v_and_b32_e32 v4, 0x80, v0
	s_and_saveexec_b32 s7, vcc_lo
	s_xor_b32 s14, exec_lo, s7
	s_cbranch_execz .LBB6_11182
; %bb.11173:                            ;   in Loop: Header=BB6_7543 Depth=2
	v_mov_b32_e32 v11, 0
	s_mov_b32 s41, exec_lo
	v_cmpx_ne_u32_e32 0, v2
	s_cbranch_execz .LBB6_11181
; %bb.11174:                            ;   in Loop: Header=BB6_7543 Depth=2
	v_bfe_u32 v5, v2, 23, 8
	v_or_b32_e32 v1, 0x800000, v24
	s_delay_alu instid0(VALU_DEP_2) | instskip(SKIP_2) | instid1(VALU_DEP_2)
	v_cmp_gt_u32_e64 s7, 0x72, v5
	v_sub_nc_u32_e32 v0, 0x71, v5
	v_cmp_eq_u32_e32 vcc_lo, 0, v5
	v_cndmask_b32_e64 v0, 0, v0, s7
	s_delay_alu instid0(VALU_DEP_1) | instskip(NEXT) | instid1(VALU_DEP_1)
	v_cndmask_b32_e64 v11, v0, 0x70, vcc_lo
	v_dual_cndmask_b32 v24, v1, v24, vcc_lo :: v_dual_add_nc_u32 v0, 21, v11
	v_add_nc_u32_e32 v2, 20, v11
	s_delay_alu instid0(VALU_DEP_2) | instskip(NEXT) | instid1(VALU_DEP_2)
	v_lshlrev_b64_e64 v[0:1], v0, -1
	v_lshlrev_b64_e64 v[2:3], v2, 1
	s_delay_alu instid0(VALU_DEP_2) | instskip(NEXT) | instid1(VALU_DEP_3)
	v_bfi_b32 v1, v1, 0, 0
	v_bfi_b32 v0, v0, 0, v24
	s_delay_alu instid0(VALU_DEP_1) | instskip(SKIP_1) | instid1(VALU_DEP_1)
	v_cmp_eq_u64_e64 s7, v[0:1], v[2:3]
	v_lshrrev_b64 v[0:1], v11, v[24:25]
	v_mov_b64_e32 v[2:3], v[0:1]
	s_and_saveexec_b32 s42, s7
; %bb.11175:                            ;   in Loop: Header=BB6_7543 Depth=2
	v_bfe_u32 v24, v0, 21, 1
	s_delay_alu instid0(VALU_DEP_1) | instskip(NEXT) | instid1(VALU_DEP_1)
	v_add_nc_u64_e32 v[2:3], v[0:1], v[24:25]
	v_add_nc_u64_e32 v[2:3], -1, v[2:3]
; %bb.11176:                            ;   in Loop: Header=BB6_7543 Depth=2
	s_or_b32 exec_lo, exec_lo, s42
	v_add_nc_u32_e32 v1, 0xffffff81, v5
	v_lshrrev_b32_e32 v3, 23, v0
	s_mov_b32 s7, exec_lo
	s_delay_alu instid0(VALU_DEP_2) | instskip(NEXT) | instid1(VALU_DEP_1)
	v_cndmask_b32_e64 v1, v1, 0xffffff82, vcc_lo
	v_add3_u32 v5, v11, v1, v3
	v_and_b32_e32 v1, 0x1fffff, v2
                                        ; implicit-def: $vgpr2
	s_delay_alu instid0(VALU_DEP_1) | instskip(NEXT) | instid1(VALU_DEP_1)
	v_dual_add_nc_u32 v3, 14, v5 :: v_dual_add_nc_u32 v24, v1, v0
                                        ; implicit-def: $vgpr0_vgpr1
	v_cmpx_ne_u32_e32 0, v3
	s_xor_b32 s7, exec_lo, s7
; %bb.11177:                            ;   in Loop: Header=BB6_7543 Depth=2
	s_delay_alu instid0(VALU_DEP_2) | instskip(SKIP_1) | instid1(VALU_DEP_1)
	v_cmp_lt_u64_e32 vcc_lo, 0xffffff, v[24:25]
	v_add_nc_u32_e32 v0, 15, v5
	v_cndmask_b32_e32 v2, v3, v0, vcc_lo
	v_cndmask_b32_e64 v0, 0, 1, vcc_lo
	s_delay_alu instid0(VALU_DEP_1)
	v_lshrrev_b64 v[0:1], v0, v[24:25]
; %bb.11178:                            ;   in Loop: Header=BB6_7543 Depth=2
	s_and_not1_saveexec_b32 s7, s7
; %bb.11179:                            ;   in Loop: Header=BB6_7543 Depth=2
	v_mov_b64_e32 v[0:1], v[24:25]
	v_bfe_u32 v2, v24, 23, 1
; %bb.11180:                            ;   in Loop: Header=BB6_7543 Depth=2
	s_or_b32 exec_lo, exec_lo, s7
	s_delay_alu instid0(VALU_DEP_2) | instskip(NEXT) | instid1(VALU_DEP_2)
	v_lshrrev_b64 v[0:1], 21, v[0:1]
	v_cmp_gt_i32_e32 vcc_lo, 32, v2
	v_min_i32_e32 v3, 31, v2
	v_cmp_eq_u32_e64 s7, 0, v2
	s_delay_alu instid0(VALU_DEP_2) | instskip(SKIP_1) | instid1(VALU_DEP_2)
	v_dual_cndmask_b32 v1, 0, v1, vcc_lo :: v_dual_lshlrev_b32 v3, 2, v3
	v_cndmask_b32_e32 v0, 3, v0, vcc_lo
	v_and_b32_e32 v3, 0xfc, v3
	s_delay_alu instid0(VALU_DEP_2) | instskip(NEXT) | instid1(VALU_DEP_2)
	v_cmp_eq_u64_e32 vcc_lo, 0, v[0:1]
	v_and_or_b32 v0, v0, 3, v3
	s_and_b32 s7, s7, vcc_lo
	s_delay_alu instid0(VALU_DEP_1) | instid1(SALU_CYCLE_1)
	v_cndmask_b32_e64 v0, v0, 0, s7
	s_delay_alu instid0(VALU_DEP_1)
	v_or_b32_e32 v11, v0, v4
.LBB6_11181:                            ;   in Loop: Header=BB6_7543 Depth=2
	s_or_b32 exec_lo, exec_lo, s41
                                        ; implicit-def: $vgpr4
.LBB6_11182:                            ;   in Loop: Header=BB6_7543 Depth=2
	s_and_not1_saveexec_b32 s7, s14
; %bb.11183:                            ;   in Loop: Header=BB6_7543 Depth=2
	v_or_b32_e32 v11, 0x7b, v4
; %bb.11184:                            ;   in Loop: Header=BB6_7543 Depth=2
	s_or_b32 exec_lo, exec_lo, s7
                                        ; implicit-def: $vgpr2
                                        ; implicit-def: $vgpr0
.LBB6_11185:                            ;   in Loop: Header=BB6_7543 Depth=2
	s_and_not1_saveexec_b32 s7, s10
	s_cbranch_execz .LBB6_11191
; %bb.11186:                            ;   in Loop: Header=BB6_7543 Depth=2
	s_mov_b32 s10, exec_lo
                                        ; implicit-def: $vgpr11
	v_cmpx_ne_u64_e32 0, v[24:25]
	s_xor_b32 s10, exec_lo, s10
; %bb.11187:                            ;   in Loop: Header=BB6_7543 Depth=2
	v_or_b32_e32 v11, 0x7f, v0
                                        ; implicit-def: $vgpr2
; %bb.11188:                            ;   in Loop: Header=BB6_7543 Depth=2
	s_and_not1_saveexec_b32 s10, s10
; %bb.11189:                            ;   in Loop: Header=BB6_7543 Depth=2
	v_cmp_lt_i32_e32 vcc_lo, -1, v2
	v_cndmask_b32_e32 v11, 0xfc, v41, vcc_lo
; %bb.11190:                            ;   in Loop: Header=BB6_7543 Depth=2
	s_or_b32 exec_lo, exec_lo, s10
.LBB6_11191:                            ;   in Loop: Header=BB6_7543 Depth=2
	s_delay_alu instid0(SALU_CYCLE_1) | instskip(SKIP_4) | instid1(VALU_DEP_2)
	s_or_b32 exec_lo, exec_lo, s7
	v_lshrrev_b16 v24, 8, v16
	v_lshrrev_b16 v0, 8, v12
	s_mov_b32 s10, -1
	s_and_not1_b32 vcc_lo, exec_lo, s13
                                        ; implicit-def: $vgpr1
	v_and_b32_e32 v2, 0xffff, v24
	v_cmp_ne_u16_e64 s7, 0, v24
	s_cbranch_vccnz .LBB6_11213
; %bb.11192:                            ;   in Loop: Header=BB6_7543 Depth=2
	v_dual_mov_b32 v1, 0 :: v_dual_mov_b32 v3, 0
	s_and_saveexec_b32 s14, s7
	s_cbranch_execz .LBB6_11202
; %bb.11193:                            ;   in Loop: Header=BB6_7543 Depth=2
	v_bfrev_b32_e32 v3, 1
	s_mov_b32 s41, exec_lo
	v_cmpx_ne_u16_e32 0x80, v24
	s_cbranch_execz .LBB6_11201
; %bb.11194:                            ;   in Loop: Header=BB6_7543 Depth=2
	v_and_b32_e32 v3, 0x7c, v2
	v_and_b32_e32 v4, 3, v2
	s_delay_alu instid0(VALU_DEP_2) | instskip(SKIP_1) | instid1(SALU_CYCLE_1)
	v_cmp_ne_u32_e32 vcc_lo, 0x7c, v3
                                        ; implicit-def: $vgpr3
	s_and_saveexec_b32 s10, vcc_lo
	s_xor_b32 s10, exec_lo, s10
	s_cbranch_execz .LBB6_11198
; %bb.11195:                            ;   in Loop: Header=BB6_7543 Depth=2
	v_bfe_u32 v3, v2, 2, 5
	s_mov_b32 s42, exec_lo
	s_delay_alu instid0(VALU_DEP_1)
	v_cmpx_eq_u32_e32 0, v3
; %bb.11196:                            ;   in Loop: Header=BB6_7543 Depth=2
	v_clz_i32_u32_e32 v3, v4
	s_delay_alu instid0(VALU_DEP_1) | instskip(NEXT) | instid1(VALU_DEP_1)
	v_min_u32_e32 v3, 32, v3
	v_subrev_nc_u32_e32 v4, 29, v3
	s_delay_alu instid0(VALU_DEP_1) | instskip(NEXT) | instid1(VALU_DEP_1)
	v_lshlrev_b64_e32 v[4:5], v4, v[24:25]
	v_dual_sub_nc_u32 v3, 30, v3 :: v_dual_bitop2_b32 v4, 3, v4 bitop3:0x40
; %bb.11197:                            ;   in Loop: Header=BB6_7543 Depth=2
	s_or_b32 exec_lo, exec_lo, s42
	v_lshlrev_b32_e32 v5, 16, v16
	s_delay_alu instid0(VALU_DEP_1) | instskip(NEXT) | instid1(VALU_DEP_1)
	v_and_b32_e32 v5, 0x80000000, v5
	v_lshl_add_u32 v3, v3, 23, v5
	s_delay_alu instid0(VALU_DEP_1) | instskip(NEXT) | instid1(VALU_DEP_1)
	v_lshl_or_b32 v3, v4, 21, v3
                                        ; implicit-def: $vgpr4
	v_add_nc_u32_e32 v3, 0x38000000, v3
.LBB6_11198:                            ;   in Loop: Header=BB6_7543 Depth=2
	s_and_not1_saveexec_b32 s42, s10
; %bb.11199:                            ;   in Loop: Header=BB6_7543 Depth=2
	v_cmp_lt_i16_e64 s10, -1, v16
	v_cmp_eq_u32_e32 vcc_lo, 0, v4
	s_delay_alu instid0(VALU_DEP_2) | instskip(NEXT) | instid1(VALU_DEP_1)
	v_cndmask_b32_e64 v3, 0xff800000, v75, s10
	v_cndmask_b32_e32 v3, 0x7f800001, v3, vcc_lo
; %bb.11200:                            ;   in Loop: Header=BB6_7543 Depth=2
	s_or_b32 exec_lo, exec_lo, s42
.LBB6_11201:                            ;   in Loop: Header=BB6_7543 Depth=2
	s_delay_alu instid0(SALU_CYCLE_1)
	s_or_b32 exec_lo, exec_lo, s41
.LBB6_11202:                            ;   in Loop: Header=BB6_7543 Depth=2
	s_delay_alu instid0(SALU_CYCLE_1) | instskip(NEXT) | instid1(SALU_CYCLE_1)
	s_or_b32 exec_lo, exec_lo, s14
	s_mov_b32 s14, exec_lo
	v_cmpx_ne_u16_e32 0, v0
	s_cbranch_execz .LBB6_11212
; %bb.11203:                            ;   in Loop: Header=BB6_7543 Depth=2
	v_bfrev_b32_e32 v1, 1
	s_mov_b32 s41, exec_lo
	v_cmpx_ne_u16_e32 0x80, v0
	s_cbranch_execz .LBB6_11211
; %bb.11204:                            ;   in Loop: Header=BB6_7543 Depth=2
	v_and_b32_e32 v5, 0xffff, v0
	s_delay_alu instid0(VALU_DEP_1) | instskip(SKIP_1) | instid1(VALU_DEP_2)
	v_and_b32_e32 v1, 0x7c, v5
	v_and_b32_e32 v4, 3, v5
	v_cmp_ne_u32_e32 vcc_lo, 0x7c, v1
                                        ; implicit-def: $vgpr1
	s_and_saveexec_b32 s10, vcc_lo
	s_delay_alu instid0(SALU_CYCLE_1)
	s_xor_b32 s10, exec_lo, s10
	s_cbranch_execz .LBB6_11208
; %bb.11205:                            ;   in Loop: Header=BB6_7543 Depth=2
	v_bfe_u32 v1, v5, 2, 5
	s_mov_b32 s42, exec_lo
	s_delay_alu instid0(VALU_DEP_1)
	v_cmpx_eq_u32_e32 0, v1
; %bb.11206:                            ;   in Loop: Header=BB6_7543 Depth=2
	v_clz_i32_u32_e32 v1, v4
	s_delay_alu instid0(VALU_DEP_1) | instskip(SKIP_1) | instid1(VALU_DEP_2)
	v_min_u32_e32 v14, 32, v1
	v_mov_b32_e32 v1, v25
	v_subrev_nc_u32_e32 v4, 29, v14
	s_delay_alu instid0(VALU_DEP_1) | instskip(NEXT) | instid1(VALU_DEP_1)
	v_lshlrev_b64_e32 v[4:5], v4, v[0:1]
	v_dual_sub_nc_u32 v1, 30, v14 :: v_dual_bitop2_b32 v4, 3, v4 bitop3:0x40
; %bb.11207:                            ;   in Loop: Header=BB6_7543 Depth=2
	s_or_b32 exec_lo, exec_lo, s42
	v_lshlrev_b32_e32 v5, 16, v12
	s_delay_alu instid0(VALU_DEP_1) | instskip(NEXT) | instid1(VALU_DEP_1)
	v_and_b32_e32 v5, 0x80000000, v5
	v_lshl_add_u32 v1, v1, 23, v5
	s_delay_alu instid0(VALU_DEP_1) | instskip(NEXT) | instid1(VALU_DEP_1)
	v_lshl_or_b32 v1, v4, 21, v1
                                        ; implicit-def: $vgpr4
	v_add_nc_u32_e32 v1, 0x38000000, v1
.LBB6_11208:                            ;   in Loop: Header=BB6_7543 Depth=2
	s_and_not1_saveexec_b32 s42, s10
; %bb.11209:                            ;   in Loop: Header=BB6_7543 Depth=2
	v_cmp_lt_i16_e64 s10, -1, v12
	v_cmp_eq_u32_e32 vcc_lo, 0, v4
	s_delay_alu instid0(VALU_DEP_2) | instskip(NEXT) | instid1(VALU_DEP_1)
	v_cndmask_b32_e64 v1, 0xff800000, v75, s10
	v_cndmask_b32_e32 v1, 0x7f800001, v1, vcc_lo
; %bb.11210:                            ;   in Loop: Header=BB6_7543 Depth=2
	s_or_b32 exec_lo, exec_lo, s42
.LBB6_11211:                            ;   in Loop: Header=BB6_7543 Depth=2
	s_delay_alu instid0(SALU_CYCLE_1)
	s_or_b32 exec_lo, exec_lo, s41
.LBB6_11212:                            ;   in Loop: Header=BB6_7543 Depth=2
	s_delay_alu instid0(SALU_CYCLE_1) | instskip(NEXT) | instid1(VALU_DEP_1)
	s_or_b32 exec_lo, exec_lo, s14
	v_dual_max_num_f32 v1, v1, v1 :: v_dual_max_num_f32 v3, v3, v3
	s_mov_b32 s10, 0
	s_delay_alu instid0(VALU_DEP_1)
	v_max_num_f32_e32 v1, v3, v1
.LBB6_11213:                            ;   in Loop: Header=BB6_7543 Depth=2
	s_and_b32 vcc_lo, exec_lo, s10
	s_cbranch_vccz .LBB6_11235
; %bb.11214:                            ;   in Loop: Header=BB6_7543 Depth=2
	v_dual_mov_b32 v1, 0 :: v_dual_mov_b32 v3, 0
	s_and_saveexec_b32 s10, s7
	s_cbranch_execz .LBB6_11224
; %bb.11215:                            ;   in Loop: Header=BB6_7543 Depth=2
	v_bfrev_b32_e32 v3, 1
	s_mov_b32 s14, exec_lo
	v_cmpx_ne_u16_e32 0x80, v24
	s_cbranch_execz .LBB6_11223
; %bb.11216:                            ;   in Loop: Header=BB6_7543 Depth=2
	v_and_b32_e32 v3, 0x7c, v2
	v_and_b32_e32 v4, 3, v2
	s_delay_alu instid0(VALU_DEP_2) | instskip(SKIP_1) | instid1(SALU_CYCLE_1)
	v_cmp_ne_u32_e32 vcc_lo, 0x7c, v3
                                        ; implicit-def: $vgpr3
	s_and_saveexec_b32 s7, vcc_lo
	s_xor_b32 s7, exec_lo, s7
	s_cbranch_execz .LBB6_11220
; %bb.11217:                            ;   in Loop: Header=BB6_7543 Depth=2
	v_bfe_u32 v2, v2, 2, 5
	s_mov_b32 s41, exec_lo
	s_delay_alu instid0(VALU_DEP_1)
	v_cmpx_eq_u32_e32 0, v2
; %bb.11218:                            ;   in Loop: Header=BB6_7543 Depth=2
	v_clz_i32_u32_e32 v2, v4
	s_delay_alu instid0(VALU_DEP_1) | instskip(NEXT) | instid1(VALU_DEP_1)
	v_min_u32_e32 v2, 32, v2
	v_subrev_nc_u32_e32 v3, 29, v2
	s_delay_alu instid0(VALU_DEP_1) | instskip(NEXT) | instid1(VALU_DEP_1)
	v_lshlrev_b64_e32 v[4:5], v3, v[24:25]
	v_dual_sub_nc_u32 v2, 30, v2 :: v_dual_bitop2_b32 v4, 3, v4 bitop3:0x40
; %bb.11219:                            ;   in Loop: Header=BB6_7543 Depth=2
	s_or_b32 exec_lo, exec_lo, s41
	v_lshlrev_b32_e32 v3, 16, v16
	s_delay_alu instid0(VALU_DEP_1) | instskip(NEXT) | instid1(VALU_DEP_1)
	v_and_b32_e32 v3, 0x80000000, v3
	v_lshl_add_u32 v2, v2, 23, v3
	s_delay_alu instid0(VALU_DEP_1) | instskip(NEXT) | instid1(VALU_DEP_1)
	v_lshl_or_b32 v2, v4, 21, v2
                                        ; implicit-def: $vgpr4
	v_add_nc_u32_e32 v3, 0x38000000, v2
.LBB6_11220:                            ;   in Loop: Header=BB6_7543 Depth=2
	s_and_not1_saveexec_b32 s41, s7
; %bb.11221:                            ;   in Loop: Header=BB6_7543 Depth=2
	v_cmp_lt_i16_e64 s7, -1, v16
	v_cmp_eq_u32_e32 vcc_lo, 0, v4
	s_delay_alu instid0(VALU_DEP_2) | instskip(NEXT) | instid1(VALU_DEP_1)
	v_cndmask_b32_e64 v2, 0xff800000, v75, s7
	v_cndmask_b32_e32 v3, 0x7f800001, v2, vcc_lo
; %bb.11222:                            ;   in Loop: Header=BB6_7543 Depth=2
	s_or_b32 exec_lo, exec_lo, s41
.LBB6_11223:                            ;   in Loop: Header=BB6_7543 Depth=2
	s_delay_alu instid0(SALU_CYCLE_1)
	s_or_b32 exec_lo, exec_lo, s14
.LBB6_11224:                            ;   in Loop: Header=BB6_7543 Depth=2
	s_delay_alu instid0(SALU_CYCLE_1) | instskip(NEXT) | instid1(SALU_CYCLE_1)
	s_or_b32 exec_lo, exec_lo, s10
	s_mov_b32 s7, exec_lo
	v_cmpx_ne_u16_e32 0, v0
	s_cbranch_execz .LBB6_11234
; %bb.11225:                            ;   in Loop: Header=BB6_7543 Depth=2
	v_bfrev_b32_e32 v1, 1
	s_mov_b32 s10, exec_lo
	v_cmpx_ne_u16_e32 0x80, v0
	s_cbranch_execz .LBB6_11233
; %bb.11226:                            ;   in Loop: Header=BB6_7543 Depth=2
	v_and_b32_e32 v4, 0xffff, v0
	s_delay_alu instid0(VALU_DEP_1) | instskip(SKIP_1) | instid1(VALU_DEP_2)
	v_and_b32_e32 v1, 0x7c, v4
	v_and_b32_e32 v2, 3, v4
	v_cmp_ne_u32_e32 vcc_lo, 0x7c, v1
                                        ; implicit-def: $vgpr1
	s_and_saveexec_b32 s14, vcc_lo
	s_delay_alu instid0(SALU_CYCLE_1)
	s_xor_b32 s14, exec_lo, s14
	s_cbranch_execz .LBB6_11230
; %bb.11227:                            ;   in Loop: Header=BB6_7543 Depth=2
	v_bfe_u32 v1, v4, 2, 5
	s_mov_b32 s41, exec_lo
	s_delay_alu instid0(VALU_DEP_1)
	v_cmpx_eq_u32_e32 0, v1
; %bb.11228:                            ;   in Loop: Header=BB6_7543 Depth=2
	v_clz_i32_u32_e32 v1, v2
	s_delay_alu instid0(VALU_DEP_1) | instskip(SKIP_1) | instid1(VALU_DEP_2)
	v_min_u32_e32 v2, 32, v1
	v_mov_b32_e32 v1, v25
	v_subrev_nc_u32_e32 v4, 29, v2
	s_delay_alu instid0(VALU_DEP_1) | instskip(NEXT) | instid1(VALU_DEP_1)
	v_lshlrev_b64_e32 v[0:1], v4, v[0:1]
	v_dual_sub_nc_u32 v1, 30, v2 :: v_dual_bitop2_b32 v2, 3, v0 bitop3:0x40
; %bb.11229:                            ;   in Loop: Header=BB6_7543 Depth=2
	s_or_b32 exec_lo, exec_lo, s41
	v_lshlrev_b32_e32 v0, 16, v12
	s_delay_alu instid0(VALU_DEP_1) | instskip(NEXT) | instid1(VALU_DEP_1)
	v_and_b32_e32 v0, 0x80000000, v0
	v_lshl_add_u32 v0, v1, 23, v0
	s_delay_alu instid0(VALU_DEP_1) | instskip(NEXT) | instid1(VALU_DEP_1)
	v_lshl_or_b32 v0, v2, 21, v0
                                        ; implicit-def: $vgpr2
	v_add_nc_u32_e32 v1, 0x38000000, v0
.LBB6_11230:                            ;   in Loop: Header=BB6_7543 Depth=2
	s_and_not1_saveexec_b32 s14, s14
; %bb.11231:                            ;   in Loop: Header=BB6_7543 Depth=2
	v_cmp_lt_i16_e32 vcc_lo, -1, v12
	v_cndmask_b32_e32 v0, 0xff800000, v75, vcc_lo
	v_cmp_eq_u32_e32 vcc_lo, 0, v2
	s_delay_alu instid0(VALU_DEP_2)
	v_cndmask_b32_e32 v1, 0x7f800001, v0, vcc_lo
; %bb.11232:                            ;   in Loop: Header=BB6_7543 Depth=2
	s_or_b32 exec_lo, exec_lo, s14
.LBB6_11233:                            ;   in Loop: Header=BB6_7543 Depth=2
	s_delay_alu instid0(SALU_CYCLE_1)
	s_or_b32 exec_lo, exec_lo, s10
.LBB6_11234:                            ;   in Loop: Header=BB6_7543 Depth=2
	s_delay_alu instid0(SALU_CYCLE_1) | instskip(NEXT) | instid1(VALU_DEP_1)
	s_or_b32 exec_lo, exec_lo, s7
	v_dual_max_num_f32 v0, v1, v1 :: v_dual_max_num_f32 v1, v3, v3
	s_delay_alu instid0(VALU_DEP_1)
	v_min_num_f32_e32 v1, v1, v0
.LBB6_11235:                            ;   in Loop: Header=BB6_7543 Depth=2
	s_delay_alu instid0(VALU_DEP_1) | instskip(SKIP_3) | instid1(VALU_DEP_2)
	v_and_b32_e32 v2, 0x7f800000, v1
	v_dual_mov_b32 v3, v25 :: v_dual_lshrrev_b32 v0, 24, v1
	v_and_b32_e32 v24, 0x7fffff, v1
                                        ; implicit-def: $vgpr14
	s_mov_b32 s7, exec_lo
	v_cmpx_ne_u64_e32 0x7f800000, v[2:3]
	s_xor_b32 s10, exec_lo, s7
	s_cbranch_execz .LBB6_11249
; %bb.11236:                            ;   in Loop: Header=BB6_7543 Depth=2
	v_and_b32_e32 v2, 0x7fffffff, v1
	v_mov_b32_e32 v3, v25
	v_and_b32_e32 v4, 0x80, v0
                                        ; implicit-def: $vgpr14
	s_mov_b32 s7, exec_lo
	s_delay_alu instid0(VALU_DEP_2)
	v_cmpx_gt_u64_e32 0x47600001, v[2:3]
	s_xor_b32 s14, exec_lo, s7
	s_cbranch_execz .LBB6_11246
; %bb.11237:                            ;   in Loop: Header=BB6_7543 Depth=2
	v_mov_b32_e32 v14, 0
	s_mov_b32 s41, exec_lo
	v_cmpx_ne_u32_e32 0, v1
	s_cbranch_execz .LBB6_11245
; %bb.11238:                            ;   in Loop: Header=BB6_7543 Depth=2
	v_bfe_u32 v5, v1, 23, 8
	v_or_b32_e32 v1, 0x800000, v24
	s_delay_alu instid0(VALU_DEP_2) | instskip(SKIP_2) | instid1(VALU_DEP_2)
	v_cmp_gt_u32_e64 s7, 0x72, v5
	v_sub_nc_u32_e32 v0, 0x71, v5
	v_cmp_eq_u32_e32 vcc_lo, 0, v5
	v_cndmask_b32_e64 v0, 0, v0, s7
	s_delay_alu instid0(VALU_DEP_1) | instskip(NEXT) | instid1(VALU_DEP_1)
	v_cndmask_b32_e64 v14, v0, 0x70, vcc_lo
	v_dual_cndmask_b32 v24, v1, v24, vcc_lo :: v_dual_add_nc_u32 v0, 21, v14
	v_add_nc_u32_e32 v2, 20, v14
	s_delay_alu instid0(VALU_DEP_2) | instskip(NEXT) | instid1(VALU_DEP_2)
	v_lshlrev_b64_e64 v[0:1], v0, -1
	v_lshlrev_b64_e64 v[2:3], v2, 1
	s_delay_alu instid0(VALU_DEP_2) | instskip(NEXT) | instid1(VALU_DEP_3)
	v_bfi_b32 v1, v1, 0, 0
	v_bfi_b32 v0, v0, 0, v24
	s_delay_alu instid0(VALU_DEP_1) | instskip(SKIP_1) | instid1(VALU_DEP_1)
	v_cmp_eq_u64_e64 s7, v[0:1], v[2:3]
	v_lshrrev_b64 v[0:1], v14, v[24:25]
	v_mov_b64_e32 v[2:3], v[0:1]
	s_and_saveexec_b32 s42, s7
; %bb.11239:                            ;   in Loop: Header=BB6_7543 Depth=2
	v_bfe_u32 v24, v0, 21, 1
	s_delay_alu instid0(VALU_DEP_1) | instskip(NEXT) | instid1(VALU_DEP_1)
	v_add_nc_u64_e32 v[2:3], v[0:1], v[24:25]
	v_add_nc_u64_e32 v[2:3], -1, v[2:3]
; %bb.11240:                            ;   in Loop: Header=BB6_7543 Depth=2
	s_or_b32 exec_lo, exec_lo, s42
	v_add_nc_u32_e32 v1, 0xffffff81, v5
	v_lshrrev_b32_e32 v3, 23, v0
	s_mov_b32 s7, exec_lo
	s_delay_alu instid0(VALU_DEP_2) | instskip(NEXT) | instid1(VALU_DEP_1)
	v_cndmask_b32_e64 v1, v1, 0xffffff82, vcc_lo
	v_add3_u32 v5, v14, v1, v3
	v_and_b32_e32 v1, 0x1fffff, v2
                                        ; implicit-def: $vgpr2
	s_delay_alu instid0(VALU_DEP_1) | instskip(NEXT) | instid1(VALU_DEP_1)
	v_dual_add_nc_u32 v3, 14, v5 :: v_dual_add_nc_u32 v24, v1, v0
                                        ; implicit-def: $vgpr0_vgpr1
	v_cmpx_ne_u32_e32 0, v3
	s_xor_b32 s7, exec_lo, s7
; %bb.11241:                            ;   in Loop: Header=BB6_7543 Depth=2
	s_delay_alu instid0(VALU_DEP_2) | instskip(SKIP_1) | instid1(VALU_DEP_1)
	v_cmp_lt_u64_e32 vcc_lo, 0xffffff, v[24:25]
	v_add_nc_u32_e32 v0, 15, v5
	v_cndmask_b32_e32 v2, v3, v0, vcc_lo
	v_cndmask_b32_e64 v0, 0, 1, vcc_lo
	s_delay_alu instid0(VALU_DEP_1)
	v_lshrrev_b64 v[0:1], v0, v[24:25]
; %bb.11242:                            ;   in Loop: Header=BB6_7543 Depth=2
	s_and_not1_saveexec_b32 s7, s7
; %bb.11243:                            ;   in Loop: Header=BB6_7543 Depth=2
	v_mov_b64_e32 v[0:1], v[24:25]
	v_bfe_u32 v2, v24, 23, 1
; %bb.11244:                            ;   in Loop: Header=BB6_7543 Depth=2
	s_or_b32 exec_lo, exec_lo, s7
	s_delay_alu instid0(VALU_DEP_2) | instskip(NEXT) | instid1(VALU_DEP_2)
	v_lshrrev_b64 v[0:1], 21, v[0:1]
	v_cmp_gt_i32_e32 vcc_lo, 32, v2
	v_min_i32_e32 v3, 31, v2
	v_cmp_eq_u32_e64 s7, 0, v2
	s_delay_alu instid0(VALU_DEP_2) | instskip(SKIP_1) | instid1(VALU_DEP_2)
	v_dual_cndmask_b32 v1, 0, v1, vcc_lo :: v_dual_lshlrev_b32 v3, 2, v3
	v_cndmask_b32_e32 v0, 3, v0, vcc_lo
	v_and_b32_e32 v3, 0xfc, v3
	s_delay_alu instid0(VALU_DEP_2) | instskip(NEXT) | instid1(VALU_DEP_2)
	v_cmp_eq_u64_e32 vcc_lo, 0, v[0:1]
	v_and_or_b32 v0, v0, 3, v3
	s_and_b32 s7, s7, vcc_lo
	s_delay_alu instid0(VALU_DEP_1) | instid1(SALU_CYCLE_1)
	v_cndmask_b32_e64 v0, v0, 0, s7
	s_delay_alu instid0(VALU_DEP_1)
	v_or_b32_e32 v14, v0, v4
.LBB6_11245:                            ;   in Loop: Header=BB6_7543 Depth=2
	s_or_b32 exec_lo, exec_lo, s41
                                        ; implicit-def: $vgpr4
.LBB6_11246:                            ;   in Loop: Header=BB6_7543 Depth=2
	s_and_not1_saveexec_b32 s7, s14
; %bb.11247:                            ;   in Loop: Header=BB6_7543 Depth=2
	v_or_b32_e32 v14, 0x7b, v4
; %bb.11248:                            ;   in Loop: Header=BB6_7543 Depth=2
	s_or_b32 exec_lo, exec_lo, s7
                                        ; implicit-def: $vgpr1
                                        ; implicit-def: $vgpr0
.LBB6_11249:                            ;   in Loop: Header=BB6_7543 Depth=2
	s_and_not1_saveexec_b32 s7, s10
	s_cbranch_execz .LBB6_11255
; %bb.11250:                            ;   in Loop: Header=BB6_7543 Depth=2
	s_mov_b32 s10, exec_lo
                                        ; implicit-def: $vgpr14
	v_cmpx_ne_u64_e32 0, v[24:25]
	s_xor_b32 s10, exec_lo, s10
; %bb.11251:                            ;   in Loop: Header=BB6_7543 Depth=2
	v_or_b32_e32 v14, 0x7f, v0
                                        ; implicit-def: $vgpr1
; %bb.11252:                            ;   in Loop: Header=BB6_7543 Depth=2
	s_and_not1_saveexec_b32 s10, s10
; %bb.11253:                            ;   in Loop: Header=BB6_7543 Depth=2
	v_cmp_lt_i32_e32 vcc_lo, -1, v1
	v_cndmask_b32_e32 v14, 0xfc, v41, vcc_lo
; %bb.11254:                            ;   in Loop: Header=BB6_7543 Depth=2
	s_or_b32 exec_lo, exec_lo, s10
.LBB6_11255:                            ;   in Loop: Header=BB6_7543 Depth=2
	s_delay_alu instid0(SALU_CYCLE_1) | instskip(SKIP_4) | instid1(VALU_DEP_2)
	s_or_b32 exec_lo, exec_lo, s7
	v_lshrrev_b32_e32 v2, 16, v16
	v_lshrrev_b32_e32 v0, 16, v12
	s_mov_b32 s10, -1
	s_and_not1_b32 vcc_lo, exec_lo, s13
                                        ; implicit-def: $vgpr3
	v_and_b32_e32 v1, 0xff, v2
	s_delay_alu instid0(VALU_DEP_1)
	v_cmp_ne_u16_e64 s7, 0, v1
	s_cbranch_vccnz .LBB6_11277
; %bb.11256:                            ;   in Loop: Header=BB6_7543 Depth=2
	v_dual_mov_b32 v4, 0 :: v_dual_mov_b32 v3, 0
	s_and_saveexec_b32 s14, s7
	s_cbranch_execz .LBB6_11266
; %bb.11257:                            ;   in Loop: Header=BB6_7543 Depth=2
	v_bfrev_b32_e32 v3, 1
	s_mov_b32 s41, exec_lo
	v_cmpx_ne_u16_e32 0x80, v1
	s_cbranch_execz .LBB6_11265
; %bb.11258:                            ;   in Loop: Header=BB6_7543 Depth=2
	v_and_b32_e32 v3, 0x7c0000, v16
	v_bfe_u32 v5, v16, 16, 2
	s_delay_alu instid0(VALU_DEP_2) | instskip(SKIP_1) | instid1(SALU_CYCLE_1)
	v_cmp_ne_u32_e32 vcc_lo, 0x7c0000, v3
                                        ; implicit-def: $vgpr3
	s_and_saveexec_b32 s10, vcc_lo
	s_xor_b32 s10, exec_lo, s10
	s_cbranch_execz .LBB6_11262
; %bb.11259:                            ;   in Loop: Header=BB6_7543 Depth=2
	v_bfe_u32 v3, v16, 18, 5
	s_mov_b32 s42, exec_lo
	s_delay_alu instid0(VALU_DEP_1)
	v_cmpx_eq_u32_e32 0, v3
; %bb.11260:                            ;   in Loop: Header=BB6_7543 Depth=2
	v_clz_i32_u32_e32 v3, v5
	s_delay_alu instid0(VALU_DEP_1) | instskip(NEXT) | instid1(VALU_DEP_1)
	v_min_u32_e32 v3, 32, v3
	v_subrev_nc_u32_e32 v5, 29, v3
	s_delay_alu instid0(VALU_DEP_1) | instskip(NEXT) | instid1(VALU_DEP_1)
	v_lshlrev_b64_e32 v[112:113], v5, v[2:3]
	v_dual_sub_nc_u32 v3, 30, v3 :: v_dual_bitop2_b32 v5, 3, v112 bitop3:0x40
; %bb.11261:                            ;   in Loop: Header=BB6_7543 Depth=2
	s_or_b32 exec_lo, exec_lo, s42
	v_lshlrev_b32_e32 v15, 24, v2
	s_delay_alu instid0(VALU_DEP_1) | instskip(NEXT) | instid1(VALU_DEP_1)
	v_and_b32_e32 v15, 0x80000000, v15
	v_lshl_add_u32 v3, v3, 23, v15
	s_delay_alu instid0(VALU_DEP_1) | instskip(NEXT) | instid1(VALU_DEP_1)
	v_lshl_or_b32 v3, v5, 21, v3
                                        ; implicit-def: $vgpr5
	v_add_nc_u32_e32 v3, 0x38000000, v3
.LBB6_11262:                            ;   in Loop: Header=BB6_7543 Depth=2
	s_and_not1_saveexec_b32 s42, s10
; %bb.11263:                            ;   in Loop: Header=BB6_7543 Depth=2
	v_bfe_i32 v3, v2, 0, 8
	v_cmp_eq_u32_e32 vcc_lo, 0, v5
	s_delay_alu instid0(VALU_DEP_2) | instskip(NEXT) | instid1(VALU_DEP_1)
	v_cmp_lt_i16_e64 s10, -1, v3
	v_cndmask_b32_e64 v3, 0xff800000, v75, s10
	s_delay_alu instid0(VALU_DEP_1)
	v_cndmask_b32_e32 v3, 0x7f800001, v3, vcc_lo
; %bb.11264:                            ;   in Loop: Header=BB6_7543 Depth=2
	s_or_b32 exec_lo, exec_lo, s42
.LBB6_11265:                            ;   in Loop: Header=BB6_7543 Depth=2
	s_delay_alu instid0(SALU_CYCLE_1)
	s_or_b32 exec_lo, exec_lo, s41
.LBB6_11266:                            ;   in Loop: Header=BB6_7543 Depth=2
	s_delay_alu instid0(SALU_CYCLE_1) | instskip(SKIP_2) | instid1(VALU_DEP_1)
	s_or_b32 exec_lo, exec_lo, s14
	v_and_b32_e32 v5, 0xff, v0
	s_mov_b32 s14, exec_lo
	v_cmpx_ne_u16_e32 0, v5
	s_cbranch_execz .LBB6_11276
; %bb.11267:                            ;   in Loop: Header=BB6_7543 Depth=2
	v_bfrev_b32_e32 v4, 1
	s_mov_b32 s41, exec_lo
	v_cmpx_ne_u16_e32 0x80, v5
	s_cbranch_execz .LBB6_11275
; %bb.11268:                            ;   in Loop: Header=BB6_7543 Depth=2
	v_and_b32_e32 v4, 0x7c0000, v12
	v_bfe_u32 v5, v12, 16, 2
	s_delay_alu instid0(VALU_DEP_2) | instskip(SKIP_1) | instid1(SALU_CYCLE_1)
	v_cmp_ne_u32_e32 vcc_lo, 0x7c0000, v4
                                        ; implicit-def: $vgpr4
	s_and_saveexec_b32 s10, vcc_lo
	s_xor_b32 s10, exec_lo, s10
	s_cbranch_execz .LBB6_11272
; %bb.11269:                            ;   in Loop: Header=BB6_7543 Depth=2
	v_bfe_u32 v4, v12, 18, 5
	s_mov_b32 s42, exec_lo
	s_delay_alu instid0(VALU_DEP_1)
	v_cmpx_eq_u32_e32 0, v4
; %bb.11270:                            ;   in Loop: Header=BB6_7543 Depth=2
	v_clz_i32_u32_e32 v4, v5
	s_delay_alu instid0(VALU_DEP_1) | instskip(NEXT) | instid1(VALU_DEP_1)
	v_min_u32_e32 v4, 32, v4
	v_subrev_nc_u32_e32 v5, 29, v4
	v_sub_nc_u32_e32 v4, 30, v4
	s_delay_alu instid0(VALU_DEP_2) | instskip(NEXT) | instid1(VALU_DEP_1)
	v_lshlrev_b64_e32 v[112:113], v5, v[0:1]
	v_and_b32_e32 v5, 3, v112
; %bb.11271:                            ;   in Loop: Header=BB6_7543 Depth=2
	s_or_b32 exec_lo, exec_lo, s42
	v_lshlrev_b32_e32 v15, 24, v0
	s_delay_alu instid0(VALU_DEP_1) | instskip(NEXT) | instid1(VALU_DEP_1)
	v_and_b32_e32 v15, 0x80000000, v15
	v_lshl_add_u32 v4, v4, 23, v15
	s_delay_alu instid0(VALU_DEP_1) | instskip(NEXT) | instid1(VALU_DEP_1)
	v_lshl_or_b32 v4, v5, 21, v4
                                        ; implicit-def: $vgpr5
	v_add_nc_u32_e32 v4, 0x38000000, v4
.LBB6_11272:                            ;   in Loop: Header=BB6_7543 Depth=2
	s_and_not1_saveexec_b32 s42, s10
; %bb.11273:                            ;   in Loop: Header=BB6_7543 Depth=2
	v_bfe_i32 v4, v0, 0, 8
	v_cmp_eq_u32_e32 vcc_lo, 0, v5
	s_delay_alu instid0(VALU_DEP_2) | instskip(NEXT) | instid1(VALU_DEP_1)
	v_cmp_lt_i16_e64 s10, -1, v4
	v_cndmask_b32_e64 v4, 0xff800000, v75, s10
	s_delay_alu instid0(VALU_DEP_1)
	v_cndmask_b32_e32 v4, 0x7f800001, v4, vcc_lo
; %bb.11274:                            ;   in Loop: Header=BB6_7543 Depth=2
	s_or_b32 exec_lo, exec_lo, s42
.LBB6_11275:                            ;   in Loop: Header=BB6_7543 Depth=2
	s_delay_alu instid0(SALU_CYCLE_1)
	s_or_b32 exec_lo, exec_lo, s41
.LBB6_11276:                            ;   in Loop: Header=BB6_7543 Depth=2
	s_delay_alu instid0(SALU_CYCLE_1) | instskip(NEXT) | instid1(VALU_DEP_1)
	s_or_b32 exec_lo, exec_lo, s14
	v_dual_max_num_f32 v4, v4, v4 :: v_dual_max_num_f32 v3, v3, v3
	s_mov_b32 s10, 0
	s_delay_alu instid0(VALU_DEP_1)
	v_max_num_f32_e32 v3, v3, v4
.LBB6_11277:                            ;   in Loop: Header=BB6_7543 Depth=2
	s_and_b32 vcc_lo, exec_lo, s10
	s_cbranch_vccz .LBB6_11299
; %bb.11278:                            ;   in Loop: Header=BB6_7543 Depth=2
	v_dual_mov_b32 v4, 0 :: v_dual_mov_b32 v3, 0
	s_and_saveexec_b32 s10, s7
	s_cbranch_execz .LBB6_11288
; %bb.11279:                            ;   in Loop: Header=BB6_7543 Depth=2
	v_bfrev_b32_e32 v3, 1
	s_mov_b32 s14, exec_lo
	v_cmpx_ne_u16_e32 0x80, v1
	s_cbranch_execz .LBB6_11287
; %bb.11280:                            ;   in Loop: Header=BB6_7543 Depth=2
	v_and_b32_e32 v3, 0x7c0000, v16
	v_bfe_u32 v1, v16, 16, 2
	s_delay_alu instid0(VALU_DEP_2) | instskip(SKIP_1) | instid1(SALU_CYCLE_1)
	v_cmp_ne_u32_e32 vcc_lo, 0x7c0000, v3
                                        ; implicit-def: $vgpr3
	s_and_saveexec_b32 s7, vcc_lo
	s_xor_b32 s7, exec_lo, s7
	s_cbranch_execz .LBB6_11284
; %bb.11281:                            ;   in Loop: Header=BB6_7543 Depth=2
	v_bfe_u32 v3, v16, 18, 5
	s_mov_b32 s41, exec_lo
	s_delay_alu instid0(VALU_DEP_1)
	v_cmpx_eq_u32_e32 0, v3
; %bb.11282:                            ;   in Loop: Header=BB6_7543 Depth=2
	v_clz_i32_u32_e32 v1, v1
	s_delay_alu instid0(VALU_DEP_1) | instskip(NEXT) | instid1(VALU_DEP_1)
	v_min_u32_e32 v1, 32, v1
	v_subrev_nc_u32_e32 v3, 29, v1
	s_delay_alu instid0(VALU_DEP_1) | instskip(NEXT) | instid1(VALU_DEP_1)
	v_lshlrev_b64_e32 v[112:113], v3, v[2:3]
	v_dual_sub_nc_u32 v3, 30, v1 :: v_dual_bitop2_b32 v1, 3, v112 bitop3:0x40
; %bb.11283:                            ;   in Loop: Header=BB6_7543 Depth=2
	s_or_b32 exec_lo, exec_lo, s41
	v_lshlrev_b32_e32 v2, 24, v2
	s_delay_alu instid0(VALU_DEP_1) | instskip(NEXT) | instid1(VALU_DEP_1)
	v_and_b32_e32 v2, 0x80000000, v2
	v_lshl_add_u32 v2, v3, 23, v2
	s_delay_alu instid0(VALU_DEP_1) | instskip(NEXT) | instid1(VALU_DEP_1)
	v_lshl_or_b32 v1, v1, 21, v2
                                        ; implicit-def: $vgpr2
	v_add_nc_u32_e32 v3, 0x38000000, v1
                                        ; implicit-def: $vgpr1
.LBB6_11284:                            ;   in Loop: Header=BB6_7543 Depth=2
	s_and_not1_saveexec_b32 s41, s7
; %bb.11285:                            ;   in Loop: Header=BB6_7543 Depth=2
	v_bfe_i32 v2, v2, 0, 8
	v_cmp_eq_u32_e32 vcc_lo, 0, v1
	s_delay_alu instid0(VALU_DEP_2) | instskip(NEXT) | instid1(VALU_DEP_1)
	v_cmp_lt_i16_e64 s7, -1, v2
	v_cndmask_b32_e64 v1, 0xff800000, v75, s7
	s_delay_alu instid0(VALU_DEP_1)
	v_cndmask_b32_e32 v3, 0x7f800001, v1, vcc_lo
; %bb.11286:                            ;   in Loop: Header=BB6_7543 Depth=2
	s_or_b32 exec_lo, exec_lo, s41
.LBB6_11287:                            ;   in Loop: Header=BB6_7543 Depth=2
	s_delay_alu instid0(SALU_CYCLE_1)
	s_or_b32 exec_lo, exec_lo, s14
.LBB6_11288:                            ;   in Loop: Header=BB6_7543 Depth=2
	s_delay_alu instid0(SALU_CYCLE_1) | instskip(SKIP_2) | instid1(VALU_DEP_1)
	s_or_b32 exec_lo, exec_lo, s10
	v_and_b32_e32 v1, 0xff, v0
	s_mov_b32 s10, exec_lo
	v_cmpx_ne_u16_e32 0, v1
	s_cbranch_execz .LBB6_11298
; %bb.11289:                            ;   in Loop: Header=BB6_7543 Depth=2
	v_bfrev_b32_e32 v4, 1
	s_mov_b32 s14, exec_lo
	v_cmpx_ne_u16_e32 0x80, v1
	s_cbranch_execz .LBB6_11297
; %bb.11290:                            ;   in Loop: Header=BB6_7543 Depth=2
	v_and_b32_e32 v2, 0x7c0000, v12
	v_bfe_u32 v1, v12, 16, 2
	s_mov_b32 s7, exec_lo
                                        ; implicit-def: $vgpr4
	s_delay_alu instid0(VALU_DEP_2)
	v_cmpx_ne_u32_e32 0x7c0000, v2
	s_xor_b32 s7, exec_lo, s7
	s_cbranch_execz .LBB6_11294
; %bb.11291:                            ;   in Loop: Header=BB6_7543 Depth=2
	v_bfe_u32 v2, v12, 18, 5
	s_mov_b32 s41, exec_lo
	s_delay_alu instid0(VALU_DEP_1)
	v_cmpx_eq_u32_e32 0, v2
; %bb.11292:                            ;   in Loop: Header=BB6_7543 Depth=2
	v_clz_i32_u32_e32 v1, v1
	s_delay_alu instid0(VALU_DEP_1) | instskip(NEXT) | instid1(VALU_DEP_1)
	v_min_u32_e32 v1, 32, v1
	v_subrev_nc_u32_e32 v2, 29, v1
	s_delay_alu instid0(VALU_DEP_1) | instskip(NEXT) | instid1(VALU_DEP_1)
	v_lshlrev_b64_e32 v[4:5], v2, v[0:1]
	v_dual_sub_nc_u32 v2, 30, v1 :: v_dual_bitop2_b32 v1, 3, v4 bitop3:0x40
; %bb.11293:                            ;   in Loop: Header=BB6_7543 Depth=2
	s_or_b32 exec_lo, exec_lo, s41
	v_lshlrev_b32_e32 v0, 24, v0
	s_delay_alu instid0(VALU_DEP_1) | instskip(NEXT) | instid1(VALU_DEP_1)
	v_and_b32_e32 v0, 0x80000000, v0
	v_lshl_add_u32 v0, v2, 23, v0
	s_delay_alu instid0(VALU_DEP_1) | instskip(NEXT) | instid1(VALU_DEP_1)
	v_lshl_or_b32 v0, v1, 21, v0
                                        ; implicit-def: $vgpr1
	v_add_nc_u32_e32 v4, 0x38000000, v0
                                        ; implicit-def: $vgpr0
.LBB6_11294:                            ;   in Loop: Header=BB6_7543 Depth=2
	s_and_not1_saveexec_b32 s41, s7
; %bb.11295:                            ;   in Loop: Header=BB6_7543 Depth=2
	v_bfe_i32 v0, v0, 0, 8
	v_cmp_eq_u32_e32 vcc_lo, 0, v1
	s_delay_alu instid0(VALU_DEP_2) | instskip(NEXT) | instid1(VALU_DEP_1)
	v_cmp_lt_i16_e64 s7, -1, v0
	v_cndmask_b32_e64 v0, 0xff800000, v75, s7
	s_delay_alu instid0(VALU_DEP_1)
	v_cndmask_b32_e32 v4, 0x7f800001, v0, vcc_lo
; %bb.11296:                            ;   in Loop: Header=BB6_7543 Depth=2
	s_or_b32 exec_lo, exec_lo, s41
.LBB6_11297:                            ;   in Loop: Header=BB6_7543 Depth=2
	s_delay_alu instid0(SALU_CYCLE_1)
	s_or_b32 exec_lo, exec_lo, s14
.LBB6_11298:                            ;   in Loop: Header=BB6_7543 Depth=2
	s_delay_alu instid0(SALU_CYCLE_1) | instskip(NEXT) | instid1(VALU_DEP_1)
	s_or_b32 exec_lo, exec_lo, s10
	v_dual_max_num_f32 v0, v4, v4 :: v_dual_max_num_f32 v1, v3, v3
	s_delay_alu instid0(VALU_DEP_1)
	v_min_num_f32_e32 v3, v1, v0
.LBB6_11299:                            ;   in Loop: Header=BB6_7543 Depth=2
	s_delay_alu instid0(VALU_DEP_1) | instskip(SKIP_2) | instid1(VALU_DEP_2)
	v_and_b32_e32 v0, 0x7f800000, v3
	v_mov_b32_e32 v1, v25
	v_and_b32_e32 v24, 0x7fffff, v3
                                        ; implicit-def: $vgpr15
	v_cmp_ne_u64_e32 vcc_lo, 0x7f800000, v[0:1]
	v_lshrrev_b32_e32 v0, 24, v3
	s_and_saveexec_b32 s7, vcc_lo
	s_delay_alu instid0(SALU_CYCLE_1)
	s_xor_b32 s10, exec_lo, s7
	s_cbranch_execz .LBB6_11313
; %bb.11300:                            ;   in Loop: Header=BB6_7543 Depth=2
	v_and_b32_e32 v4, 0x7fffffff, v3
	v_mov_b32_e32 v5, v25
                                        ; implicit-def: $vgpr15
	s_delay_alu instid0(VALU_DEP_1) | instskip(SKIP_2) | instid1(SALU_CYCLE_1)
	v_cmp_gt_u64_e32 vcc_lo, 0x47600001, v[4:5]
	v_and_b32_e32 v4, 0x80, v0
	s_and_saveexec_b32 s7, vcc_lo
	s_xor_b32 s14, exec_lo, s7
	s_cbranch_execz .LBB6_11310
; %bb.11301:                            ;   in Loop: Header=BB6_7543 Depth=2
	v_mov_b32_e32 v15, 0
	s_mov_b32 s41, exec_lo
	v_cmpx_ne_u32_e32 0, v3
	s_cbranch_execz .LBB6_11309
; %bb.11302:                            ;   in Loop: Header=BB6_7543 Depth=2
	v_bfe_u32 v5, v3, 23, 8
	v_or_b32_e32 v1, 0x800000, v24
	s_delay_alu instid0(VALU_DEP_2) | instskip(SKIP_2) | instid1(VALU_DEP_2)
	v_cmp_gt_u32_e64 s7, 0x72, v5
	v_sub_nc_u32_e32 v0, 0x71, v5
	v_cmp_eq_u32_e32 vcc_lo, 0, v5
	v_cndmask_b32_e64 v0, 0, v0, s7
	s_delay_alu instid0(VALU_DEP_1) | instskip(NEXT) | instid1(VALU_DEP_1)
	v_cndmask_b32_e64 v15, v0, 0x70, vcc_lo
	v_dual_cndmask_b32 v24, v1, v24, vcc_lo :: v_dual_add_nc_u32 v0, 21, v15
	v_add_nc_u32_e32 v2, 20, v15
	s_delay_alu instid0(VALU_DEP_2) | instskip(NEXT) | instid1(VALU_DEP_2)
	v_lshlrev_b64_e64 v[0:1], v0, -1
	v_lshlrev_b64_e64 v[2:3], v2, 1
	s_delay_alu instid0(VALU_DEP_2) | instskip(NEXT) | instid1(VALU_DEP_3)
	v_bfi_b32 v1, v1, 0, 0
	v_bfi_b32 v0, v0, 0, v24
	s_delay_alu instid0(VALU_DEP_1) | instskip(SKIP_1) | instid1(VALU_DEP_1)
	v_cmp_eq_u64_e64 s7, v[0:1], v[2:3]
	v_lshrrev_b64 v[0:1], v15, v[24:25]
	v_mov_b64_e32 v[2:3], v[0:1]
	s_and_saveexec_b32 s42, s7
; %bb.11303:                            ;   in Loop: Header=BB6_7543 Depth=2
	v_bfe_u32 v24, v0, 21, 1
	s_delay_alu instid0(VALU_DEP_1) | instskip(NEXT) | instid1(VALU_DEP_1)
	v_add_nc_u64_e32 v[2:3], v[0:1], v[24:25]
	v_add_nc_u64_e32 v[2:3], -1, v[2:3]
; %bb.11304:                            ;   in Loop: Header=BB6_7543 Depth=2
	s_or_b32 exec_lo, exec_lo, s42
	v_add_nc_u32_e32 v1, 0xffffff81, v5
	v_lshrrev_b32_e32 v3, 23, v0
	s_mov_b32 s7, exec_lo
	s_delay_alu instid0(VALU_DEP_2) | instskip(NEXT) | instid1(VALU_DEP_1)
	v_cndmask_b32_e64 v1, v1, 0xffffff82, vcc_lo
	v_add3_u32 v5, v15, v1, v3
	v_and_b32_e32 v1, 0x1fffff, v2
                                        ; implicit-def: $vgpr2
	s_delay_alu instid0(VALU_DEP_1) | instskip(NEXT) | instid1(VALU_DEP_1)
	v_dual_add_nc_u32 v3, 14, v5 :: v_dual_add_nc_u32 v24, v1, v0
                                        ; implicit-def: $vgpr0_vgpr1
	v_cmpx_ne_u32_e32 0, v3
	s_xor_b32 s7, exec_lo, s7
; %bb.11305:                            ;   in Loop: Header=BB6_7543 Depth=2
	s_delay_alu instid0(VALU_DEP_2) | instskip(SKIP_1) | instid1(VALU_DEP_1)
	v_cmp_lt_u64_e32 vcc_lo, 0xffffff, v[24:25]
	v_add_nc_u32_e32 v0, 15, v5
	v_cndmask_b32_e32 v2, v3, v0, vcc_lo
	v_cndmask_b32_e64 v0, 0, 1, vcc_lo
	s_delay_alu instid0(VALU_DEP_1)
	v_lshrrev_b64 v[0:1], v0, v[24:25]
; %bb.11306:                            ;   in Loop: Header=BB6_7543 Depth=2
	s_and_not1_saveexec_b32 s7, s7
; %bb.11307:                            ;   in Loop: Header=BB6_7543 Depth=2
	v_mov_b64_e32 v[0:1], v[24:25]
	v_bfe_u32 v2, v24, 23, 1
; %bb.11308:                            ;   in Loop: Header=BB6_7543 Depth=2
	s_or_b32 exec_lo, exec_lo, s7
	s_delay_alu instid0(VALU_DEP_2) | instskip(NEXT) | instid1(VALU_DEP_2)
	v_lshrrev_b64 v[0:1], 21, v[0:1]
	v_cmp_gt_i32_e32 vcc_lo, 32, v2
	v_min_i32_e32 v3, 31, v2
	v_cmp_eq_u32_e64 s7, 0, v2
	s_delay_alu instid0(VALU_DEP_2) | instskip(SKIP_1) | instid1(VALU_DEP_2)
	v_dual_cndmask_b32 v1, 0, v1, vcc_lo :: v_dual_lshlrev_b32 v3, 2, v3
	v_cndmask_b32_e32 v0, 3, v0, vcc_lo
	v_and_b32_e32 v3, 0xfc, v3
	s_delay_alu instid0(VALU_DEP_2) | instskip(NEXT) | instid1(VALU_DEP_2)
	v_cmp_eq_u64_e32 vcc_lo, 0, v[0:1]
	v_and_or_b32 v0, v0, 3, v3
	s_and_b32 s7, s7, vcc_lo
	s_delay_alu instid0(VALU_DEP_1) | instid1(SALU_CYCLE_1)
	v_cndmask_b32_e64 v0, v0, 0, s7
	s_delay_alu instid0(VALU_DEP_1)
	v_or_b32_e32 v15, v0, v4
.LBB6_11309:                            ;   in Loop: Header=BB6_7543 Depth=2
	s_or_b32 exec_lo, exec_lo, s41
                                        ; implicit-def: $vgpr4
.LBB6_11310:                            ;   in Loop: Header=BB6_7543 Depth=2
	s_and_not1_saveexec_b32 s7, s14
; %bb.11311:                            ;   in Loop: Header=BB6_7543 Depth=2
	v_or_b32_e32 v15, 0x7b, v4
; %bb.11312:                            ;   in Loop: Header=BB6_7543 Depth=2
	s_or_b32 exec_lo, exec_lo, s7
                                        ; implicit-def: $vgpr3
                                        ; implicit-def: $vgpr0
.LBB6_11313:                            ;   in Loop: Header=BB6_7543 Depth=2
	s_and_not1_saveexec_b32 s7, s10
	s_cbranch_execz .LBB6_11319
; %bb.11314:                            ;   in Loop: Header=BB6_7543 Depth=2
	s_mov_b32 s10, exec_lo
                                        ; implicit-def: $vgpr15
	v_cmpx_ne_u64_e32 0, v[24:25]
	s_xor_b32 s10, exec_lo, s10
; %bb.11315:                            ;   in Loop: Header=BB6_7543 Depth=2
	v_or_b32_e32 v15, 0x7f, v0
                                        ; implicit-def: $vgpr3
; %bb.11316:                            ;   in Loop: Header=BB6_7543 Depth=2
	s_and_not1_saveexec_b32 s10, s10
; %bb.11317:                            ;   in Loop: Header=BB6_7543 Depth=2
	v_cmp_lt_i32_e32 vcc_lo, -1, v3
	v_cndmask_b32_e32 v15, 0xfc, v41, vcc_lo
; %bb.11318:                            ;   in Loop: Header=BB6_7543 Depth=2
	s_or_b32 exec_lo, exec_lo, s10
.LBB6_11319:                            ;   in Loop: Header=BB6_7543 Depth=2
	s_delay_alu instid0(SALU_CYCLE_1)
	s_or_b32 exec_lo, exec_lo, s7
	v_lshrrev_b32_e32 v2, 24, v16
	v_lshrrev_b32_e32 v0, 24, v12
	v_cmp_lt_u32_e64 s7, 0xffffff, v16
	s_mov_b32 s10, -1
	s_and_not1_b32 vcc_lo, exec_lo, s13
                                        ; implicit-def: $vgpr1
	s_cbranch_vccnz .LBB6_11341
; %bb.11320:                            ;   in Loop: Header=BB6_7543 Depth=2
	v_dual_mov_b32 v3, 0 :: v_dual_mov_b32 v1, 0
	s_and_saveexec_b32 s14, s7
	s_cbranch_execz .LBB6_11330
; %bb.11321:                            ;   in Loop: Header=BB6_7543 Depth=2
	v_bfrev_b32_e32 v1, 1
	s_mov_b32 s41, exec_lo
	v_cmpx_ne_u32_e32 0x80, v2
	s_cbranch_execz .LBB6_11329
; %bb.11322:                            ;   in Loop: Header=BB6_7543 Depth=2
	v_and_b32_e32 v1, 0x7c000000, v16
	v_bfe_u32 v4, v16, 24, 2
	s_delay_alu instid0(VALU_DEP_2) | instskip(SKIP_1) | instid1(SALU_CYCLE_1)
	v_cmp_ne_u32_e32 vcc_lo, 0x7c000000, v1
                                        ; implicit-def: $vgpr1
	s_and_saveexec_b32 s10, vcc_lo
	s_xor_b32 s10, exec_lo, s10
	s_cbranch_execz .LBB6_11326
; %bb.11323:                            ;   in Loop: Header=BB6_7543 Depth=2
	v_bfe_u32 v1, v16, 26, 5
	s_mov_b32 s42, exec_lo
	s_delay_alu instid0(VALU_DEP_1)
	v_cmpx_eq_u32_e32 0, v1
; %bb.11324:                            ;   in Loop: Header=BB6_7543 Depth=2
	v_clz_i32_u32_e32 v1, v4
	s_delay_alu instid0(VALU_DEP_1) | instskip(NEXT) | instid1(VALU_DEP_1)
	v_min_u32_e32 v1, 32, v1
	v_subrev_nc_u32_e32 v4, 29, v1
	s_delay_alu instid0(VALU_DEP_1) | instskip(NEXT) | instid1(VALU_DEP_1)
	v_lshlrev_b64_e32 v[4:5], v4, v[2:3]
	v_dual_sub_nc_u32 v1, 30, v1 :: v_dual_bitop2_b32 v4, 3, v4 bitop3:0x40
; %bb.11325:                            ;   in Loop: Header=BB6_7543 Depth=2
	s_or_b32 exec_lo, exec_lo, s42
	v_and_b32_e32 v5, 0x80000000, v16
	s_delay_alu instid0(VALU_DEP_1) | instskip(NEXT) | instid1(VALU_DEP_1)
	v_lshl_add_u32 v1, v1, 23, v5
	v_lshl_or_b32 v1, v4, 21, v1
                                        ; implicit-def: $vgpr4
	s_delay_alu instid0(VALU_DEP_1)
	v_add_nc_u32_e32 v1, 0x38000000, v1
.LBB6_11326:                            ;   in Loop: Header=BB6_7543 Depth=2
	s_and_not1_saveexec_b32 s42, s10
; %bb.11327:                            ;   in Loop: Header=BB6_7543 Depth=2
	v_cmp_lt_i32_e64 s10, -1, v16
	v_cmp_eq_u32_e32 vcc_lo, 0, v4
	s_delay_alu instid0(VALU_DEP_2) | instskip(NEXT) | instid1(VALU_DEP_1)
	v_cndmask_b32_e64 v1, 0xff800000, v75, s10
	v_cndmask_b32_e32 v1, 0x7f800001, v1, vcc_lo
; %bb.11328:                            ;   in Loop: Header=BB6_7543 Depth=2
	s_or_b32 exec_lo, exec_lo, s42
.LBB6_11329:                            ;   in Loop: Header=BB6_7543 Depth=2
	s_delay_alu instid0(SALU_CYCLE_1)
	s_or_b32 exec_lo, exec_lo, s41
.LBB6_11330:                            ;   in Loop: Header=BB6_7543 Depth=2
	s_delay_alu instid0(SALU_CYCLE_1) | instskip(NEXT) | instid1(SALU_CYCLE_1)
	s_or_b32 exec_lo, exec_lo, s14
	s_mov_b32 s14, exec_lo
	v_cmpx_lt_u32_e32 0xffffff, v12
	s_cbranch_execz .LBB6_11340
; %bb.11331:                            ;   in Loop: Header=BB6_7543 Depth=2
	v_bfrev_b32_e32 v3, 1
	s_mov_b32 s41, exec_lo
	v_cmpx_ne_u32_e32 0x80, v0
	s_cbranch_execz .LBB6_11339
; %bb.11332:                            ;   in Loop: Header=BB6_7543 Depth=2
	v_and_b32_e32 v3, 0x7c000000, v12
	v_bfe_u32 v4, v12, 24, 2
	s_delay_alu instid0(VALU_DEP_2) | instskip(SKIP_1) | instid1(SALU_CYCLE_1)
	v_cmp_ne_u32_e32 vcc_lo, 0x7c000000, v3
                                        ; implicit-def: $vgpr3
	s_and_saveexec_b32 s10, vcc_lo
	s_xor_b32 s10, exec_lo, s10
	s_cbranch_execz .LBB6_11336
; %bb.11333:                            ;   in Loop: Header=BB6_7543 Depth=2
	v_bfe_u32 v3, v12, 26, 5
	s_mov_b32 s42, exec_lo
	s_delay_alu instid0(VALU_DEP_1)
	v_cmpx_eq_u32_e32 0, v3
; %bb.11334:                            ;   in Loop: Header=BB6_7543 Depth=2
	v_clz_i32_u32_e32 v3, v4
	s_delay_alu instid0(VALU_DEP_1) | instskip(NEXT) | instid1(VALU_DEP_1)
	v_min_u32_e32 v3, 32, v3
	v_subrev_nc_u32_e32 v4, 29, v3
	s_delay_alu instid0(VALU_DEP_1) | instskip(NEXT) | instid1(VALU_DEP_1)
	v_lshlrev_b64_e32 v[4:5], v4, v[0:1]
	v_dual_sub_nc_u32 v3, 30, v3 :: v_dual_bitop2_b32 v4, 3, v4 bitop3:0x40
; %bb.11335:                            ;   in Loop: Header=BB6_7543 Depth=2
	s_or_b32 exec_lo, exec_lo, s42
	v_and_b32_e32 v5, 0x80000000, v12
	s_delay_alu instid0(VALU_DEP_1) | instskip(NEXT) | instid1(VALU_DEP_1)
	v_lshl_add_u32 v3, v3, 23, v5
	v_lshl_or_b32 v3, v4, 21, v3
                                        ; implicit-def: $vgpr4
	s_delay_alu instid0(VALU_DEP_1)
	v_add_nc_u32_e32 v3, 0x38000000, v3
.LBB6_11336:                            ;   in Loop: Header=BB6_7543 Depth=2
	s_and_not1_saveexec_b32 s42, s10
; %bb.11337:                            ;   in Loop: Header=BB6_7543 Depth=2
	v_cmp_lt_i32_e64 s10, -1, v12
	v_cmp_eq_u32_e32 vcc_lo, 0, v4
	s_delay_alu instid0(VALU_DEP_2) | instskip(NEXT) | instid1(VALU_DEP_1)
	v_cndmask_b32_e64 v3, 0xff800000, v75, s10
	v_cndmask_b32_e32 v3, 0x7f800001, v3, vcc_lo
; %bb.11338:                            ;   in Loop: Header=BB6_7543 Depth=2
	s_or_b32 exec_lo, exec_lo, s42
.LBB6_11339:                            ;   in Loop: Header=BB6_7543 Depth=2
	s_delay_alu instid0(SALU_CYCLE_1)
	s_or_b32 exec_lo, exec_lo, s41
.LBB6_11340:                            ;   in Loop: Header=BB6_7543 Depth=2
	s_delay_alu instid0(SALU_CYCLE_1) | instskip(NEXT) | instid1(VALU_DEP_1)
	s_or_b32 exec_lo, exec_lo, s14
	v_dual_max_num_f32 v3, v3, v3 :: v_dual_max_num_f32 v1, v1, v1
	s_mov_b32 s10, 0
	s_delay_alu instid0(VALU_DEP_1)
	v_max_num_f32_e32 v1, v1, v3
.LBB6_11341:                            ;   in Loop: Header=BB6_7543 Depth=2
	s_and_b32 vcc_lo, exec_lo, s10
	s_cbranch_vccz .LBB6_11363
; %bb.11342:                            ;   in Loop: Header=BB6_7543 Depth=2
	v_dual_mov_b32 v3, 0 :: v_dual_mov_b32 v1, 0
	s_and_saveexec_b32 s10, s7
	s_cbranch_execz .LBB6_11352
; %bb.11343:                            ;   in Loop: Header=BB6_7543 Depth=2
	v_bfrev_b32_e32 v1, 1
	s_mov_b32 s14, exec_lo
	v_cmpx_ne_u32_e32 0x80, v2
	s_cbranch_execz .LBB6_11351
; %bb.11344:                            ;   in Loop: Header=BB6_7543 Depth=2
	v_and_b32_e32 v1, 0x7c000000, v16
	v_bfe_u32 v4, v16, 24, 2
	s_delay_alu instid0(VALU_DEP_2) | instskip(SKIP_1) | instid1(SALU_CYCLE_1)
	v_cmp_ne_u32_e32 vcc_lo, 0x7c000000, v1
                                        ; implicit-def: $vgpr1
	s_and_saveexec_b32 s7, vcc_lo
	s_xor_b32 s7, exec_lo, s7
	s_cbranch_execz .LBB6_11348
; %bb.11345:                            ;   in Loop: Header=BB6_7543 Depth=2
	v_bfe_u32 v1, v16, 26, 5
	s_mov_b32 s41, exec_lo
	s_delay_alu instid0(VALU_DEP_1)
	v_cmpx_eq_u32_e32 0, v1
; %bb.11346:                            ;   in Loop: Header=BB6_7543 Depth=2
	v_clz_i32_u32_e32 v1, v4
	s_delay_alu instid0(VALU_DEP_1) | instskip(NEXT) | instid1(VALU_DEP_1)
	v_min_u32_e32 v1, 32, v1
	v_subrev_nc_u32_e32 v4, 29, v1
	s_delay_alu instid0(VALU_DEP_1) | instskip(NEXT) | instid1(VALU_DEP_1)
	v_lshlrev_b64_e32 v[4:5], v4, v[2:3]
	v_dual_sub_nc_u32 v1, 30, v1 :: v_dual_bitop2_b32 v4, 3, v4 bitop3:0x40
; %bb.11347:                            ;   in Loop: Header=BB6_7543 Depth=2
	s_or_b32 exec_lo, exec_lo, s41
	v_and_b32_e32 v2, 0x80000000, v16
	s_delay_alu instid0(VALU_DEP_1) | instskip(NEXT) | instid1(VALU_DEP_1)
	v_lshl_add_u32 v1, v1, 23, v2
	v_lshl_or_b32 v1, v4, 21, v1
                                        ; implicit-def: $vgpr4
	s_delay_alu instid0(VALU_DEP_1)
	v_add_nc_u32_e32 v1, 0x38000000, v1
.LBB6_11348:                            ;   in Loop: Header=BB6_7543 Depth=2
	s_and_not1_saveexec_b32 s41, s7
; %bb.11349:                            ;   in Loop: Header=BB6_7543 Depth=2
	v_cmp_lt_i32_e64 s7, -1, v16
	v_cmp_eq_u32_e32 vcc_lo, 0, v4
	s_delay_alu instid0(VALU_DEP_2) | instskip(NEXT) | instid1(VALU_DEP_1)
	v_cndmask_b32_e64 v1, 0xff800000, v75, s7
	v_cndmask_b32_e32 v1, 0x7f800001, v1, vcc_lo
; %bb.11350:                            ;   in Loop: Header=BB6_7543 Depth=2
	s_or_b32 exec_lo, exec_lo, s41
.LBB6_11351:                            ;   in Loop: Header=BB6_7543 Depth=2
	s_delay_alu instid0(SALU_CYCLE_1)
	s_or_b32 exec_lo, exec_lo, s14
.LBB6_11352:                            ;   in Loop: Header=BB6_7543 Depth=2
	s_delay_alu instid0(SALU_CYCLE_1) | instskip(NEXT) | instid1(SALU_CYCLE_1)
	s_or_b32 exec_lo, exec_lo, s10
	s_mov_b32 s10, exec_lo
	v_cmpx_lt_u32_e32 0xffffff, v12
	s_cbranch_execz .LBB6_11362
; %bb.11353:                            ;   in Loop: Header=BB6_7543 Depth=2
	v_bfrev_b32_e32 v3, 1
	s_mov_b32 s14, exec_lo
	v_cmpx_ne_u32_e32 0x80, v0
	s_cbranch_execz .LBB6_11361
; %bb.11354:                            ;   in Loop: Header=BB6_7543 Depth=2
	v_and_b32_e32 v3, 0x7c000000, v12
	v_bfe_u32 v2, v12, 24, 2
	s_delay_alu instid0(VALU_DEP_2) | instskip(SKIP_1) | instid1(SALU_CYCLE_1)
	v_cmp_ne_u32_e32 vcc_lo, 0x7c000000, v3
                                        ; implicit-def: $vgpr3
	s_and_saveexec_b32 s7, vcc_lo
	s_xor_b32 s7, exec_lo, s7
	s_cbranch_execz .LBB6_11358
; %bb.11355:                            ;   in Loop: Header=BB6_7543 Depth=2
	v_bfe_u32 v3, v12, 26, 5
	s_mov_b32 s41, exec_lo
	s_delay_alu instid0(VALU_DEP_1)
	v_cmpx_eq_u32_e32 0, v3
; %bb.11356:                            ;   in Loop: Header=BB6_7543 Depth=2
	v_clz_i32_u32_e32 v2, v2
	s_delay_alu instid0(VALU_DEP_1) | instskip(NEXT) | instid1(VALU_DEP_1)
	v_min_u32_e32 v4, 32, v2
	v_subrev_nc_u32_e32 v2, 29, v4
	s_delay_alu instid0(VALU_DEP_1) | instskip(NEXT) | instid1(VALU_DEP_1)
	v_lshlrev_b64_e32 v[2:3], v2, v[0:1]
	v_dual_sub_nc_u32 v3, 30, v4 :: v_dual_bitop2_b32 v2, 3, v2 bitop3:0x40
; %bb.11357:                            ;   in Loop: Header=BB6_7543 Depth=2
	s_or_b32 exec_lo, exec_lo, s41
	v_and_b32_e32 v0, 0x80000000, v12
	s_delay_alu instid0(VALU_DEP_1) | instskip(NEXT) | instid1(VALU_DEP_1)
	v_lshl_add_u32 v0, v3, 23, v0
	v_lshl_or_b32 v0, v2, 21, v0
                                        ; implicit-def: $vgpr2
	s_delay_alu instid0(VALU_DEP_1)
	v_add_nc_u32_e32 v3, 0x38000000, v0
.LBB6_11358:                            ;   in Loop: Header=BB6_7543 Depth=2
	s_and_not1_saveexec_b32 s41, s7
; %bb.11359:                            ;   in Loop: Header=BB6_7543 Depth=2
	v_cmp_lt_i32_e64 s7, -1, v12
	v_cmp_eq_u32_e32 vcc_lo, 0, v2
	s_delay_alu instid0(VALU_DEP_2) | instskip(NEXT) | instid1(VALU_DEP_1)
	v_cndmask_b32_e64 v0, 0xff800000, v75, s7
	v_cndmask_b32_e32 v3, 0x7f800001, v0, vcc_lo
; %bb.11360:                            ;   in Loop: Header=BB6_7543 Depth=2
	s_or_b32 exec_lo, exec_lo, s41
.LBB6_11361:                            ;   in Loop: Header=BB6_7543 Depth=2
	s_delay_alu instid0(SALU_CYCLE_1)
	s_or_b32 exec_lo, exec_lo, s14
.LBB6_11362:                            ;   in Loop: Header=BB6_7543 Depth=2
	s_delay_alu instid0(SALU_CYCLE_1) | instskip(NEXT) | instid1(VALU_DEP_1)
	s_or_b32 exec_lo, exec_lo, s10
	v_dual_max_num_f32 v0, v3, v3 :: v_dual_max_num_f32 v1, v1, v1
	s_delay_alu instid0(VALU_DEP_1)
	v_min_num_f32_e32 v1, v1, v0
.LBB6_11363:                            ;   in Loop: Header=BB6_7543 Depth=2
	s_delay_alu instid0(VALU_DEP_1) | instskip(SKIP_3) | instid1(VALU_DEP_2)
	v_and_b32_e32 v2, 0x7f800000, v1
	v_dual_mov_b32 v3, v25 :: v_dual_lshrrev_b32 v0, 24, v1
	v_and_b32_e32 v24, 0x7fffff, v1
                                        ; implicit-def: $vgpr112
	s_mov_b32 s7, exec_lo
	v_cmpx_ne_u64_e32 0x7f800000, v[2:3]
	s_xor_b32 s10, exec_lo, s7
	s_cbranch_execz .LBB6_11377
; %bb.11364:                            ;   in Loop: Header=BB6_7543 Depth=2
	v_and_b32_e32 v2, 0x7fffffff, v1
	v_mov_b32_e32 v3, v25
	v_and_b32_e32 v4, 0x80, v0
                                        ; implicit-def: $vgpr112
	s_mov_b32 s7, exec_lo
	s_delay_alu instid0(VALU_DEP_2)
	v_cmpx_gt_u64_e32 0x47600001, v[2:3]
	s_xor_b32 s14, exec_lo, s7
	s_cbranch_execz .LBB6_11374
; %bb.11365:                            ;   in Loop: Header=BB6_7543 Depth=2
	v_mov_b32_e32 v112, 0
	s_mov_b32 s41, exec_lo
	v_cmpx_ne_u32_e32 0, v1
	s_cbranch_execz .LBB6_11373
; %bb.11366:                            ;   in Loop: Header=BB6_7543 Depth=2
	v_bfe_u32 v5, v1, 23, 8
	v_or_b32_e32 v1, 0x800000, v24
	s_delay_alu instid0(VALU_DEP_2) | instskip(SKIP_2) | instid1(VALU_DEP_2)
	v_cmp_gt_u32_e64 s7, 0x72, v5
	v_sub_nc_u32_e32 v0, 0x71, v5
	v_cmp_eq_u32_e32 vcc_lo, 0, v5
	v_cndmask_b32_e64 v0, 0, v0, s7
	v_cndmask_b32_e32 v24, v1, v24, vcc_lo
	s_delay_alu instid0(VALU_DEP_2) | instskip(NEXT) | instid1(VALU_DEP_1)
	v_cndmask_b32_e64 v112, v0, 0x70, vcc_lo
	v_dual_add_nc_u32 v0, 21, v112 :: v_dual_add_nc_u32 v2, 20, v112
	s_delay_alu instid0(VALU_DEP_1) | instskip(NEXT) | instid1(VALU_DEP_2)
	v_lshlrev_b64_e64 v[0:1], v0, -1
	v_lshlrev_b64_e64 v[2:3], v2, 1
	s_delay_alu instid0(VALU_DEP_2) | instskip(NEXT) | instid1(VALU_DEP_3)
	v_bfi_b32 v1, v1, 0, 0
	v_bfi_b32 v0, v0, 0, v24
	s_delay_alu instid0(VALU_DEP_1) | instskip(SKIP_1) | instid1(VALU_DEP_1)
	v_cmp_eq_u64_e64 s7, v[0:1], v[2:3]
	v_lshrrev_b64 v[0:1], v112, v[24:25]
	v_mov_b64_e32 v[2:3], v[0:1]
	s_and_saveexec_b32 s42, s7
; %bb.11367:                            ;   in Loop: Header=BB6_7543 Depth=2
	v_bfe_u32 v24, v0, 21, 1
	s_delay_alu instid0(VALU_DEP_1) | instskip(NEXT) | instid1(VALU_DEP_1)
	v_add_nc_u64_e32 v[2:3], v[0:1], v[24:25]
	v_add_nc_u64_e32 v[2:3], -1, v[2:3]
; %bb.11368:                            ;   in Loop: Header=BB6_7543 Depth=2
	s_or_b32 exec_lo, exec_lo, s42
	v_add_nc_u32_e32 v1, 0xffffff81, v5
	v_lshrrev_b32_e32 v3, 23, v0
	s_mov_b32 s7, exec_lo
	s_delay_alu instid0(VALU_DEP_2) | instskip(NEXT) | instid1(VALU_DEP_1)
	v_cndmask_b32_e64 v1, v1, 0xffffff82, vcc_lo
	v_add3_u32 v5, v112, v1, v3
	v_and_b32_e32 v1, 0x1fffff, v2
                                        ; implicit-def: $vgpr2
	s_delay_alu instid0(VALU_DEP_1) | instskip(NEXT) | instid1(VALU_DEP_1)
	v_dual_add_nc_u32 v3, 14, v5 :: v_dual_add_nc_u32 v24, v1, v0
                                        ; implicit-def: $vgpr0_vgpr1
	v_cmpx_ne_u32_e32 0, v3
	s_xor_b32 s7, exec_lo, s7
; %bb.11369:                            ;   in Loop: Header=BB6_7543 Depth=2
	s_delay_alu instid0(VALU_DEP_2) | instskip(SKIP_1) | instid1(VALU_DEP_1)
	v_cmp_lt_u64_e32 vcc_lo, 0xffffff, v[24:25]
	v_add_nc_u32_e32 v0, 15, v5
	v_cndmask_b32_e32 v2, v3, v0, vcc_lo
	v_cndmask_b32_e64 v0, 0, 1, vcc_lo
	s_delay_alu instid0(VALU_DEP_1)
	v_lshrrev_b64 v[0:1], v0, v[24:25]
; %bb.11370:                            ;   in Loop: Header=BB6_7543 Depth=2
	s_and_not1_saveexec_b32 s7, s7
; %bb.11371:                            ;   in Loop: Header=BB6_7543 Depth=2
	v_mov_b64_e32 v[0:1], v[24:25]
	v_bfe_u32 v2, v24, 23, 1
; %bb.11372:                            ;   in Loop: Header=BB6_7543 Depth=2
	s_or_b32 exec_lo, exec_lo, s7
	s_delay_alu instid0(VALU_DEP_2) | instskip(NEXT) | instid1(VALU_DEP_2)
	v_lshrrev_b64 v[0:1], 21, v[0:1]
	v_cmp_gt_i32_e32 vcc_lo, 32, v2
	v_min_i32_e32 v3, 31, v2
	v_cmp_eq_u32_e64 s7, 0, v2
	s_delay_alu instid0(VALU_DEP_2) | instskip(SKIP_1) | instid1(VALU_DEP_2)
	v_dual_cndmask_b32 v1, 0, v1, vcc_lo :: v_dual_lshlrev_b32 v3, 2, v3
	v_cndmask_b32_e32 v0, 3, v0, vcc_lo
	v_and_b32_e32 v3, 0xfc, v3
	s_delay_alu instid0(VALU_DEP_2) | instskip(NEXT) | instid1(VALU_DEP_2)
	v_cmp_eq_u64_e32 vcc_lo, 0, v[0:1]
	v_and_or_b32 v0, v0, 3, v3
	s_and_b32 s7, s7, vcc_lo
	s_delay_alu instid0(VALU_DEP_1) | instid1(SALU_CYCLE_1)
	v_cndmask_b32_e64 v0, v0, 0, s7
	s_delay_alu instid0(VALU_DEP_1)
	v_or_b32_e32 v112, v0, v4
.LBB6_11373:                            ;   in Loop: Header=BB6_7543 Depth=2
	s_or_b32 exec_lo, exec_lo, s41
                                        ; implicit-def: $vgpr4
.LBB6_11374:                            ;   in Loop: Header=BB6_7543 Depth=2
	s_and_not1_saveexec_b32 s7, s14
; %bb.11375:                            ;   in Loop: Header=BB6_7543 Depth=2
	v_or_b32_e32 v112, 0x7b, v4
; %bb.11376:                            ;   in Loop: Header=BB6_7543 Depth=2
	s_or_b32 exec_lo, exec_lo, s7
                                        ; implicit-def: $vgpr1
                                        ; implicit-def: $vgpr0
.LBB6_11377:                            ;   in Loop: Header=BB6_7543 Depth=2
	s_and_not1_saveexec_b32 s7, s10
	s_cbranch_execz .LBB6_11383
; %bb.11378:                            ;   in Loop: Header=BB6_7543 Depth=2
	s_mov_b32 s10, exec_lo
                                        ; implicit-def: $vgpr112
	v_cmpx_ne_u64_e32 0, v[24:25]
	s_xor_b32 s10, exec_lo, s10
; %bb.11379:                            ;   in Loop: Header=BB6_7543 Depth=2
	v_or_b32_e32 v112, 0x7f, v0
                                        ; implicit-def: $vgpr1
; %bb.11380:                            ;   in Loop: Header=BB6_7543 Depth=2
	s_and_not1_saveexec_b32 s10, s10
; %bb.11381:                            ;   in Loop: Header=BB6_7543 Depth=2
	v_cmp_lt_i32_e32 vcc_lo, -1, v1
	v_cndmask_b32_e32 v112, 0xfc, v41, vcc_lo
; %bb.11382:                            ;   in Loop: Header=BB6_7543 Depth=2
	s_or_b32 exec_lo, exec_lo, s10
.LBB6_11383:                            ;   in Loop: Header=BB6_7543 Depth=2
	s_delay_alu instid0(SALU_CYCLE_1) | instskip(SKIP_4) | instid1(VALU_DEP_3)
	s_or_b32 exec_lo, exec_lo, s7
	v_and_b32_e32 v2, 0xff, v17
	v_dual_mov_b32 v24, v17 :: v_dual_mov_b32 v0, v13
	v_mov_b32_e32 v1, v25
	s_mov_b32 s10, -1
	v_cmp_ne_u16_e64 s7, 0, v2
	s_and_not1_b32 vcc_lo, exec_lo, s13
                                        ; implicit-def: $vgpr4
	s_cbranch_vccnz .LBB6_11405
; %bb.11384:                            ;   in Loop: Header=BB6_7543 Depth=2
	v_dual_mov_b32 v4, 0 :: v_dual_mov_b32 v3, 0
	s_and_saveexec_b32 s14, s7
	s_cbranch_execz .LBB6_11394
; %bb.11385:                            ;   in Loop: Header=BB6_7543 Depth=2
	v_bfrev_b32_e32 v3, 1
	s_mov_b32 s41, exec_lo
	v_cmpx_ne_u16_e32 0x80, v2
	s_cbranch_execz .LBB6_11393
; %bb.11386:                            ;   in Loop: Header=BB6_7543 Depth=2
	v_and_b32_e32 v3, 0x7c, v17
	v_and_b32_e32 v5, 3, v17
	s_delay_alu instid0(VALU_DEP_2) | instskip(SKIP_1) | instid1(SALU_CYCLE_1)
	v_cmp_ne_u32_e32 vcc_lo, 0x7c, v3
                                        ; implicit-def: $vgpr3
	s_and_saveexec_b32 s10, vcc_lo
	s_xor_b32 s10, exec_lo, s10
	s_cbranch_execz .LBB6_11390
; %bb.11387:                            ;   in Loop: Header=BB6_7543 Depth=2
	v_bfe_u32 v3, v17, 2, 5
	s_mov_b32 s42, exec_lo
	s_delay_alu instid0(VALU_DEP_1)
	v_cmpx_eq_u32_e32 0, v3
; %bb.11388:                            ;   in Loop: Header=BB6_7543 Depth=2
	v_clz_i32_u32_e32 v3, v5
	s_delay_alu instid0(VALU_DEP_1) | instskip(NEXT) | instid1(VALU_DEP_1)
	v_min_u32_e32 v3, 32, v3
	v_subrev_nc_u32_e32 v5, 29, v3
	s_delay_alu instid0(VALU_DEP_1) | instskip(NEXT) | instid1(VALU_DEP_1)
	v_lshlrev_b64_e32 v[114:115], v5, v[24:25]
	v_dual_sub_nc_u32 v3, 30, v3 :: v_dual_bitop2_b32 v5, 3, v114 bitop3:0x40
; %bb.11389:                            ;   in Loop: Header=BB6_7543 Depth=2
	s_or_b32 exec_lo, exec_lo, s42
	v_lshlrev_b32_e32 v113, 24, v17
	s_delay_alu instid0(VALU_DEP_1) | instskip(NEXT) | instid1(VALU_DEP_1)
	v_and_b32_e32 v113, 0x80000000, v113
	v_lshl_add_u32 v3, v3, 23, v113
	s_delay_alu instid0(VALU_DEP_1) | instskip(NEXT) | instid1(VALU_DEP_1)
	v_lshl_or_b32 v3, v5, 21, v3
                                        ; implicit-def: $vgpr5
	v_add_nc_u32_e32 v3, 0x38000000, v3
.LBB6_11390:                            ;   in Loop: Header=BB6_7543 Depth=2
	s_and_not1_saveexec_b32 s42, s10
; %bb.11391:                            ;   in Loop: Header=BB6_7543 Depth=2
	v_bfe_i32 v3, v17, 0, 8
	v_cmp_eq_u32_e32 vcc_lo, 0, v5
	s_delay_alu instid0(VALU_DEP_2) | instskip(NEXT) | instid1(VALU_DEP_1)
	v_cmp_lt_i16_e64 s10, -1, v3
	v_cndmask_b32_e64 v3, 0xff800000, v75, s10
	s_delay_alu instid0(VALU_DEP_1)
	v_cndmask_b32_e32 v3, 0x7f800001, v3, vcc_lo
; %bb.11392:                            ;   in Loop: Header=BB6_7543 Depth=2
	s_or_b32 exec_lo, exec_lo, s42
.LBB6_11393:                            ;   in Loop: Header=BB6_7543 Depth=2
	s_delay_alu instid0(SALU_CYCLE_1)
	s_or_b32 exec_lo, exec_lo, s41
.LBB6_11394:                            ;   in Loop: Header=BB6_7543 Depth=2
	s_delay_alu instid0(SALU_CYCLE_1) | instskip(SKIP_2) | instid1(VALU_DEP_1)
	s_or_b32 exec_lo, exec_lo, s14
	v_and_b32_e32 v5, 0xff, v13
	s_mov_b32 s14, exec_lo
	v_cmpx_ne_u16_e32 0, v5
	s_cbranch_execz .LBB6_11404
; %bb.11395:                            ;   in Loop: Header=BB6_7543 Depth=2
	v_bfrev_b32_e32 v4, 1
	s_mov_b32 s41, exec_lo
	v_cmpx_ne_u16_e32 0x80, v5
	s_cbranch_execz .LBB6_11403
; %bb.11396:                            ;   in Loop: Header=BB6_7543 Depth=2
	v_and_b32_e32 v4, 0x7c, v13
	v_and_b32_e32 v5, 3, v13
	s_delay_alu instid0(VALU_DEP_2) | instskip(SKIP_1) | instid1(SALU_CYCLE_1)
	v_cmp_ne_u32_e32 vcc_lo, 0x7c, v4
                                        ; implicit-def: $vgpr4
	s_and_saveexec_b32 s10, vcc_lo
	s_xor_b32 s10, exec_lo, s10
	s_cbranch_execz .LBB6_11400
; %bb.11397:                            ;   in Loop: Header=BB6_7543 Depth=2
	v_bfe_u32 v4, v13, 2, 5
	s_mov_b32 s42, exec_lo
	s_delay_alu instid0(VALU_DEP_1)
	v_cmpx_eq_u32_e32 0, v4
; %bb.11398:                            ;   in Loop: Header=BB6_7543 Depth=2
	v_clz_i32_u32_e32 v4, v5
	s_delay_alu instid0(VALU_DEP_1) | instskip(NEXT) | instid1(VALU_DEP_1)
	v_min_u32_e32 v4, 32, v4
	v_subrev_nc_u32_e32 v5, 29, v4
	s_delay_alu instid0(VALU_DEP_1) | instskip(NEXT) | instid1(VALU_DEP_1)
	v_lshlrev_b64_e32 v[114:115], v5, v[0:1]
	v_dual_sub_nc_u32 v4, 30, v4 :: v_dual_bitop2_b32 v5, 3, v114 bitop3:0x40
; %bb.11399:                            ;   in Loop: Header=BB6_7543 Depth=2
	s_or_b32 exec_lo, exec_lo, s42
	v_lshlrev_b32_e32 v113, 24, v13
	s_delay_alu instid0(VALU_DEP_1) | instskip(NEXT) | instid1(VALU_DEP_1)
	v_and_b32_e32 v113, 0x80000000, v113
	v_lshl_add_u32 v4, v4, 23, v113
	s_delay_alu instid0(VALU_DEP_1) | instskip(NEXT) | instid1(VALU_DEP_1)
	v_lshl_or_b32 v4, v5, 21, v4
                                        ; implicit-def: $vgpr5
	v_add_nc_u32_e32 v4, 0x38000000, v4
.LBB6_11400:                            ;   in Loop: Header=BB6_7543 Depth=2
	s_and_not1_saveexec_b32 s42, s10
; %bb.11401:                            ;   in Loop: Header=BB6_7543 Depth=2
	v_bfe_i32 v4, v13, 0, 8
	v_cmp_eq_u32_e32 vcc_lo, 0, v5
	s_delay_alu instid0(VALU_DEP_2) | instskip(NEXT) | instid1(VALU_DEP_1)
	v_cmp_lt_i16_e64 s10, -1, v4
	v_cndmask_b32_e64 v4, 0xff800000, v75, s10
	s_delay_alu instid0(VALU_DEP_1)
	v_cndmask_b32_e32 v4, 0x7f800001, v4, vcc_lo
; %bb.11402:                            ;   in Loop: Header=BB6_7543 Depth=2
	s_or_b32 exec_lo, exec_lo, s42
.LBB6_11403:                            ;   in Loop: Header=BB6_7543 Depth=2
	s_delay_alu instid0(SALU_CYCLE_1)
	s_or_b32 exec_lo, exec_lo, s41
.LBB6_11404:                            ;   in Loop: Header=BB6_7543 Depth=2
	s_delay_alu instid0(SALU_CYCLE_1) | instskip(NEXT) | instid1(VALU_DEP_1)
	s_or_b32 exec_lo, exec_lo, s14
	v_dual_max_num_f32 v4, v4, v4 :: v_dual_max_num_f32 v3, v3, v3
	s_mov_b32 s10, 0
	s_delay_alu instid0(VALU_DEP_1)
	v_max_num_f32_e32 v4, v3, v4
.LBB6_11405:                            ;   in Loop: Header=BB6_7543 Depth=2
	s_and_b32 vcc_lo, exec_lo, s10
	s_cbranch_vccz .LBB6_11427
; %bb.11406:                            ;   in Loop: Header=BB6_7543 Depth=2
	v_dual_mov_b32 v4, 0 :: v_dual_mov_b32 v3, 0
	s_and_saveexec_b32 s10, s7
	s_cbranch_execz .LBB6_11416
; %bb.11407:                            ;   in Loop: Header=BB6_7543 Depth=2
	v_bfrev_b32_e32 v3, 1
	s_mov_b32 s14, exec_lo
	v_cmpx_ne_u16_e32 0x80, v2
	s_cbranch_execz .LBB6_11415
; %bb.11408:                            ;   in Loop: Header=BB6_7543 Depth=2
	v_and_b32_e32 v3, 0x7c, v17
	v_and_b32_e32 v2, 3, v17
	s_delay_alu instid0(VALU_DEP_2) | instskip(SKIP_1) | instid1(SALU_CYCLE_1)
	v_cmp_ne_u32_e32 vcc_lo, 0x7c, v3
                                        ; implicit-def: $vgpr3
	s_and_saveexec_b32 s7, vcc_lo
	s_xor_b32 s7, exec_lo, s7
	s_cbranch_execz .LBB6_11412
; %bb.11409:                            ;   in Loop: Header=BB6_7543 Depth=2
	v_bfe_u32 v3, v17, 2, 5
	s_mov_b32 s41, exec_lo
	s_delay_alu instid0(VALU_DEP_1)
	v_cmpx_eq_u32_e32 0, v3
; %bb.11410:                            ;   in Loop: Header=BB6_7543 Depth=2
	v_clz_i32_u32_e32 v2, v2
	s_delay_alu instid0(VALU_DEP_1) | instskip(NEXT) | instid1(VALU_DEP_1)
	v_min_u32_e32 v5, 32, v2
	v_subrev_nc_u32_e32 v2, 29, v5
	s_delay_alu instid0(VALU_DEP_1) | instskip(NEXT) | instid1(VALU_DEP_1)
	v_lshlrev_b64_e32 v[2:3], v2, v[24:25]
	v_dual_sub_nc_u32 v3, 30, v5 :: v_dual_bitop2_b32 v2, 3, v2 bitop3:0x40
; %bb.11411:                            ;   in Loop: Header=BB6_7543 Depth=2
	s_or_b32 exec_lo, exec_lo, s41
	v_lshlrev_b32_e32 v5, 24, v17
	s_delay_alu instid0(VALU_DEP_1) | instskip(NEXT) | instid1(VALU_DEP_1)
	v_and_b32_e32 v5, 0x80000000, v5
	v_lshl_add_u32 v3, v3, 23, v5
	s_delay_alu instid0(VALU_DEP_1) | instskip(NEXT) | instid1(VALU_DEP_1)
	v_lshl_or_b32 v2, v2, 21, v3
	v_add_nc_u32_e32 v3, 0x38000000, v2
                                        ; implicit-def: $vgpr2
.LBB6_11412:                            ;   in Loop: Header=BB6_7543 Depth=2
	s_and_not1_saveexec_b32 s41, s7
; %bb.11413:                            ;   in Loop: Header=BB6_7543 Depth=2
	v_bfe_i32 v3, v17, 0, 8
	v_cmp_eq_u32_e32 vcc_lo, 0, v2
	s_delay_alu instid0(VALU_DEP_2) | instskip(NEXT) | instid1(VALU_DEP_1)
	v_cmp_lt_i16_e64 s7, -1, v3
	v_cndmask_b32_e64 v2, 0xff800000, v75, s7
	s_delay_alu instid0(VALU_DEP_1)
	v_cndmask_b32_e32 v3, 0x7f800001, v2, vcc_lo
; %bb.11414:                            ;   in Loop: Header=BB6_7543 Depth=2
	s_or_b32 exec_lo, exec_lo, s41
.LBB6_11415:                            ;   in Loop: Header=BB6_7543 Depth=2
	s_delay_alu instid0(SALU_CYCLE_1)
	s_or_b32 exec_lo, exec_lo, s14
.LBB6_11416:                            ;   in Loop: Header=BB6_7543 Depth=2
	s_delay_alu instid0(SALU_CYCLE_1) | instskip(SKIP_2) | instid1(VALU_DEP_1)
	s_or_b32 exec_lo, exec_lo, s10
	v_and_b32_e32 v2, 0xff, v13
	s_mov_b32 s10, exec_lo
	v_cmpx_ne_u16_e32 0, v2
	s_cbranch_execz .LBB6_11426
; %bb.11417:                            ;   in Loop: Header=BB6_7543 Depth=2
	v_bfrev_b32_e32 v4, 1
	s_mov_b32 s14, exec_lo
	v_cmpx_ne_u16_e32 0x80, v2
	s_cbranch_execz .LBB6_11425
; %bb.11418:                            ;   in Loop: Header=BB6_7543 Depth=2
	v_and_b32_e32 v4, 0x7c, v13
	v_and_b32_e32 v2, 3, v13
	s_delay_alu instid0(VALU_DEP_2) | instskip(SKIP_1) | instid1(SALU_CYCLE_1)
	v_cmp_ne_u32_e32 vcc_lo, 0x7c, v4
                                        ; implicit-def: $vgpr4
	s_and_saveexec_b32 s7, vcc_lo
	s_xor_b32 s7, exec_lo, s7
	s_cbranch_execz .LBB6_11422
; %bb.11419:                            ;   in Loop: Header=BB6_7543 Depth=2
	v_bfe_u32 v4, v13, 2, 5
	s_mov_b32 s41, exec_lo
	s_delay_alu instid0(VALU_DEP_1)
	v_cmpx_eq_u32_e32 0, v4
; %bb.11420:                            ;   in Loop: Header=BB6_7543 Depth=2
	v_clz_i32_u32_e32 v2, v2
	s_delay_alu instid0(VALU_DEP_1) | instskip(NEXT) | instid1(VALU_DEP_1)
	v_min_u32_e32 v2, 32, v2
	v_subrev_nc_u32_e32 v4, 29, v2
	s_delay_alu instid0(VALU_DEP_1) | instskip(SKIP_1) | instid1(VALU_DEP_2)
	v_lshlrev_b64_e32 v[114:115], v4, v[0:1]
	v_sub_nc_u32_e32 v4, 30, v2
	v_and_b32_e32 v2, 3, v114
; %bb.11421:                            ;   in Loop: Header=BB6_7543 Depth=2
	s_or_b32 exec_lo, exec_lo, s41
	v_lshlrev_b32_e32 v1, 24, v13
	s_delay_alu instid0(VALU_DEP_1) | instskip(NEXT) | instid1(VALU_DEP_1)
	v_and_b32_e32 v1, 0x80000000, v1
	v_lshl_add_u32 v1, v4, 23, v1
	s_delay_alu instid0(VALU_DEP_1) | instskip(NEXT) | instid1(VALU_DEP_1)
	v_lshl_or_b32 v1, v2, 21, v1
                                        ; implicit-def: $vgpr2
	v_add_nc_u32_e32 v4, 0x38000000, v1
.LBB6_11422:                            ;   in Loop: Header=BB6_7543 Depth=2
	s_and_not1_saveexec_b32 s41, s7
; %bb.11423:                            ;   in Loop: Header=BB6_7543 Depth=2
	v_bfe_i32 v1, v13, 0, 8
	v_cmp_eq_u32_e32 vcc_lo, 0, v2
	s_delay_alu instid0(VALU_DEP_2) | instskip(NEXT) | instid1(VALU_DEP_1)
	v_cmp_lt_i16_e64 s7, -1, v1
	v_cndmask_b32_e64 v1, 0xff800000, v75, s7
	s_delay_alu instid0(VALU_DEP_1)
	v_cndmask_b32_e32 v4, 0x7f800001, v1, vcc_lo
; %bb.11424:                            ;   in Loop: Header=BB6_7543 Depth=2
	s_or_b32 exec_lo, exec_lo, s41
.LBB6_11425:                            ;   in Loop: Header=BB6_7543 Depth=2
	s_delay_alu instid0(SALU_CYCLE_1)
	s_or_b32 exec_lo, exec_lo, s14
.LBB6_11426:                            ;   in Loop: Header=BB6_7543 Depth=2
	s_delay_alu instid0(SALU_CYCLE_1) | instskip(NEXT) | instid1(VALU_DEP_1)
	s_or_b32 exec_lo, exec_lo, s10
	v_dual_max_num_f32 v1, v4, v4 :: v_dual_max_num_f32 v2, v3, v3
	s_delay_alu instid0(VALU_DEP_1)
	v_min_num_f32_e32 v4, v2, v1
.LBB6_11427:                            ;   in Loop: Header=BB6_7543 Depth=2
	s_delay_alu instid0(VALU_DEP_1) | instskip(SKIP_4) | instid1(VALU_DEP_3)
	v_and_b32_e32 v114, 0x7f800000, v4
	v_dual_mov_b32 v115, v25 :: v_dual_mov_b32 v3, v25
	v_and_b32_e32 v2, 0x7fffff, v4
	v_lshrrev_b32_e32 v1, 24, v4
                                        ; implicit-def: $vgpr113
	s_mov_b32 s7, exec_lo
	v_cmpx_ne_u64_e32 0x7f800000, v[114:115]
	s_xor_b32 s10, exec_lo, s7
	s_cbranch_execz .LBB6_11441
; %bb.11428:                            ;   in Loop: Header=BB6_7543 Depth=2
	v_and_b32_e32 v114, 0x7fffffff, v4
	v_mov_b32_e32 v115, v25
	v_and_b32_e32 v1, 0x80, v1
                                        ; implicit-def: $vgpr113
	s_mov_b32 s7, exec_lo
	s_delay_alu instid0(VALU_DEP_2)
	v_cmpx_gt_u64_e32 0x47600001, v[114:115]
	s_xor_b32 s14, exec_lo, s7
	s_cbranch_execz .LBB6_11438
; %bb.11429:                            ;   in Loop: Header=BB6_7543 Depth=2
	v_mov_b32_e32 v113, 0
	s_mov_b32 s41, exec_lo
	v_cmpx_ne_u32_e32 0, v4
	s_cbranch_execz .LBB6_11437
; %bb.11430:                            ;   in Loop: Header=BB6_7543 Depth=2
	v_bfe_u32 v113, v4, 23, 8
	v_or_b32_e32 v5, 0x800000, v2
	s_delay_alu instid0(VALU_DEP_2) | instskip(SKIP_2) | instid1(VALU_DEP_2)
	v_cmp_gt_u32_e64 s7, 0x72, v113
	v_sub_nc_u32_e32 v4, 0x71, v113
	v_cmp_eq_u32_e32 vcc_lo, 0, v113
	v_dual_cndmask_b32 v4, 0, v4, s7 :: v_dual_cndmask_b32 v2, v5, v2, vcc_lo
	s_delay_alu instid0(VALU_DEP_1) | instskip(NEXT) | instid1(VALU_DEP_1)
	v_cndmask_b32_e64 v114, v4, 0x70, vcc_lo
	v_dual_add_nc_u32 v4, 21, v114 :: v_dual_add_nc_u32 v115, 20, v114
	s_delay_alu instid0(VALU_DEP_1) | instskip(NEXT) | instid1(VALU_DEP_2)
	v_lshlrev_b64_e64 v[4:5], v4, -1
	v_lshlrev_b64_e64 v[116:117], v115, 1
	s_delay_alu instid0(VALU_DEP_2) | instskip(SKIP_1) | instid1(VALU_DEP_4)
	v_bfi_b32 v4, v4, 0, v2
	v_lshrrev_b64 v[2:3], v114, v[2:3]
	v_bfi_b32 v5, v5, 0, 0
	s_delay_alu instid0(VALU_DEP_1) | instskip(NEXT) | instid1(VALU_DEP_3)
	v_cmp_eq_u64_e64 s7, v[4:5], v[116:117]
	v_mov_b64_e32 v[4:5], v[2:3]
	s_and_saveexec_b32 s42, s7
; %bb.11431:                            ;   in Loop: Header=BB6_7543 Depth=2
	v_bfe_u32 v4, v2, 21, 1
	v_mov_b32_e32 v5, v25
	s_delay_alu instid0(VALU_DEP_1) | instskip(NEXT) | instid1(VALU_DEP_1)
	v_add_nc_u64_e32 v[4:5], v[2:3], v[4:5]
	v_add_nc_u64_e32 v[4:5], -1, v[4:5]
; %bb.11432:                            ;   in Loop: Header=BB6_7543 Depth=2
	s_or_b32 exec_lo, exec_lo, s42
	v_add_nc_u32_e32 v3, 0xffffff81, v113
	v_lshrrev_b32_e32 v5, 23, v2
	s_mov_b32 s7, exec_lo
	s_delay_alu instid0(VALU_DEP_2) | instskip(NEXT) | instid1(VALU_DEP_1)
	v_cndmask_b32_e64 v3, v3, 0xffffff82, vcc_lo
	v_add3_u32 v113, v114, v3, v5
	v_and_b32_e32 v3, 0x1fffff, v4
                                        ; implicit-def: $vgpr4
	s_delay_alu instid0(VALU_DEP_1) | instskip(SKIP_1) | instid1(VALU_DEP_2)
	v_dual_add_nc_u32 v5, 14, v113 :: v_dual_add_nc_u32 v2, v3, v2
	v_mov_b32_e32 v3, v25
	v_cmpx_ne_u32_e32 0, v5
	s_xor_b32 s7, exec_lo, s7
; %bb.11433:                            ;   in Loop: Header=BB6_7543 Depth=2
	s_delay_alu instid0(VALU_DEP_2) | instskip(SKIP_1) | instid1(VALU_DEP_1)
	v_cmp_lt_u64_e32 vcc_lo, 0xffffff, v[2:3]
	v_add_nc_u32_e32 v4, 15, v113
	v_cndmask_b32_e32 v4, v5, v4, vcc_lo
	v_cndmask_b32_e64 v5, 0, 1, vcc_lo
	s_delay_alu instid0(VALU_DEP_1)
	v_lshrrev_b64 v[2:3], v5, v[2:3]
; %bb.11434:                            ;   in Loop: Header=BB6_7543 Depth=2
	s_and_not1_saveexec_b32 s7, s7
; %bb.11435:                            ;   in Loop: Header=BB6_7543 Depth=2
	s_delay_alu instid0(VALU_DEP_1)
	v_bfe_u32 v4, v2, 23, 1
; %bb.11436:                            ;   in Loop: Header=BB6_7543 Depth=2
	s_or_b32 exec_lo, exec_lo, s7
	s_delay_alu instid0(VALU_DEP_2) | instskip(NEXT) | instid1(VALU_DEP_2)
	v_lshrrev_b64 v[2:3], 21, v[2:3]
	v_cmp_gt_i32_e32 vcc_lo, 32, v4
	v_min_i32_e32 v5, 31, v4
	v_cmp_eq_u32_e64 s7, 0, v4
	s_delay_alu instid0(VALU_DEP_2) | instskip(SKIP_1) | instid1(VALU_DEP_2)
	v_dual_cndmask_b32 v3, 0, v3, vcc_lo :: v_dual_lshlrev_b32 v5, 2, v5
	v_cndmask_b32_e32 v2, 3, v2, vcc_lo
	v_and_b32_e32 v5, 0xfc, v5
	s_delay_alu instid0(VALU_DEP_2) | instskip(NEXT) | instid1(VALU_DEP_2)
	v_cmp_eq_u64_e32 vcc_lo, 0, v[2:3]
	v_and_or_b32 v2, v2, 3, v5
	s_and_b32 s7, s7, vcc_lo
	s_delay_alu instid0(VALU_DEP_1) | instid1(SALU_CYCLE_1)
	v_cndmask_b32_e64 v2, v2, 0, s7
	s_delay_alu instid0(VALU_DEP_1)
	v_or_b32_e32 v113, v2, v1
.LBB6_11437:                            ;   in Loop: Header=BB6_7543 Depth=2
	s_or_b32 exec_lo, exec_lo, s41
                                        ; implicit-def: $vgpr1
.LBB6_11438:                            ;   in Loop: Header=BB6_7543 Depth=2
	s_and_not1_saveexec_b32 s7, s14
; %bb.11439:                            ;   in Loop: Header=BB6_7543 Depth=2
	v_or_b32_e32 v113, 0x7b, v1
; %bb.11440:                            ;   in Loop: Header=BB6_7543 Depth=2
	s_or_b32 exec_lo, exec_lo, s7
                                        ; implicit-def: $vgpr4
                                        ; implicit-def: $vgpr2_vgpr3
                                        ; implicit-def: $vgpr1
.LBB6_11441:                            ;   in Loop: Header=BB6_7543 Depth=2
	s_and_not1_saveexec_b32 s7, s10
	s_cbranch_execz .LBB6_11447
; %bb.11442:                            ;   in Loop: Header=BB6_7543 Depth=2
	s_mov_b32 s10, exec_lo
                                        ; implicit-def: $vgpr113
	v_cmpx_ne_u64_e32 0, v[2:3]
	s_xor_b32 s10, exec_lo, s10
; %bb.11443:                            ;   in Loop: Header=BB6_7543 Depth=2
	v_or_b32_e32 v113, 0x7f, v1
                                        ; implicit-def: $vgpr4
; %bb.11444:                            ;   in Loop: Header=BB6_7543 Depth=2
	s_and_not1_saveexec_b32 s10, s10
; %bb.11445:                            ;   in Loop: Header=BB6_7543 Depth=2
	v_cmp_lt_i32_e32 vcc_lo, -1, v4
	v_cndmask_b32_e32 v113, 0xfc, v41, vcc_lo
; %bb.11446:                            ;   in Loop: Header=BB6_7543 Depth=2
	s_or_b32 exec_lo, exec_lo, s10
.LBB6_11447:                            ;   in Loop: Header=BB6_7543 Depth=2
	s_delay_alu instid0(SALU_CYCLE_1) | instskip(SKIP_4) | instid1(VALU_DEP_2)
	s_or_b32 exec_lo, exec_lo, s7
	v_lshrrev_b16 v4, 8, v24
	v_lshrrev_b16 v2, 8, v0
	s_mov_b32 s10, -1
	s_and_not1_b32 vcc_lo, exec_lo, s13
                                        ; implicit-def: $vgpr3
	v_and_b32_e32 v1, 0xffff, v4
	v_cmp_ne_u16_e64 s7, 0, v4
	s_cbranch_vccnz .LBB6_11469
; %bb.11448:                            ;   in Loop: Header=BB6_7543 Depth=2
	v_dual_mov_b32 v3, 0 :: v_dual_mov_b32 v5, 0
	s_and_saveexec_b32 s14, s7
	s_cbranch_execz .LBB6_11458
; %bb.11449:                            ;   in Loop: Header=BB6_7543 Depth=2
	v_bfrev_b32_e32 v5, 1
	s_mov_b32 s41, exec_lo
	v_cmpx_ne_u16_e32 0x80, v4
	s_cbranch_execz .LBB6_11457
; %bb.11450:                            ;   in Loop: Header=BB6_7543 Depth=2
	v_and_b32_e32 v5, 0x7c, v1
	v_and_b32_e32 v114, 3, v1
	s_delay_alu instid0(VALU_DEP_2) | instskip(SKIP_1) | instid1(SALU_CYCLE_1)
	v_cmp_ne_u32_e32 vcc_lo, 0x7c, v5
                                        ; implicit-def: $vgpr5
	s_and_saveexec_b32 s10, vcc_lo
	s_xor_b32 s10, exec_lo, s10
	s_cbranch_execz .LBB6_11454
; %bb.11451:                            ;   in Loop: Header=BB6_7543 Depth=2
	v_bfe_u32 v5, v1, 2, 5
	s_mov_b32 s42, exec_lo
	s_delay_alu instid0(VALU_DEP_1)
	v_cmpx_eq_u32_e32 0, v5
; %bb.11452:                            ;   in Loop: Header=BB6_7543 Depth=2
	v_clz_i32_u32_e32 v5, v114
	s_delay_alu instid0(VALU_DEP_1) | instskip(SKIP_1) | instid1(VALU_DEP_2)
	v_min_u32_e32 v116, 32, v5
	v_mov_b32_e32 v5, v25
	v_subrev_nc_u32_e32 v114, 29, v116
	s_delay_alu instid0(VALU_DEP_1) | instskip(NEXT) | instid1(VALU_DEP_1)
	v_lshlrev_b64_e32 v[114:115], v114, v[4:5]
	v_dual_sub_nc_u32 v5, 30, v116 :: v_dual_bitop2_b32 v114, 3, v114 bitop3:0x40
; %bb.11453:                            ;   in Loop: Header=BB6_7543 Depth=2
	s_or_b32 exec_lo, exec_lo, s42
	v_lshlrev_b32_e32 v115, 16, v24
	s_delay_alu instid0(VALU_DEP_1) | instskip(NEXT) | instid1(VALU_DEP_1)
	v_and_b32_e32 v115, 0x80000000, v115
	v_lshl_add_u32 v5, v5, 23, v115
	s_delay_alu instid0(VALU_DEP_1) | instskip(NEXT) | instid1(VALU_DEP_1)
	v_lshl_or_b32 v5, v114, 21, v5
                                        ; implicit-def: $vgpr114
	v_add_nc_u32_e32 v5, 0x38000000, v5
.LBB6_11454:                            ;   in Loop: Header=BB6_7543 Depth=2
	s_and_not1_saveexec_b32 s42, s10
; %bb.11455:                            ;   in Loop: Header=BB6_7543 Depth=2
	v_cmp_lt_i16_e64 s10, -1, v24
	v_cmp_eq_u32_e32 vcc_lo, 0, v114
	s_delay_alu instid0(VALU_DEP_2) | instskip(NEXT) | instid1(VALU_DEP_1)
	v_cndmask_b32_e64 v5, 0xff800000, v75, s10
	v_cndmask_b32_e32 v5, 0x7f800001, v5, vcc_lo
; %bb.11456:                            ;   in Loop: Header=BB6_7543 Depth=2
	s_or_b32 exec_lo, exec_lo, s42
.LBB6_11457:                            ;   in Loop: Header=BB6_7543 Depth=2
	s_delay_alu instid0(SALU_CYCLE_1)
	s_or_b32 exec_lo, exec_lo, s41
.LBB6_11458:                            ;   in Loop: Header=BB6_7543 Depth=2
	s_delay_alu instid0(SALU_CYCLE_1) | instskip(NEXT) | instid1(SALU_CYCLE_1)
	s_or_b32 exec_lo, exec_lo, s14
	s_mov_b32 s14, exec_lo
	v_cmpx_ne_u16_e32 0, v2
	s_cbranch_execz .LBB6_11468
; %bb.11459:                            ;   in Loop: Header=BB6_7543 Depth=2
	v_bfrev_b32_e32 v3, 1
	s_mov_b32 s41, exec_lo
	v_cmpx_ne_u16_e32 0x80, v2
	s_cbranch_execz .LBB6_11467
; %bb.11460:                            ;   in Loop: Header=BB6_7543 Depth=2
	v_and_b32_e32 v115, 0xffff, v2
	s_delay_alu instid0(VALU_DEP_1) | instskip(SKIP_1) | instid1(VALU_DEP_2)
	v_and_b32_e32 v3, 0x7c, v115
	v_and_b32_e32 v114, 3, v115
	v_cmp_ne_u32_e32 vcc_lo, 0x7c, v3
                                        ; implicit-def: $vgpr3
	s_and_saveexec_b32 s10, vcc_lo
	s_delay_alu instid0(SALU_CYCLE_1)
	s_xor_b32 s10, exec_lo, s10
	s_cbranch_execz .LBB6_11464
; %bb.11461:                            ;   in Loop: Header=BB6_7543 Depth=2
	v_bfe_u32 v3, v115, 2, 5
	s_mov_b32 s42, exec_lo
	s_delay_alu instid0(VALU_DEP_1)
	v_cmpx_eq_u32_e32 0, v3
; %bb.11462:                            ;   in Loop: Header=BB6_7543 Depth=2
	v_clz_i32_u32_e32 v3, v114
	s_delay_alu instid0(VALU_DEP_1) | instskip(SKIP_1) | instid1(VALU_DEP_2)
	v_min_u32_e32 v116, 32, v3
	v_mov_b32_e32 v3, v25
	v_subrev_nc_u32_e32 v114, 29, v116
	s_delay_alu instid0(VALU_DEP_1) | instskip(NEXT) | instid1(VALU_DEP_1)
	v_lshlrev_b64_e32 v[114:115], v114, v[2:3]
	v_dual_sub_nc_u32 v3, 30, v116 :: v_dual_bitop2_b32 v114, 3, v114 bitop3:0x40
; %bb.11463:                            ;   in Loop: Header=BB6_7543 Depth=2
	s_or_b32 exec_lo, exec_lo, s42
	v_lshlrev_b32_e32 v115, 16, v0
	s_delay_alu instid0(VALU_DEP_1) | instskip(NEXT) | instid1(VALU_DEP_1)
	v_and_b32_e32 v115, 0x80000000, v115
	v_lshl_add_u32 v3, v3, 23, v115
	s_delay_alu instid0(VALU_DEP_1) | instskip(NEXT) | instid1(VALU_DEP_1)
	v_lshl_or_b32 v3, v114, 21, v3
                                        ; implicit-def: $vgpr114
	v_add_nc_u32_e32 v3, 0x38000000, v3
.LBB6_11464:                            ;   in Loop: Header=BB6_7543 Depth=2
	s_and_not1_saveexec_b32 s42, s10
; %bb.11465:                            ;   in Loop: Header=BB6_7543 Depth=2
	v_cmp_lt_i16_e64 s10, -1, v0
	v_cmp_eq_u32_e32 vcc_lo, 0, v114
	s_delay_alu instid0(VALU_DEP_2) | instskip(NEXT) | instid1(VALU_DEP_1)
	v_cndmask_b32_e64 v3, 0xff800000, v75, s10
	v_cndmask_b32_e32 v3, 0x7f800001, v3, vcc_lo
; %bb.11466:                            ;   in Loop: Header=BB6_7543 Depth=2
	s_or_b32 exec_lo, exec_lo, s42
.LBB6_11467:                            ;   in Loop: Header=BB6_7543 Depth=2
	s_delay_alu instid0(SALU_CYCLE_1)
	s_or_b32 exec_lo, exec_lo, s41
.LBB6_11468:                            ;   in Loop: Header=BB6_7543 Depth=2
	s_delay_alu instid0(SALU_CYCLE_1) | instskip(NEXT) | instid1(VALU_DEP_1)
	s_or_b32 exec_lo, exec_lo, s14
	v_dual_max_num_f32 v3, v3, v3 :: v_dual_max_num_f32 v5, v5, v5
	s_mov_b32 s10, 0
	s_delay_alu instid0(VALU_DEP_1)
	v_max_num_f32_e32 v3, v5, v3
.LBB6_11469:                            ;   in Loop: Header=BB6_7543 Depth=2
	s_and_b32 vcc_lo, exec_lo, s10
	s_cbranch_vccz .LBB6_11491
; %bb.11470:                            ;   in Loop: Header=BB6_7543 Depth=2
	v_dual_mov_b32 v3, 0 :: v_dual_mov_b32 v5, 0
	s_and_saveexec_b32 s10, s7
	s_cbranch_execz .LBB6_11480
; %bb.11471:                            ;   in Loop: Header=BB6_7543 Depth=2
	v_bfrev_b32_e32 v5, 1
	s_mov_b32 s14, exec_lo
	v_cmpx_ne_u16_e32 0x80, v4
	s_cbranch_execz .LBB6_11479
; %bb.11472:                            ;   in Loop: Header=BB6_7543 Depth=2
	v_and_b32_e32 v5, 0x7c, v1
	v_and_b32_e32 v114, 3, v1
	s_delay_alu instid0(VALU_DEP_2) | instskip(SKIP_1) | instid1(SALU_CYCLE_1)
	v_cmp_ne_u32_e32 vcc_lo, 0x7c, v5
                                        ; implicit-def: $vgpr5
	s_and_saveexec_b32 s7, vcc_lo
	s_xor_b32 s7, exec_lo, s7
	s_cbranch_execz .LBB6_11476
; %bb.11473:                            ;   in Loop: Header=BB6_7543 Depth=2
	v_bfe_u32 v1, v1, 2, 5
	s_mov_b32 s41, exec_lo
	s_delay_alu instid0(VALU_DEP_1)
	v_cmpx_eq_u32_e32 0, v1
	s_cbranch_execz .LBB6_11475
; %bb.11474:                            ;   in Loop: Header=BB6_7543 Depth=2
	v_clz_i32_u32_e32 v1, v114
	s_delay_alu instid0(VALU_DEP_1) | instskip(SKIP_1) | instid1(VALU_DEP_2)
	v_min_u32_e32 v1, 32, v1
	v_mov_b32_e32 v5, v25
	v_subrev_nc_u32_e32 v114, 29, v1
	v_sub_nc_u32_e32 v1, 30, v1
	s_delay_alu instid0(VALU_DEP_2) | instskip(NEXT) | instid1(VALU_DEP_1)
	v_lshlrev_b64_e32 v[4:5], v114, v[4:5]
	v_and_b32_e32 v114, 3, v4
.LBB6_11475:                            ;   in Loop: Header=BB6_7543 Depth=2
	s_or_b32 exec_lo, exec_lo, s41
	v_lshlrev_b32_e32 v4, 16, v24
	s_delay_alu instid0(VALU_DEP_1) | instskip(NEXT) | instid1(VALU_DEP_1)
	v_and_b32_e32 v4, 0x80000000, v4
	v_lshl_add_u32 v1, v1, 23, v4
	s_delay_alu instid0(VALU_DEP_1) | instskip(NEXT) | instid1(VALU_DEP_1)
	v_lshl_or_b32 v1, v114, 21, v1
                                        ; implicit-def: $vgpr114
	v_add_nc_u32_e32 v5, 0x38000000, v1
.LBB6_11476:                            ;   in Loop: Header=BB6_7543 Depth=2
	s_and_not1_saveexec_b32 s41, s7
; %bb.11477:                            ;   in Loop: Header=BB6_7543 Depth=2
	v_cmp_lt_i16_e64 s7, -1, v24
	v_cmp_eq_u32_e32 vcc_lo, 0, v114
	s_delay_alu instid0(VALU_DEP_2) | instskip(NEXT) | instid1(VALU_DEP_1)
	v_cndmask_b32_e64 v1, 0xff800000, v75, s7
	v_cndmask_b32_e32 v5, 0x7f800001, v1, vcc_lo
; %bb.11478:                            ;   in Loop: Header=BB6_7543 Depth=2
	s_or_b32 exec_lo, exec_lo, s41
.LBB6_11479:                            ;   in Loop: Header=BB6_7543 Depth=2
	s_delay_alu instid0(SALU_CYCLE_1)
	s_or_b32 exec_lo, exec_lo, s14
.LBB6_11480:                            ;   in Loop: Header=BB6_7543 Depth=2
	s_delay_alu instid0(SALU_CYCLE_1) | instskip(NEXT) | instid1(SALU_CYCLE_1)
	s_or_b32 exec_lo, exec_lo, s10
	s_mov_b32 s10, exec_lo
	v_cmpx_ne_u16_e32 0, v2
	s_cbranch_execz .LBB6_11490
; %bb.11481:                            ;   in Loop: Header=BB6_7543 Depth=2
	v_bfrev_b32_e32 v3, 1
	s_mov_b32 s14, exec_lo
	v_cmpx_ne_u16_e32 0x80, v2
	s_cbranch_execz .LBB6_11489
; %bb.11482:                            ;   in Loop: Header=BB6_7543 Depth=2
	v_and_b32_e32 v1, 0xffff, v2
	s_delay_alu instid0(VALU_DEP_1) | instskip(SKIP_1) | instid1(VALU_DEP_2)
	v_and_b32_e32 v3, 0x7c, v1
	v_and_b32_e32 v4, 3, v1
	v_cmp_ne_u32_e32 vcc_lo, 0x7c, v3
                                        ; implicit-def: $vgpr3
	s_and_saveexec_b32 s7, vcc_lo
	s_delay_alu instid0(SALU_CYCLE_1)
	s_xor_b32 s7, exec_lo, s7
	s_cbranch_execz .LBB6_11486
; %bb.11483:                            ;   in Loop: Header=BB6_7543 Depth=2
	v_bfe_u32 v1, v1, 2, 5
	s_mov_b32 s41, exec_lo
	s_delay_alu instid0(VALU_DEP_1)
	v_cmpx_eq_u32_e32 0, v1
	s_cbranch_execz .LBB6_11485
; %bb.11484:                            ;   in Loop: Header=BB6_7543 Depth=2
	v_clz_i32_u32_e32 v1, v4
	s_delay_alu instid0(VALU_DEP_1) | instskip(SKIP_1) | instid1(VALU_DEP_2)
	v_min_u32_e32 v1, 32, v1
	v_mov_b32_e32 v3, v25
	v_subrev_nc_u32_e32 v4, 29, v1
	v_sub_nc_u32_e32 v1, 30, v1
	s_delay_alu instid0(VALU_DEP_2) | instskip(NEXT) | instid1(VALU_DEP_1)
	v_lshlrev_b64_e32 v[2:3], v4, v[2:3]
	v_and_b32_e32 v4, 3, v2
.LBB6_11485:                            ;   in Loop: Header=BB6_7543 Depth=2
	s_or_b32 exec_lo, exec_lo, s41
	v_lshlrev_b32_e32 v0, 16, v0
	s_delay_alu instid0(VALU_DEP_1) | instskip(NEXT) | instid1(VALU_DEP_1)
	v_and_b32_e32 v0, 0x80000000, v0
	v_lshl_add_u32 v0, v1, 23, v0
	s_delay_alu instid0(VALU_DEP_1) | instskip(NEXT) | instid1(VALU_DEP_1)
	v_lshl_or_b32 v0, v4, 21, v0
                                        ; implicit-def: $vgpr4
	v_add_nc_u32_e32 v3, 0x38000000, v0
                                        ; implicit-def: $vgpr0_vgpr1
.LBB6_11486:                            ;   in Loop: Header=BB6_7543 Depth=2
	s_and_not1_saveexec_b32 s41, s7
; %bb.11487:                            ;   in Loop: Header=BB6_7543 Depth=2
	v_cmp_lt_i16_e64 s7, -1, v0
	v_cmp_eq_u32_e32 vcc_lo, 0, v4
	s_delay_alu instid0(VALU_DEP_2) | instskip(NEXT) | instid1(VALU_DEP_1)
	v_cndmask_b32_e64 v0, 0xff800000, v75, s7
	v_cndmask_b32_e32 v3, 0x7f800001, v0, vcc_lo
; %bb.11488:                            ;   in Loop: Header=BB6_7543 Depth=2
	s_or_b32 exec_lo, exec_lo, s41
.LBB6_11489:                            ;   in Loop: Header=BB6_7543 Depth=2
	s_delay_alu instid0(SALU_CYCLE_1)
	s_or_b32 exec_lo, exec_lo, s14
.LBB6_11490:                            ;   in Loop: Header=BB6_7543 Depth=2
	s_delay_alu instid0(SALU_CYCLE_1) | instskip(NEXT) | instid1(VALU_DEP_1)
	s_or_b32 exec_lo, exec_lo, s10
	v_dual_max_num_f32 v0, v3, v3 :: v_dual_max_num_f32 v1, v5, v5
	s_delay_alu instid0(VALU_DEP_1)
	v_min_num_f32_e32 v3, v1, v0
.LBB6_11491:                            ;   in Loop: Header=BB6_7543 Depth=2
	s_delay_alu instid0(VALU_DEP_1) | instskip(SKIP_2) | instid1(VALU_DEP_2)
	v_and_b32_e32 v0, 0x7f800000, v3
	v_mov_b32_e32 v1, v25
	v_and_b32_e32 v24, 0x7fffff, v3
                                        ; implicit-def: $vgpr4
	v_cmp_ne_u64_e32 vcc_lo, 0x7f800000, v[0:1]
	v_lshrrev_b32_e32 v0, 24, v3
	s_and_saveexec_b32 s7, vcc_lo
	s_delay_alu instid0(SALU_CYCLE_1)
	s_xor_b32 s10, exec_lo, s7
	s_cbranch_execz .LBB6_11505
; %bb.11492:                            ;   in Loop: Header=BB6_7543 Depth=2
	v_and_b32_e32 v4, 0x7fffffff, v3
	v_mov_b32_e32 v5, v25
	s_delay_alu instid0(VALU_DEP_1) | instskip(SKIP_2) | instid1(SALU_CYCLE_1)
	v_cmp_gt_u64_e32 vcc_lo, 0x47600001, v[4:5]
	v_and_b32_e32 v5, 0x80, v0
                                        ; implicit-def: $vgpr4
	s_and_saveexec_b32 s7, vcc_lo
	s_xor_b32 s14, exec_lo, s7
	s_cbranch_execz .LBB6_11502
; %bb.11493:                            ;   in Loop: Header=BB6_7543 Depth=2
	v_mov_b32_e32 v4, 0
	s_mov_b32 s41, exec_lo
	v_cmpx_ne_u32_e32 0, v3
	s_cbranch_execz .LBB6_11501
; %bb.11494:                            ;   in Loop: Header=BB6_7543 Depth=2
	v_bfe_u32 v4, v3, 23, 8
	v_or_b32_e32 v1, 0x800000, v24
	s_delay_alu instid0(VALU_DEP_2) | instskip(SKIP_2) | instid1(VALU_DEP_2)
	v_cmp_gt_u32_e64 s7, 0x72, v4
	v_sub_nc_u32_e32 v0, 0x71, v4
	v_cmp_eq_u32_e32 vcc_lo, 0, v4
	v_cndmask_b32_e64 v0, 0, v0, s7
	s_delay_alu instid0(VALU_DEP_1) | instskip(NEXT) | instid1(VALU_DEP_1)
	v_cndmask_b32_e64 v114, v0, 0x70, vcc_lo
	v_dual_cndmask_b32 v24, v1, v24, vcc_lo :: v_dual_add_nc_u32 v0, 21, v114
	v_add_nc_u32_e32 v2, 20, v114
	s_delay_alu instid0(VALU_DEP_2) | instskip(NEXT) | instid1(VALU_DEP_2)
	v_lshlrev_b64_e64 v[0:1], v0, -1
	v_lshlrev_b64_e64 v[2:3], v2, 1
	s_delay_alu instid0(VALU_DEP_2) | instskip(NEXT) | instid1(VALU_DEP_3)
	v_bfi_b32 v1, v1, 0, 0
	v_bfi_b32 v0, v0, 0, v24
	s_delay_alu instid0(VALU_DEP_1) | instskip(SKIP_1) | instid1(VALU_DEP_1)
	v_cmp_eq_u64_e64 s7, v[0:1], v[2:3]
	v_lshrrev_b64 v[0:1], v114, v[24:25]
	v_mov_b64_e32 v[2:3], v[0:1]
	s_and_saveexec_b32 s42, s7
; %bb.11495:                            ;   in Loop: Header=BB6_7543 Depth=2
	v_bfe_u32 v24, v0, 21, 1
	s_delay_alu instid0(VALU_DEP_1) | instskip(NEXT) | instid1(VALU_DEP_1)
	v_add_nc_u64_e32 v[2:3], v[0:1], v[24:25]
	v_add_nc_u64_e32 v[2:3], -1, v[2:3]
; %bb.11496:                            ;   in Loop: Header=BB6_7543 Depth=2
	s_or_b32 exec_lo, exec_lo, s42
	v_add_nc_u32_e32 v1, 0xffffff81, v4
	v_lshrrev_b32_e32 v3, 23, v0
	s_mov_b32 s7, exec_lo
	s_delay_alu instid0(VALU_DEP_2) | instskip(NEXT) | instid1(VALU_DEP_1)
	v_cndmask_b32_e64 v1, v1, 0xffffff82, vcc_lo
	v_add3_u32 v4, v114, v1, v3
	v_and_b32_e32 v1, 0x1fffff, v2
                                        ; implicit-def: $vgpr2
	s_delay_alu instid0(VALU_DEP_2) | instskip(NEXT) | instid1(VALU_DEP_2)
	v_add_nc_u32_e32 v3, 14, v4
	v_add_nc_u32_e32 v24, v1, v0
                                        ; implicit-def: $vgpr0_vgpr1
	s_delay_alu instid0(VALU_DEP_2)
	v_cmpx_ne_u32_e32 0, v3
	s_xor_b32 s7, exec_lo, s7
; %bb.11497:                            ;   in Loop: Header=BB6_7543 Depth=2
	s_delay_alu instid0(VALU_DEP_2) | instskip(SKIP_1) | instid1(VALU_DEP_1)
	v_cmp_lt_u64_e32 vcc_lo, 0xffffff, v[24:25]
	v_add_nc_u32_e32 v0, 15, v4
	v_cndmask_b32_e32 v2, v3, v0, vcc_lo
	v_cndmask_b32_e64 v0, 0, 1, vcc_lo
	s_delay_alu instid0(VALU_DEP_1)
	v_lshrrev_b64 v[0:1], v0, v[24:25]
; %bb.11498:                            ;   in Loop: Header=BB6_7543 Depth=2
	s_and_not1_saveexec_b32 s7, s7
; %bb.11499:                            ;   in Loop: Header=BB6_7543 Depth=2
	v_mov_b64_e32 v[0:1], v[24:25]
	v_bfe_u32 v2, v24, 23, 1
; %bb.11500:                            ;   in Loop: Header=BB6_7543 Depth=2
	s_or_b32 exec_lo, exec_lo, s7
	s_delay_alu instid0(VALU_DEP_2) | instskip(NEXT) | instid1(VALU_DEP_2)
	v_lshrrev_b64 v[0:1], 21, v[0:1]
	v_cmp_gt_i32_e32 vcc_lo, 32, v2
	v_min_i32_e32 v3, 31, v2
	v_cmp_eq_u32_e64 s7, 0, v2
	s_delay_alu instid0(VALU_DEP_2) | instskip(SKIP_1) | instid1(VALU_DEP_2)
	v_dual_cndmask_b32 v1, 0, v1, vcc_lo :: v_dual_lshlrev_b32 v3, 2, v3
	v_cndmask_b32_e32 v0, 3, v0, vcc_lo
	v_and_b32_e32 v3, 0xfc, v3
	s_delay_alu instid0(VALU_DEP_2) | instskip(NEXT) | instid1(VALU_DEP_2)
	v_cmp_eq_u64_e32 vcc_lo, 0, v[0:1]
	v_and_or_b32 v0, v0, 3, v3
	s_and_b32 s7, s7, vcc_lo
	s_delay_alu instid0(VALU_DEP_1) | instid1(SALU_CYCLE_1)
	v_cndmask_b32_e64 v0, v0, 0, s7
	s_delay_alu instid0(VALU_DEP_1)
	v_or_b32_e32 v4, v0, v5
.LBB6_11501:                            ;   in Loop: Header=BB6_7543 Depth=2
	s_or_b32 exec_lo, exec_lo, s41
                                        ; implicit-def: $vgpr5
.LBB6_11502:                            ;   in Loop: Header=BB6_7543 Depth=2
	s_and_not1_saveexec_b32 s7, s14
; %bb.11503:                            ;   in Loop: Header=BB6_7543 Depth=2
	v_or_b32_e32 v4, 0x7b, v5
; %bb.11504:                            ;   in Loop: Header=BB6_7543 Depth=2
	s_or_b32 exec_lo, exec_lo, s7
                                        ; implicit-def: $vgpr3
                                        ; implicit-def: $vgpr0
.LBB6_11505:                            ;   in Loop: Header=BB6_7543 Depth=2
	s_and_not1_saveexec_b32 s7, s10
	s_cbranch_execz .LBB6_11511
; %bb.11506:                            ;   in Loop: Header=BB6_7543 Depth=2
	s_mov_b32 s10, exec_lo
                                        ; implicit-def: $vgpr4
	v_cmpx_ne_u64_e32 0, v[24:25]
	s_xor_b32 s10, exec_lo, s10
; %bb.11507:                            ;   in Loop: Header=BB6_7543 Depth=2
	v_or_b32_e32 v4, 0x7f, v0
                                        ; implicit-def: $vgpr3
; %bb.11508:                            ;   in Loop: Header=BB6_7543 Depth=2
	s_and_not1_saveexec_b32 s10, s10
; %bb.11509:                            ;   in Loop: Header=BB6_7543 Depth=2
	v_cmp_lt_i32_e32 vcc_lo, -1, v3
	v_cndmask_b32_e32 v4, 0xfc, v41, vcc_lo
; %bb.11510:                            ;   in Loop: Header=BB6_7543 Depth=2
	s_or_b32 exec_lo, exec_lo, s10
.LBB6_11511:                            ;   in Loop: Header=BB6_7543 Depth=2
	s_delay_alu instid0(SALU_CYCLE_1) | instskip(SKIP_4) | instid1(VALU_DEP_2)
	s_or_b32 exec_lo, exec_lo, s7
	v_lshrrev_b32_e32 v2, 16, v17
	v_lshrrev_b32_e32 v0, 16, v13
	s_mov_b32 s10, -1
	s_and_not1_b32 vcc_lo, exec_lo, s13
                                        ; implicit-def: $vgpr3
	v_and_b32_e32 v1, 0xff, v2
	s_delay_alu instid0(VALU_DEP_1)
	v_cmp_ne_u16_e64 s7, 0, v1
	s_cbranch_vccnz .LBB6_11533
; %bb.11512:                            ;   in Loop: Header=BB6_7543 Depth=2
	v_dual_mov_b32 v5, 0 :: v_dual_mov_b32 v3, 0
	s_and_saveexec_b32 s14, s7
	s_cbranch_execz .LBB6_11522
; %bb.11513:                            ;   in Loop: Header=BB6_7543 Depth=2
	v_bfrev_b32_e32 v3, 1
	s_mov_b32 s41, exec_lo
	v_cmpx_ne_u16_e32 0x80, v1
	s_cbranch_execz .LBB6_11521
; %bb.11514:                            ;   in Loop: Header=BB6_7543 Depth=2
	v_and_b32_e32 v3, 0x7c0000, v17
	v_bfe_u32 v24, v17, 16, 2
	s_delay_alu instid0(VALU_DEP_2) | instskip(SKIP_1) | instid1(SALU_CYCLE_1)
	v_cmp_ne_u32_e32 vcc_lo, 0x7c0000, v3
                                        ; implicit-def: $vgpr3
	s_and_saveexec_b32 s10, vcc_lo
	s_xor_b32 s10, exec_lo, s10
	s_cbranch_execz .LBB6_11518
; %bb.11515:                            ;   in Loop: Header=BB6_7543 Depth=2
	v_bfe_u32 v3, v17, 18, 5
	s_mov_b32 s42, exec_lo
	s_delay_alu instid0(VALU_DEP_1)
	v_cmpx_eq_u32_e32 0, v3
; %bb.11516:                            ;   in Loop: Header=BB6_7543 Depth=2
	v_clz_i32_u32_e32 v3, v24
	s_delay_alu instid0(VALU_DEP_1) | instskip(NEXT) | instid1(VALU_DEP_1)
	v_min_u32_e32 v3, 32, v3
	v_subrev_nc_u32_e32 v24, 29, v3
	s_delay_alu instid0(VALU_DEP_1) | instskip(NEXT) | instid1(VALU_DEP_1)
	v_lshlrev_b64_e32 v[114:115], v24, v[2:3]
	v_dual_sub_nc_u32 v3, 30, v3 :: v_dual_bitop2_b32 v24, 3, v114 bitop3:0x40
; %bb.11517:                            ;   in Loop: Header=BB6_7543 Depth=2
	s_or_b32 exec_lo, exec_lo, s42
	v_lshlrev_b32_e32 v114, 24, v2
	s_delay_alu instid0(VALU_DEP_1) | instskip(NEXT) | instid1(VALU_DEP_1)
	v_and_b32_e32 v114, 0x80000000, v114
	v_lshl_add_u32 v3, v3, 23, v114
	s_delay_alu instid0(VALU_DEP_1) | instskip(NEXT) | instid1(VALU_DEP_1)
	v_lshl_or_b32 v3, v24, 21, v3
                                        ; implicit-def: $vgpr24
	v_add_nc_u32_e32 v3, 0x38000000, v3
.LBB6_11518:                            ;   in Loop: Header=BB6_7543 Depth=2
	s_and_not1_saveexec_b32 s42, s10
; %bb.11519:                            ;   in Loop: Header=BB6_7543 Depth=2
	v_bfe_i32 v3, v2, 0, 8
	v_cmp_eq_u32_e32 vcc_lo, 0, v24
	s_delay_alu instid0(VALU_DEP_2) | instskip(NEXT) | instid1(VALU_DEP_1)
	v_cmp_lt_i16_e64 s10, -1, v3
	v_cndmask_b32_e64 v3, 0xff800000, v75, s10
	s_delay_alu instid0(VALU_DEP_1)
	v_cndmask_b32_e32 v3, 0x7f800001, v3, vcc_lo
; %bb.11520:                            ;   in Loop: Header=BB6_7543 Depth=2
	s_or_b32 exec_lo, exec_lo, s42
.LBB6_11521:                            ;   in Loop: Header=BB6_7543 Depth=2
	s_delay_alu instid0(SALU_CYCLE_1)
	s_or_b32 exec_lo, exec_lo, s41
.LBB6_11522:                            ;   in Loop: Header=BB6_7543 Depth=2
	s_delay_alu instid0(SALU_CYCLE_1) | instskip(SKIP_2) | instid1(VALU_DEP_1)
	s_or_b32 exec_lo, exec_lo, s14
	v_and_b32_e32 v24, 0xff, v0
	s_mov_b32 s14, exec_lo
	v_cmpx_ne_u16_e32 0, v24
	s_cbranch_execz .LBB6_11532
; %bb.11523:                            ;   in Loop: Header=BB6_7543 Depth=2
	v_bfrev_b32_e32 v5, 1
	s_mov_b32 s41, exec_lo
	v_cmpx_ne_u16_e32 0x80, v24
	s_cbranch_execz .LBB6_11531
; %bb.11524:                            ;   in Loop: Header=BB6_7543 Depth=2
	v_and_b32_e32 v5, 0x7c0000, v13
	v_bfe_u32 v24, v13, 16, 2
	s_delay_alu instid0(VALU_DEP_2) | instskip(SKIP_1) | instid1(SALU_CYCLE_1)
	v_cmp_ne_u32_e32 vcc_lo, 0x7c0000, v5
                                        ; implicit-def: $vgpr5
	s_and_saveexec_b32 s10, vcc_lo
	s_xor_b32 s10, exec_lo, s10
	s_cbranch_execz .LBB6_11528
; %bb.11525:                            ;   in Loop: Header=BB6_7543 Depth=2
	v_bfe_u32 v5, v13, 18, 5
	s_mov_b32 s42, exec_lo
	s_delay_alu instid0(VALU_DEP_1)
	v_cmpx_eq_u32_e32 0, v5
; %bb.11526:                            ;   in Loop: Header=BB6_7543 Depth=2
	v_clz_i32_u32_e32 v5, v24
	s_delay_alu instid0(VALU_DEP_1) | instskip(NEXT) | instid1(VALU_DEP_1)
	v_min_u32_e32 v5, 32, v5
	v_subrev_nc_u32_e32 v24, 29, v5
	s_delay_alu instid0(VALU_DEP_1) | instskip(NEXT) | instid1(VALU_DEP_1)
	v_lshlrev_b64_e32 v[114:115], v24, v[0:1]
	v_dual_sub_nc_u32 v5, 30, v5 :: v_dual_bitop2_b32 v24, 3, v114 bitop3:0x40
; %bb.11527:                            ;   in Loop: Header=BB6_7543 Depth=2
	s_or_b32 exec_lo, exec_lo, s42
	v_lshlrev_b32_e32 v114, 24, v0
	s_delay_alu instid0(VALU_DEP_1) | instskip(NEXT) | instid1(VALU_DEP_1)
	v_and_b32_e32 v114, 0x80000000, v114
	v_lshl_add_u32 v5, v5, 23, v114
	s_delay_alu instid0(VALU_DEP_1) | instskip(NEXT) | instid1(VALU_DEP_1)
	v_lshl_or_b32 v5, v24, 21, v5
                                        ; implicit-def: $vgpr24
	v_add_nc_u32_e32 v5, 0x38000000, v5
.LBB6_11528:                            ;   in Loop: Header=BB6_7543 Depth=2
	s_and_not1_saveexec_b32 s42, s10
; %bb.11529:                            ;   in Loop: Header=BB6_7543 Depth=2
	v_bfe_i32 v5, v0, 0, 8
	v_cmp_eq_u32_e32 vcc_lo, 0, v24
	s_delay_alu instid0(VALU_DEP_2) | instskip(NEXT) | instid1(VALU_DEP_1)
	v_cmp_lt_i16_e64 s10, -1, v5
	v_cndmask_b32_e64 v5, 0xff800000, v75, s10
	s_delay_alu instid0(VALU_DEP_1)
	v_cndmask_b32_e32 v5, 0x7f800001, v5, vcc_lo
; %bb.11530:                            ;   in Loop: Header=BB6_7543 Depth=2
	s_or_b32 exec_lo, exec_lo, s42
.LBB6_11531:                            ;   in Loop: Header=BB6_7543 Depth=2
	s_delay_alu instid0(SALU_CYCLE_1)
	s_or_b32 exec_lo, exec_lo, s41
.LBB6_11532:                            ;   in Loop: Header=BB6_7543 Depth=2
	s_delay_alu instid0(SALU_CYCLE_1) | instskip(NEXT) | instid1(VALU_DEP_1)
	s_or_b32 exec_lo, exec_lo, s14
	v_dual_max_num_f32 v5, v5, v5 :: v_dual_max_num_f32 v3, v3, v3
	s_mov_b32 s10, 0
	s_delay_alu instid0(VALU_DEP_1)
	v_max_num_f32_e32 v3, v3, v5
.LBB6_11533:                            ;   in Loop: Header=BB6_7543 Depth=2
	s_and_b32 vcc_lo, exec_lo, s10
	s_cbranch_vccz .LBB6_11555
; %bb.11534:                            ;   in Loop: Header=BB6_7543 Depth=2
	v_dual_mov_b32 v5, 0 :: v_dual_mov_b32 v3, 0
	s_and_saveexec_b32 s10, s7
	s_cbranch_execz .LBB6_11544
; %bb.11535:                            ;   in Loop: Header=BB6_7543 Depth=2
	v_bfrev_b32_e32 v3, 1
	s_mov_b32 s14, exec_lo
	v_cmpx_ne_u16_e32 0x80, v1
	s_cbranch_execz .LBB6_11543
; %bb.11536:                            ;   in Loop: Header=BB6_7543 Depth=2
	v_and_b32_e32 v3, 0x7c0000, v17
	v_bfe_u32 v1, v17, 16, 2
	s_delay_alu instid0(VALU_DEP_2) | instskip(SKIP_1) | instid1(SALU_CYCLE_1)
	v_cmp_ne_u32_e32 vcc_lo, 0x7c0000, v3
                                        ; implicit-def: $vgpr3
	s_and_saveexec_b32 s7, vcc_lo
	s_xor_b32 s7, exec_lo, s7
	s_cbranch_execz .LBB6_11540
; %bb.11537:                            ;   in Loop: Header=BB6_7543 Depth=2
	v_bfe_u32 v3, v17, 18, 5
	s_mov_b32 s41, exec_lo
	s_delay_alu instid0(VALU_DEP_1)
	v_cmpx_eq_u32_e32 0, v3
; %bb.11538:                            ;   in Loop: Header=BB6_7543 Depth=2
	v_clz_i32_u32_e32 v1, v1
	s_delay_alu instid0(VALU_DEP_1) | instskip(NEXT) | instid1(VALU_DEP_1)
	v_min_u32_e32 v1, 32, v1
	v_subrev_nc_u32_e32 v3, 29, v1
	s_delay_alu instid0(VALU_DEP_1) | instskip(NEXT) | instid1(VALU_DEP_1)
	v_lshlrev_b64_e32 v[114:115], v3, v[2:3]
	v_dual_sub_nc_u32 v3, 30, v1 :: v_dual_bitop2_b32 v1, 3, v114 bitop3:0x40
; %bb.11539:                            ;   in Loop: Header=BB6_7543 Depth=2
	s_or_b32 exec_lo, exec_lo, s41
	v_lshlrev_b32_e32 v2, 24, v2
	s_delay_alu instid0(VALU_DEP_1) | instskip(NEXT) | instid1(VALU_DEP_1)
	v_and_b32_e32 v2, 0x80000000, v2
	v_lshl_add_u32 v2, v3, 23, v2
	s_delay_alu instid0(VALU_DEP_1) | instskip(NEXT) | instid1(VALU_DEP_1)
	v_lshl_or_b32 v1, v1, 21, v2
                                        ; implicit-def: $vgpr2
	v_add_nc_u32_e32 v3, 0x38000000, v1
                                        ; implicit-def: $vgpr1
.LBB6_11540:                            ;   in Loop: Header=BB6_7543 Depth=2
	s_and_not1_saveexec_b32 s41, s7
; %bb.11541:                            ;   in Loop: Header=BB6_7543 Depth=2
	v_bfe_i32 v2, v2, 0, 8
	v_cmp_eq_u32_e32 vcc_lo, 0, v1
	s_delay_alu instid0(VALU_DEP_2) | instskip(NEXT) | instid1(VALU_DEP_1)
	v_cmp_lt_i16_e64 s7, -1, v2
	v_cndmask_b32_e64 v1, 0xff800000, v75, s7
	s_delay_alu instid0(VALU_DEP_1)
	v_cndmask_b32_e32 v3, 0x7f800001, v1, vcc_lo
; %bb.11542:                            ;   in Loop: Header=BB6_7543 Depth=2
	s_or_b32 exec_lo, exec_lo, s41
.LBB6_11543:                            ;   in Loop: Header=BB6_7543 Depth=2
	s_delay_alu instid0(SALU_CYCLE_1)
	s_or_b32 exec_lo, exec_lo, s14
.LBB6_11544:                            ;   in Loop: Header=BB6_7543 Depth=2
	s_delay_alu instid0(SALU_CYCLE_1) | instskip(SKIP_2) | instid1(VALU_DEP_1)
	s_or_b32 exec_lo, exec_lo, s10
	v_and_b32_e32 v1, 0xff, v0
	s_mov_b32 s10, exec_lo
	v_cmpx_ne_u16_e32 0, v1
	s_cbranch_execz .LBB6_11554
; %bb.11545:                            ;   in Loop: Header=BB6_7543 Depth=2
	v_bfrev_b32_e32 v5, 1
	s_mov_b32 s14, exec_lo
	v_cmpx_ne_u16_e32 0x80, v1
	s_cbranch_execz .LBB6_11553
; %bb.11546:                            ;   in Loop: Header=BB6_7543 Depth=2
	v_and_b32_e32 v2, 0x7c0000, v13
	v_bfe_u32 v1, v13, 16, 2
	s_mov_b32 s7, exec_lo
                                        ; implicit-def: $vgpr5
	s_delay_alu instid0(VALU_DEP_2)
	v_cmpx_ne_u32_e32 0x7c0000, v2
	s_xor_b32 s7, exec_lo, s7
	s_cbranch_execz .LBB6_11550
; %bb.11547:                            ;   in Loop: Header=BB6_7543 Depth=2
	v_bfe_u32 v2, v13, 18, 5
	s_mov_b32 s41, exec_lo
	s_delay_alu instid0(VALU_DEP_1)
	v_cmpx_eq_u32_e32 0, v2
; %bb.11548:                            ;   in Loop: Header=BB6_7543 Depth=2
	v_clz_i32_u32_e32 v1, v1
	s_delay_alu instid0(VALU_DEP_1) | instskip(NEXT) | instid1(VALU_DEP_1)
	v_min_u32_e32 v1, 32, v1
	v_subrev_nc_u32_e32 v2, 29, v1
	s_delay_alu instid0(VALU_DEP_1) | instskip(NEXT) | instid1(VALU_DEP_1)
	v_lshlrev_b64_e32 v[114:115], v2, v[0:1]
	v_dual_sub_nc_u32 v2, 30, v1 :: v_dual_bitop2_b32 v1, 3, v114 bitop3:0x40
; %bb.11549:                            ;   in Loop: Header=BB6_7543 Depth=2
	s_or_b32 exec_lo, exec_lo, s41
	v_lshlrev_b32_e32 v0, 24, v0
	s_delay_alu instid0(VALU_DEP_1) | instskip(NEXT) | instid1(VALU_DEP_1)
	v_and_b32_e32 v0, 0x80000000, v0
	v_lshl_add_u32 v0, v2, 23, v0
	s_delay_alu instid0(VALU_DEP_1) | instskip(NEXT) | instid1(VALU_DEP_1)
	v_lshl_or_b32 v0, v1, 21, v0
                                        ; implicit-def: $vgpr1
	v_add_nc_u32_e32 v5, 0x38000000, v0
                                        ; implicit-def: $vgpr0
.LBB6_11550:                            ;   in Loop: Header=BB6_7543 Depth=2
	s_and_not1_saveexec_b32 s41, s7
; %bb.11551:                            ;   in Loop: Header=BB6_7543 Depth=2
	v_bfe_i32 v0, v0, 0, 8
	v_cmp_eq_u32_e32 vcc_lo, 0, v1
	s_delay_alu instid0(VALU_DEP_2) | instskip(NEXT) | instid1(VALU_DEP_1)
	v_cmp_lt_i16_e64 s7, -1, v0
	v_cndmask_b32_e64 v0, 0xff800000, v75, s7
	s_delay_alu instid0(VALU_DEP_1)
	v_cndmask_b32_e32 v5, 0x7f800001, v0, vcc_lo
; %bb.11552:                            ;   in Loop: Header=BB6_7543 Depth=2
	s_or_b32 exec_lo, exec_lo, s41
.LBB6_11553:                            ;   in Loop: Header=BB6_7543 Depth=2
	s_delay_alu instid0(SALU_CYCLE_1)
	s_or_b32 exec_lo, exec_lo, s14
.LBB6_11554:                            ;   in Loop: Header=BB6_7543 Depth=2
	s_delay_alu instid0(SALU_CYCLE_1) | instskip(NEXT) | instid1(VALU_DEP_1)
	s_or_b32 exec_lo, exec_lo, s10
	v_dual_max_num_f32 v0, v5, v5 :: v_dual_max_num_f32 v1, v3, v3
	s_delay_alu instid0(VALU_DEP_1)
	v_min_num_f32_e32 v3, v1, v0
.LBB6_11555:                            ;   in Loop: Header=BB6_7543 Depth=2
	s_delay_alu instid0(VALU_DEP_1) | instskip(SKIP_2) | instid1(VALU_DEP_2)
	v_and_b32_e32 v0, 0x7f800000, v3
	v_mov_b32_e32 v1, v25
	v_and_b32_e32 v24, 0x7fffff, v3
                                        ; implicit-def: $vgpr5
	v_cmp_ne_u64_e32 vcc_lo, 0x7f800000, v[0:1]
	v_lshrrev_b32_e32 v0, 24, v3
	s_and_saveexec_b32 s7, vcc_lo
	s_delay_alu instid0(SALU_CYCLE_1)
	s_xor_b32 s10, exec_lo, s7
	s_cbranch_execz .LBB6_11569
; %bb.11556:                            ;   in Loop: Header=BB6_7543 Depth=2
	v_and_b32_e32 v114, 0x7fffffff, v3
	v_mov_b32_e32 v115, v25
                                        ; implicit-def: $vgpr5
	s_delay_alu instid0(VALU_DEP_1) | instskip(SKIP_2) | instid1(SALU_CYCLE_1)
	v_cmp_gt_u64_e32 vcc_lo, 0x47600001, v[114:115]
	v_and_b32_e32 v114, 0x80, v0
	s_and_saveexec_b32 s7, vcc_lo
	s_xor_b32 s14, exec_lo, s7
	s_cbranch_execz .LBB6_11566
; %bb.11557:                            ;   in Loop: Header=BB6_7543 Depth=2
	v_mov_b32_e32 v5, 0
	s_mov_b32 s41, exec_lo
	v_cmpx_ne_u32_e32 0, v3
	s_cbranch_execz .LBB6_11565
; %bb.11558:                            ;   in Loop: Header=BB6_7543 Depth=2
	v_bfe_u32 v5, v3, 23, 8
	v_or_b32_e32 v1, 0x800000, v24
	s_delay_alu instid0(VALU_DEP_2) | instskip(SKIP_2) | instid1(VALU_DEP_2)
	v_cmp_gt_u32_e64 s7, 0x72, v5
	v_sub_nc_u32_e32 v0, 0x71, v5
	v_cmp_eq_u32_e32 vcc_lo, 0, v5
	v_cndmask_b32_e64 v0, 0, v0, s7
	s_delay_alu instid0(VALU_DEP_1) | instskip(NEXT) | instid1(VALU_DEP_1)
	v_cndmask_b32_e64 v115, v0, 0x70, vcc_lo
	v_dual_cndmask_b32 v24, v1, v24, vcc_lo :: v_dual_add_nc_u32 v0, 21, v115
	v_add_nc_u32_e32 v2, 20, v115
	s_delay_alu instid0(VALU_DEP_2) | instskip(NEXT) | instid1(VALU_DEP_2)
	v_lshlrev_b64_e64 v[0:1], v0, -1
	v_lshlrev_b64_e64 v[2:3], v2, 1
	s_delay_alu instid0(VALU_DEP_2) | instskip(NEXT) | instid1(VALU_DEP_3)
	v_bfi_b32 v1, v1, 0, 0
	v_bfi_b32 v0, v0, 0, v24
	s_delay_alu instid0(VALU_DEP_1) | instskip(SKIP_1) | instid1(VALU_DEP_1)
	v_cmp_eq_u64_e64 s7, v[0:1], v[2:3]
	v_lshrrev_b64 v[0:1], v115, v[24:25]
	v_mov_b64_e32 v[2:3], v[0:1]
	s_and_saveexec_b32 s42, s7
; %bb.11559:                            ;   in Loop: Header=BB6_7543 Depth=2
	v_bfe_u32 v24, v0, 21, 1
	s_delay_alu instid0(VALU_DEP_1) | instskip(NEXT) | instid1(VALU_DEP_1)
	v_add_nc_u64_e32 v[2:3], v[0:1], v[24:25]
	v_add_nc_u64_e32 v[2:3], -1, v[2:3]
; %bb.11560:                            ;   in Loop: Header=BB6_7543 Depth=2
	s_or_b32 exec_lo, exec_lo, s42
	v_add_nc_u32_e32 v1, 0xffffff81, v5
	v_lshrrev_b32_e32 v3, 23, v0
	s_mov_b32 s7, exec_lo
	s_delay_alu instid0(VALU_DEP_2) | instskip(NEXT) | instid1(VALU_DEP_1)
	v_cndmask_b32_e64 v1, v1, 0xffffff82, vcc_lo
	v_add3_u32 v5, v115, v1, v3
	v_and_b32_e32 v1, 0x1fffff, v2
                                        ; implicit-def: $vgpr2
	s_delay_alu instid0(VALU_DEP_1) | instskip(NEXT) | instid1(VALU_DEP_1)
	v_dual_add_nc_u32 v3, 14, v5 :: v_dual_add_nc_u32 v24, v1, v0
                                        ; implicit-def: $vgpr0_vgpr1
	v_cmpx_ne_u32_e32 0, v3
	s_xor_b32 s7, exec_lo, s7
; %bb.11561:                            ;   in Loop: Header=BB6_7543 Depth=2
	s_delay_alu instid0(VALU_DEP_2) | instskip(SKIP_1) | instid1(VALU_DEP_1)
	v_cmp_lt_u64_e32 vcc_lo, 0xffffff, v[24:25]
	v_add_nc_u32_e32 v0, 15, v5
	v_cndmask_b32_e32 v2, v3, v0, vcc_lo
	v_cndmask_b32_e64 v0, 0, 1, vcc_lo
	s_delay_alu instid0(VALU_DEP_1)
	v_lshrrev_b64 v[0:1], v0, v[24:25]
; %bb.11562:                            ;   in Loop: Header=BB6_7543 Depth=2
	s_and_not1_saveexec_b32 s7, s7
; %bb.11563:                            ;   in Loop: Header=BB6_7543 Depth=2
	v_mov_b64_e32 v[0:1], v[24:25]
	v_bfe_u32 v2, v24, 23, 1
; %bb.11564:                            ;   in Loop: Header=BB6_7543 Depth=2
	s_or_b32 exec_lo, exec_lo, s7
	s_delay_alu instid0(VALU_DEP_2) | instskip(NEXT) | instid1(VALU_DEP_2)
	v_lshrrev_b64 v[0:1], 21, v[0:1]
	v_cmp_gt_i32_e32 vcc_lo, 32, v2
	v_min_i32_e32 v3, 31, v2
	v_cmp_eq_u32_e64 s7, 0, v2
	s_delay_alu instid0(VALU_DEP_2) | instskip(SKIP_1) | instid1(VALU_DEP_2)
	v_dual_cndmask_b32 v1, 0, v1, vcc_lo :: v_dual_lshlrev_b32 v3, 2, v3
	v_cndmask_b32_e32 v0, 3, v0, vcc_lo
	v_and_b32_e32 v3, 0xfc, v3
	s_delay_alu instid0(VALU_DEP_2) | instskip(NEXT) | instid1(VALU_DEP_2)
	v_cmp_eq_u64_e32 vcc_lo, 0, v[0:1]
	v_and_or_b32 v0, v0, 3, v3
	s_and_b32 s7, s7, vcc_lo
	s_delay_alu instid0(VALU_DEP_1) | instid1(SALU_CYCLE_1)
	v_cndmask_b32_e64 v0, v0, 0, s7
	s_delay_alu instid0(VALU_DEP_1)
	v_or_b32_e32 v5, v0, v114
.LBB6_11565:                            ;   in Loop: Header=BB6_7543 Depth=2
	s_or_b32 exec_lo, exec_lo, s41
                                        ; implicit-def: $vgpr114
.LBB6_11566:                            ;   in Loop: Header=BB6_7543 Depth=2
	s_and_not1_saveexec_b32 s7, s14
; %bb.11567:                            ;   in Loop: Header=BB6_7543 Depth=2
	v_or_b32_e32 v5, 0x7b, v114
; %bb.11568:                            ;   in Loop: Header=BB6_7543 Depth=2
	s_or_b32 exec_lo, exec_lo, s7
                                        ; implicit-def: $vgpr3
                                        ; implicit-def: $vgpr0
.LBB6_11569:                            ;   in Loop: Header=BB6_7543 Depth=2
	s_and_not1_saveexec_b32 s7, s10
	s_cbranch_execz .LBB6_11575
; %bb.11570:                            ;   in Loop: Header=BB6_7543 Depth=2
	s_mov_b32 s10, exec_lo
                                        ; implicit-def: $vgpr5
	v_cmpx_ne_u64_e32 0, v[24:25]
	s_xor_b32 s10, exec_lo, s10
; %bb.11571:                            ;   in Loop: Header=BB6_7543 Depth=2
	v_or_b32_e32 v5, 0x7f, v0
                                        ; implicit-def: $vgpr3
; %bb.11572:                            ;   in Loop: Header=BB6_7543 Depth=2
	s_and_not1_saveexec_b32 s10, s10
; %bb.11573:                            ;   in Loop: Header=BB6_7543 Depth=2
	v_cmp_lt_i32_e32 vcc_lo, -1, v3
	v_cndmask_b32_e32 v5, 0xfc, v41, vcc_lo
; %bb.11574:                            ;   in Loop: Header=BB6_7543 Depth=2
	s_or_b32 exec_lo, exec_lo, s10
.LBB6_11575:                            ;   in Loop: Header=BB6_7543 Depth=2
	s_delay_alu instid0(SALU_CYCLE_1)
	s_or_b32 exec_lo, exec_lo, s7
	v_cmp_lt_u64_e64 s7, s[16:17], v[16:17]
	v_lshrrev_b32_e32 v2, 24, v17
	v_lshrrev_b32_e32 v0, 24, v13
	s_mov_b32 s10, -1
	s_and_not1_b32 vcc_lo, exec_lo, s13
                                        ; implicit-def: $vgpr1
	s_cbranch_vccnz .LBB6_11597
; %bb.11576:                            ;   in Loop: Header=BB6_7543 Depth=2
	v_dual_mov_b32 v3, 0 :: v_dual_mov_b32 v1, 0
	s_and_saveexec_b32 s14, s7
	s_cbranch_execz .LBB6_11586
; %bb.11577:                            ;   in Loop: Header=BB6_7543 Depth=2
	v_bfrev_b32_e32 v1, 1
	s_mov_b32 s41, exec_lo
	v_cmpx_ne_u32_e32 0x80, v2
	s_cbranch_execz .LBB6_11585
; %bb.11578:                            ;   in Loop: Header=BB6_7543 Depth=2
	v_and_b32_e32 v1, 0x7c000000, v17
	v_bfe_u32 v24, v17, 24, 2
	s_delay_alu instid0(VALU_DEP_2) | instskip(SKIP_1) | instid1(SALU_CYCLE_1)
	v_cmp_ne_u32_e32 vcc_lo, 0x7c000000, v1
                                        ; implicit-def: $vgpr1
	s_and_saveexec_b32 s10, vcc_lo
	s_xor_b32 s10, exec_lo, s10
	s_cbranch_execz .LBB6_11582
; %bb.11579:                            ;   in Loop: Header=BB6_7543 Depth=2
	v_bfe_u32 v1, v17, 26, 5
	s_mov_b32 s42, exec_lo
	s_delay_alu instid0(VALU_DEP_1)
	v_cmpx_eq_u32_e32 0, v1
; %bb.11580:                            ;   in Loop: Header=BB6_7543 Depth=2
	v_clz_i32_u32_e32 v1, v24
	s_delay_alu instid0(VALU_DEP_1) | instskip(NEXT) | instid1(VALU_DEP_1)
	v_min_u32_e32 v1, 32, v1
	v_subrev_nc_u32_e32 v24, 29, v1
	s_delay_alu instid0(VALU_DEP_1) | instskip(NEXT) | instid1(VALU_DEP_1)
	v_lshlrev_b64_e32 v[114:115], v24, v[2:3]
	v_dual_sub_nc_u32 v1, 30, v1 :: v_dual_bitop2_b32 v24, 3, v114 bitop3:0x40
; %bb.11581:                            ;   in Loop: Header=BB6_7543 Depth=2
	s_or_b32 exec_lo, exec_lo, s42
	v_and_b32_e32 v114, 0x80000000, v17
	s_delay_alu instid0(VALU_DEP_1) | instskip(NEXT) | instid1(VALU_DEP_1)
	v_lshl_add_u32 v1, v1, 23, v114
	v_lshl_or_b32 v1, v24, 21, v1
                                        ; implicit-def: $vgpr24
	s_delay_alu instid0(VALU_DEP_1)
	v_add_nc_u32_e32 v1, 0x38000000, v1
.LBB6_11582:                            ;   in Loop: Header=BB6_7543 Depth=2
	s_and_not1_saveexec_b32 s42, s10
; %bb.11583:                            ;   in Loop: Header=BB6_7543 Depth=2
	v_cmp_lt_i64_e64 s10, -1, v[16:17]
	v_cmp_eq_u32_e32 vcc_lo, 0, v24
	s_delay_alu instid0(VALU_DEP_2) | instskip(NEXT) | instid1(VALU_DEP_1)
	v_cndmask_b32_e64 v1, 0xff800000, v75, s10
	v_cndmask_b32_e32 v1, 0x7f800001, v1, vcc_lo
; %bb.11584:                            ;   in Loop: Header=BB6_7543 Depth=2
	s_or_b32 exec_lo, exec_lo, s42
.LBB6_11585:                            ;   in Loop: Header=BB6_7543 Depth=2
	s_delay_alu instid0(SALU_CYCLE_1)
	s_or_b32 exec_lo, exec_lo, s41
.LBB6_11586:                            ;   in Loop: Header=BB6_7543 Depth=2
	s_delay_alu instid0(SALU_CYCLE_1) | instskip(NEXT) | instid1(SALU_CYCLE_1)
	s_or_b32 exec_lo, exec_lo, s14
	s_mov_b32 s14, exec_lo
	v_cmpx_lt_u64_e64 s[16:17], v[12:13]
	s_cbranch_execz .LBB6_11596
; %bb.11587:                            ;   in Loop: Header=BB6_7543 Depth=2
	v_bfrev_b32_e32 v3, 1
	s_mov_b32 s41, exec_lo
	v_cmpx_ne_u32_e32 0x80, v0
	s_cbranch_execz .LBB6_11595
; %bb.11588:                            ;   in Loop: Header=BB6_7543 Depth=2
	v_and_b32_e32 v3, 0x7c000000, v13
	v_bfe_u32 v24, v13, 24, 2
	s_delay_alu instid0(VALU_DEP_2) | instskip(SKIP_1) | instid1(SALU_CYCLE_1)
	v_cmp_ne_u32_e32 vcc_lo, 0x7c000000, v3
                                        ; implicit-def: $vgpr3
	s_and_saveexec_b32 s10, vcc_lo
	s_xor_b32 s10, exec_lo, s10
	s_cbranch_execz .LBB6_11592
; %bb.11589:                            ;   in Loop: Header=BB6_7543 Depth=2
	v_bfe_u32 v3, v13, 26, 5
	s_mov_b32 s42, exec_lo
	s_delay_alu instid0(VALU_DEP_1)
	v_cmpx_eq_u32_e32 0, v3
; %bb.11590:                            ;   in Loop: Header=BB6_7543 Depth=2
	v_clz_i32_u32_e32 v3, v24
	s_delay_alu instid0(VALU_DEP_1) | instskip(NEXT) | instid1(VALU_DEP_1)
	v_min_u32_e32 v3, 32, v3
	v_subrev_nc_u32_e32 v24, 29, v3
	s_delay_alu instid0(VALU_DEP_1) | instskip(NEXT) | instid1(VALU_DEP_1)
	v_lshlrev_b64_e32 v[114:115], v24, v[0:1]
	v_dual_sub_nc_u32 v3, 30, v3 :: v_dual_bitop2_b32 v24, 3, v114 bitop3:0x40
; %bb.11591:                            ;   in Loop: Header=BB6_7543 Depth=2
	s_or_b32 exec_lo, exec_lo, s42
	v_and_b32_e32 v114, 0x80000000, v13
	s_delay_alu instid0(VALU_DEP_1) | instskip(NEXT) | instid1(VALU_DEP_1)
	v_lshl_add_u32 v3, v3, 23, v114
	v_lshl_or_b32 v3, v24, 21, v3
                                        ; implicit-def: $vgpr24
	s_delay_alu instid0(VALU_DEP_1)
	v_add_nc_u32_e32 v3, 0x38000000, v3
.LBB6_11592:                            ;   in Loop: Header=BB6_7543 Depth=2
	s_and_not1_saveexec_b32 s42, s10
; %bb.11593:                            ;   in Loop: Header=BB6_7543 Depth=2
	v_cmp_lt_i64_e64 s10, -1, v[12:13]
	v_cmp_eq_u32_e32 vcc_lo, 0, v24
	s_delay_alu instid0(VALU_DEP_2) | instskip(NEXT) | instid1(VALU_DEP_1)
	v_cndmask_b32_e64 v3, 0xff800000, v75, s10
	v_cndmask_b32_e32 v3, 0x7f800001, v3, vcc_lo
; %bb.11594:                            ;   in Loop: Header=BB6_7543 Depth=2
	s_or_b32 exec_lo, exec_lo, s42
.LBB6_11595:                            ;   in Loop: Header=BB6_7543 Depth=2
	s_delay_alu instid0(SALU_CYCLE_1)
	s_or_b32 exec_lo, exec_lo, s41
.LBB6_11596:                            ;   in Loop: Header=BB6_7543 Depth=2
	s_delay_alu instid0(SALU_CYCLE_1) | instskip(NEXT) | instid1(VALU_DEP_1)
	s_or_b32 exec_lo, exec_lo, s14
	v_dual_max_num_f32 v3, v3, v3 :: v_dual_max_num_f32 v1, v1, v1
	s_mov_b32 s10, 0
	s_delay_alu instid0(VALU_DEP_1)
	v_max_num_f32_e32 v1, v1, v3
.LBB6_11597:                            ;   in Loop: Header=BB6_7543 Depth=2
	s_and_b32 vcc_lo, exec_lo, s10
	s_cbranch_vccz .LBB6_11619
; %bb.11598:                            ;   in Loop: Header=BB6_7543 Depth=2
	v_dual_mov_b32 v3, 0 :: v_dual_mov_b32 v1, 0
	s_and_saveexec_b32 s10, s7
	s_cbranch_execz .LBB6_11608
; %bb.11599:                            ;   in Loop: Header=BB6_7543 Depth=2
	v_bfrev_b32_e32 v1, 1
	s_mov_b32 s14, exec_lo
	v_cmpx_ne_u32_e32 0x80, v2
	s_cbranch_execz .LBB6_11607
; %bb.11600:                            ;   in Loop: Header=BB6_7543 Depth=2
	v_and_b32_e32 v1, 0x7c000000, v17
	v_bfe_u32 v24, v17, 24, 2
	s_delay_alu instid0(VALU_DEP_2) | instskip(SKIP_1) | instid1(SALU_CYCLE_1)
	v_cmp_ne_u32_e32 vcc_lo, 0x7c000000, v1
                                        ; implicit-def: $vgpr1
	s_and_saveexec_b32 s7, vcc_lo
	s_xor_b32 s7, exec_lo, s7
	s_cbranch_execz .LBB6_11604
; %bb.11601:                            ;   in Loop: Header=BB6_7543 Depth=2
	v_bfe_u32 v1, v17, 26, 5
	s_mov_b32 s41, exec_lo
	s_delay_alu instid0(VALU_DEP_1)
	v_cmpx_eq_u32_e32 0, v1
; %bb.11602:                            ;   in Loop: Header=BB6_7543 Depth=2
	v_clz_i32_u32_e32 v1, v24
	s_delay_alu instid0(VALU_DEP_1) | instskip(NEXT) | instid1(VALU_DEP_1)
	v_min_u32_e32 v1, 32, v1
	v_subrev_nc_u32_e32 v16, 29, v1
	s_delay_alu instid0(VALU_DEP_1) | instskip(NEXT) | instid1(VALU_DEP_1)
	v_lshlrev_b64_e32 v[114:115], v16, v[2:3]
	v_dual_sub_nc_u32 v1, 30, v1 :: v_dual_bitop2_b32 v24, 3, v114 bitop3:0x40
; %bb.11603:                            ;   in Loop: Header=BB6_7543 Depth=2
	s_or_b32 exec_lo, exec_lo, s41
	v_and_b32_e32 v2, 0x80000000, v17
                                        ; implicit-def: $vgpr16_vgpr17
	s_delay_alu instid0(VALU_DEP_1) | instskip(NEXT) | instid1(VALU_DEP_1)
	v_lshl_add_u32 v1, v1, 23, v2
	v_lshl_or_b32 v1, v24, 21, v1
                                        ; implicit-def: $vgpr24
	s_delay_alu instid0(VALU_DEP_1)
	v_add_nc_u32_e32 v1, 0x38000000, v1
.LBB6_11604:                            ;   in Loop: Header=BB6_7543 Depth=2
	s_and_not1_saveexec_b32 s41, s7
; %bb.11605:                            ;   in Loop: Header=BB6_7543 Depth=2
	v_cmp_lt_i64_e64 s7, -1, v[16:17]
	v_cmp_eq_u32_e32 vcc_lo, 0, v24
	s_delay_alu instid0(VALU_DEP_2) | instskip(NEXT) | instid1(VALU_DEP_1)
	v_cndmask_b32_e64 v1, 0xff800000, v75, s7
	v_cndmask_b32_e32 v1, 0x7f800001, v1, vcc_lo
; %bb.11606:                            ;   in Loop: Header=BB6_7543 Depth=2
	s_or_b32 exec_lo, exec_lo, s41
.LBB6_11607:                            ;   in Loop: Header=BB6_7543 Depth=2
	s_delay_alu instid0(SALU_CYCLE_1)
	s_or_b32 exec_lo, exec_lo, s14
.LBB6_11608:                            ;   in Loop: Header=BB6_7543 Depth=2
	s_delay_alu instid0(SALU_CYCLE_1) | instskip(NEXT) | instid1(SALU_CYCLE_1)
	s_or_b32 exec_lo, exec_lo, s10
	s_mov_b32 s10, exec_lo
	v_cmpx_lt_u64_e64 s[16:17], v[12:13]
	s_cbranch_execz .LBB6_11618
; %bb.11609:                            ;   in Loop: Header=BB6_7543 Depth=2
	v_bfrev_b32_e32 v3, 1
	s_mov_b32 s14, exec_lo
	v_cmpx_ne_u32_e32 0x80, v0
	s_cbranch_execz .LBB6_11617
; %bb.11610:                            ;   in Loop: Header=BB6_7543 Depth=2
	v_and_b32_e32 v3, 0x7c000000, v13
	v_bfe_u32 v2, v13, 24, 2
	s_delay_alu instid0(VALU_DEP_2) | instskip(SKIP_1) | instid1(SALU_CYCLE_1)
	v_cmp_ne_u32_e32 vcc_lo, 0x7c000000, v3
                                        ; implicit-def: $vgpr3
	s_and_saveexec_b32 s7, vcc_lo
	s_xor_b32 s7, exec_lo, s7
	s_cbranch_execz .LBB6_11614
; %bb.11611:                            ;   in Loop: Header=BB6_7543 Depth=2
	v_bfe_u32 v3, v13, 26, 5
	s_mov_b32 s41, exec_lo
	s_delay_alu instid0(VALU_DEP_1)
	v_cmpx_eq_u32_e32 0, v3
; %bb.11612:                            ;   in Loop: Header=BB6_7543 Depth=2
	v_clz_i32_u32_e32 v2, v2
	s_delay_alu instid0(VALU_DEP_1) | instskip(NEXT) | instid1(VALU_DEP_1)
	v_min_u32_e32 v12, 32, v2
	v_subrev_nc_u32_e32 v2, 29, v12
	s_delay_alu instid0(VALU_DEP_1) | instskip(NEXT) | instid1(VALU_DEP_1)
	v_lshlrev_b64_e32 v[2:3], v2, v[0:1]
	v_dual_sub_nc_u32 v3, 30, v12 :: v_dual_bitop2_b32 v2, 3, v2 bitop3:0x40
; %bb.11613:                            ;   in Loop: Header=BB6_7543 Depth=2
	s_or_b32 exec_lo, exec_lo, s41
	v_and_b32_e32 v0, 0x80000000, v13
                                        ; implicit-def: $vgpr12_vgpr13
	s_delay_alu instid0(VALU_DEP_1) | instskip(NEXT) | instid1(VALU_DEP_1)
	v_lshl_add_u32 v0, v3, 23, v0
	v_lshl_or_b32 v0, v2, 21, v0
                                        ; implicit-def: $vgpr2
	s_delay_alu instid0(VALU_DEP_1)
	v_add_nc_u32_e32 v3, 0x38000000, v0
.LBB6_11614:                            ;   in Loop: Header=BB6_7543 Depth=2
	s_and_not1_saveexec_b32 s41, s7
; %bb.11615:                            ;   in Loop: Header=BB6_7543 Depth=2
	v_cmp_lt_i64_e64 s7, -1, v[12:13]
	v_cmp_eq_u32_e32 vcc_lo, 0, v2
	s_delay_alu instid0(VALU_DEP_2) | instskip(NEXT) | instid1(VALU_DEP_1)
	v_cndmask_b32_e64 v0, 0xff800000, v75, s7
	v_cndmask_b32_e32 v3, 0x7f800001, v0, vcc_lo
; %bb.11616:                            ;   in Loop: Header=BB6_7543 Depth=2
	s_or_b32 exec_lo, exec_lo, s41
.LBB6_11617:                            ;   in Loop: Header=BB6_7543 Depth=2
	s_delay_alu instid0(SALU_CYCLE_1)
	s_or_b32 exec_lo, exec_lo, s14
.LBB6_11618:                            ;   in Loop: Header=BB6_7543 Depth=2
	s_delay_alu instid0(SALU_CYCLE_1) | instskip(NEXT) | instid1(VALU_DEP_1)
	s_or_b32 exec_lo, exec_lo, s10
	v_dual_max_num_f32 v0, v3, v3 :: v_dual_max_num_f32 v1, v1, v1
	s_delay_alu instid0(VALU_DEP_1)
	v_min_num_f32_e32 v1, v1, v0
.LBB6_11619:                            ;   in Loop: Header=BB6_7543 Depth=2
	s_delay_alu instid0(VALU_DEP_1) | instskip(SKIP_2) | instid1(VALU_DEP_2)
	v_and_b32_e32 v2, 0x7f800000, v1
	v_mov_b32_e32 v3, v25
	v_and_b32_e32 v24, 0x7fffff, v1
                                        ; implicit-def: $vgpr0
	v_cmp_ne_u64_e32 vcc_lo, 0x7f800000, v[2:3]
	v_lshrrev_b32_e32 v2, 24, v1
	s_and_saveexec_b32 s7, vcc_lo
	s_delay_alu instid0(SALU_CYCLE_1)
	s_xor_b32 s10, exec_lo, s7
	s_cbranch_execz .LBB6_11633
; %bb.11620:                            ;   in Loop: Header=BB6_7543 Depth=2
	v_and_b32_e32 v12, 0x7fffffff, v1
	v_mov_b32_e32 v13, v25
                                        ; implicit-def: $vgpr0
	s_delay_alu instid0(VALU_DEP_1) | instskip(SKIP_2) | instid1(SALU_CYCLE_1)
	v_cmp_gt_u64_e32 vcc_lo, 0x47600001, v[12:13]
	v_and_b32_e32 v12, 0x80, v2
	s_and_saveexec_b32 s7, vcc_lo
	s_xor_b32 s14, exec_lo, s7
	s_cbranch_execz .LBB6_11630
; %bb.11621:                            ;   in Loop: Header=BB6_7543 Depth=2
	v_mov_b32_e32 v0, 0
	s_mov_b32 s41, exec_lo
	v_cmpx_ne_u32_e32 0, v1
	s_cbranch_execz .LBB6_11629
; %bb.11622:                            ;   in Loop: Header=BB6_7543 Depth=2
	v_bfe_u32 v13, v1, 23, 8
	v_or_b32_e32 v1, 0x800000, v24
	s_delay_alu instid0(VALU_DEP_2) | instskip(SKIP_2) | instid1(VALU_DEP_2)
	v_cmp_gt_u32_e64 s7, 0x72, v13
	v_sub_nc_u32_e32 v0, 0x71, v13
	v_cmp_eq_u32_e32 vcc_lo, 0, v13
	v_cndmask_b32_e64 v0, 0, v0, s7
	v_cndmask_b32_e32 v24, v1, v24, vcc_lo
	s_delay_alu instid0(VALU_DEP_2) | instskip(NEXT) | instid1(VALU_DEP_1)
	v_cndmask_b32_e64 v16, v0, 0x70, vcc_lo
	v_dual_add_nc_u32 v0, 21, v16 :: v_dual_add_nc_u32 v2, 20, v16
	s_delay_alu instid0(VALU_DEP_1) | instskip(NEXT) | instid1(VALU_DEP_2)
	v_lshlrev_b64_e64 v[0:1], v0, -1
	v_lshlrev_b64_e64 v[2:3], v2, 1
	s_delay_alu instid0(VALU_DEP_2) | instskip(NEXT) | instid1(VALU_DEP_3)
	v_bfi_b32 v1, v1, 0, 0
	v_bfi_b32 v0, v0, 0, v24
	s_delay_alu instid0(VALU_DEP_1) | instskip(SKIP_1) | instid1(VALU_DEP_1)
	v_cmp_eq_u64_e64 s7, v[0:1], v[2:3]
	v_lshrrev_b64 v[0:1], v16, v[24:25]
	v_mov_b64_e32 v[2:3], v[0:1]
	s_and_saveexec_b32 s42, s7
; %bb.11623:                            ;   in Loop: Header=BB6_7543 Depth=2
	v_bfe_u32 v24, v0, 21, 1
	s_delay_alu instid0(VALU_DEP_1) | instskip(NEXT) | instid1(VALU_DEP_1)
	v_add_nc_u64_e32 v[2:3], v[0:1], v[24:25]
	v_add_nc_u64_e32 v[2:3], -1, v[2:3]
; %bb.11624:                            ;   in Loop: Header=BB6_7543 Depth=2
	s_or_b32 exec_lo, exec_lo, s42
	v_add_nc_u32_e32 v1, 0xffffff81, v13
	v_lshrrev_b32_e32 v3, 23, v0
	s_mov_b32 s7, exec_lo
	s_delay_alu instid0(VALU_DEP_2) | instskip(NEXT) | instid1(VALU_DEP_1)
	v_cndmask_b32_e64 v1, v1, 0xffffff82, vcc_lo
	v_add3_u32 v13, v16, v1, v3
	v_and_b32_e32 v1, 0x1fffff, v2
                                        ; implicit-def: $vgpr2
	s_delay_alu instid0(VALU_DEP_1) | instskip(NEXT) | instid1(VALU_DEP_1)
	v_dual_add_nc_u32 v3, 14, v13 :: v_dual_add_nc_u32 v24, v1, v0
                                        ; implicit-def: $vgpr0_vgpr1
	v_cmpx_ne_u32_e32 0, v3
	s_xor_b32 s7, exec_lo, s7
; %bb.11625:                            ;   in Loop: Header=BB6_7543 Depth=2
	s_delay_alu instid0(VALU_DEP_2) | instskip(SKIP_1) | instid1(VALU_DEP_1)
	v_cmp_lt_u64_e32 vcc_lo, 0xffffff, v[24:25]
	v_add_nc_u32_e32 v0, 15, v13
	v_cndmask_b32_e32 v2, v3, v0, vcc_lo
	v_cndmask_b32_e64 v0, 0, 1, vcc_lo
	s_delay_alu instid0(VALU_DEP_1)
	v_lshrrev_b64 v[0:1], v0, v[24:25]
; %bb.11626:                            ;   in Loop: Header=BB6_7543 Depth=2
	s_and_not1_saveexec_b32 s7, s7
; %bb.11627:                            ;   in Loop: Header=BB6_7543 Depth=2
	v_mov_b64_e32 v[0:1], v[24:25]
	v_bfe_u32 v2, v24, 23, 1
; %bb.11628:                            ;   in Loop: Header=BB6_7543 Depth=2
	s_or_b32 exec_lo, exec_lo, s7
	s_delay_alu instid0(VALU_DEP_2) | instskip(NEXT) | instid1(VALU_DEP_2)
	v_lshrrev_b64 v[0:1], 21, v[0:1]
	v_cmp_gt_i32_e32 vcc_lo, 32, v2
	v_min_i32_e32 v3, 31, v2
	v_cmp_eq_u32_e64 s7, 0, v2
	s_delay_alu instid0(VALU_DEP_2) | instskip(SKIP_1) | instid1(VALU_DEP_2)
	v_dual_cndmask_b32 v1, 0, v1, vcc_lo :: v_dual_lshlrev_b32 v3, 2, v3
	v_cndmask_b32_e32 v0, 3, v0, vcc_lo
	v_and_b32_e32 v3, 0xfc, v3
	s_delay_alu instid0(VALU_DEP_2) | instskip(NEXT) | instid1(VALU_DEP_2)
	v_cmp_eq_u64_e32 vcc_lo, 0, v[0:1]
	v_and_or_b32 v0, v0, 3, v3
	s_and_b32 s7, s7, vcc_lo
	s_delay_alu instid0(VALU_DEP_1) | instid1(SALU_CYCLE_1)
	v_cndmask_b32_e64 v0, v0, 0, s7
	s_delay_alu instid0(VALU_DEP_1)
	v_or_b32_e32 v0, v0, v12
.LBB6_11629:                            ;   in Loop: Header=BB6_7543 Depth=2
	s_or_b32 exec_lo, exec_lo, s41
                                        ; implicit-def: $vgpr12
.LBB6_11630:                            ;   in Loop: Header=BB6_7543 Depth=2
	s_and_not1_saveexec_b32 s7, s14
; %bb.11631:                            ;   in Loop: Header=BB6_7543 Depth=2
	v_or_b32_e32 v0, 0x7b, v12
; %bb.11632:                            ;   in Loop: Header=BB6_7543 Depth=2
	s_or_b32 exec_lo, exec_lo, s7
                                        ; implicit-def: $vgpr1
                                        ; implicit-def: $vgpr2
.LBB6_11633:                            ;   in Loop: Header=BB6_7543 Depth=2
	s_and_not1_saveexec_b32 s7, s10
	s_cbranch_execz .LBB6_7542
; %bb.11634:                            ;   in Loop: Header=BB6_7543 Depth=2
	s_mov_b32 s10, exec_lo
                                        ; implicit-def: $vgpr0
	v_cmpx_ne_u64_e32 0, v[24:25]
	s_xor_b32 s10, exec_lo, s10
; %bb.11635:                            ;   in Loop: Header=BB6_7543 Depth=2
	v_or_b32_e32 v0, 0x7f, v2
                                        ; implicit-def: $vgpr1
; %bb.11636:                            ;   in Loop: Header=BB6_7543 Depth=2
	s_and_not1_saveexec_b32 s10, s10
	s_cbranch_execz .LBB6_7541
; %bb.11637:                            ;   in Loop: Header=BB6_7543 Depth=2
	v_cmp_lt_i32_e32 vcc_lo, -1, v1
	v_cndmask_b32_e32 v0, 0xfc, v41, vcc_lo
	s_branch .LBB6_7541
.LBB6_11638:                            ;   in Loop: Header=BB6_7467 Depth=1
	s_or_b32 exec_lo, exec_lo, s12
	s_clause 0x4
	scratch_load_b32 v112, off, s33 offset:324
	scratch_load_b64 v[114:115], off, s33 offset:328
	scratch_load_b128 v[0:3], off, s33 offset:300
	scratch_load_b64 v[46:47], off, s33 offset:336
	scratch_load_b64 v[44:45], off, s33 offset:316
	v_dual_mov_b32 v40, 0x7f800000 :: v_dual_mov_b32 v103, v57
	v_mov_b32_e32 v102, v56
	s_wait_loadcnt 0x2
	v_mov_b64_e32 v[116:117], v[0:1]
.LBB6_11639:                            ;   in Loop: Header=BB6_7467 Depth=1
	s_wait_xcnt 0x0
	s_or_b32 exec_lo, exec_lo, s11
	v_and_b32_e32 v0, 0x3ffff800, v104
	v_mov_b32_e32 v9, 0
	s_mov_b32 s7, 0
	s_mov_b32 s41, exec_lo
                                        ; implicit-def: $vgpr3
                                        ; implicit-def: $vgpr4
	s_delay_alu instid0(VALU_DEP_2)
	v_cmpx_ne_u32_e64 v104, v0
	s_cbranch_execz .LBB6_12541
; %bb.11640:                            ;   in Loop: Header=BB6_7467 Depth=1
	scratch_load_b32 v2, off, s33 offset:452 ; 4-byte Folded Reload
	v_lshlrev_b32_e32 v1, 5, v22
	v_and_b32_e32 v9, 0x1ff, v104
	v_bfe_u32 v4, v104, 9, 2
	s_delay_alu instid0(VALU_DEP_2) | instskip(NEXT) | instid1(VALU_DEP_1)
	v_cmp_lt_u32_e64 s7, 15, v9
	v_add_co_ci_u32_e64 v4, null, 0, v4, s7
	s_wait_loadcnt 0x0
	v_sub_nc_u32_e32 v1, v2, v1
	s_delay_alu instid0(VALU_DEP_1) | instskip(NEXT) | instid1(VALU_DEP_1)
	v_ashrrev_i32_e32 v2, 31, v1
	v_lshrrev_b32_e32 v2, 27, v2
	s_delay_alu instid0(VALU_DEP_1) | instskip(NEXT) | instid1(VALU_DEP_1)
	v_add_nc_u32_e32 v2, v1, v2
	v_and_b32_e32 v3, 0xffffffe0, v2
	s_delay_alu instid0(VALU_DEP_1) | instskip(SKIP_1) | instid1(VALU_DEP_2)
	v_sub_nc_u32_e32 v8, v1, v3
	v_and_b32_e32 v3, 0x7ff, v104
	v_dual_lshlrev_b32 v1, 4, v8 :: v_dual_ashrrev_i32 v2, 5, v2
	s_delay_alu instid0(VALU_DEP_1) | instskip(NEXT) | instid1(VALU_DEP_1)
	v_lshl_add_u32 v1, v2, 9, v1
	v_dual_sub_nc_u32 v23, v3, v1 :: v_dual_sub_nc_u32 v22, v4, v2
	s_delay_alu instid0(VALU_DEP_1) | instskip(SKIP_4) | instid1(SALU_CYCLE_1)
	v_cmp_lt_i32_e32 vcc_lo, 15, v23
	s_wait_xcnt 0x0
	s_mov_b32 s42, exec_lo
	v_mov_b32_e32 v51, 0x7f800000
	s_and_b32 s10, s42, vcc_lo
	s_mov_b32 exec_lo, s10
	s_cbranch_execz .LBB6_12540
; %bb.11641:                            ;   in Loop: Header=BB6_7467 Depth=1
	s_trap 2
	ds_load_b64 v[4:5], v0
	v_add_nc_u32_e32 v0, v1, v0
	s_bitcmp1_b32 s40, 0
	s_mov_b32 s43, 0
	s_cselect_b32 s44, -1, 0
	s_delay_alu instid0(VALU_DEP_1) | instskip(NEXT) | instid1(VALU_DEP_1)
	v_ashrrev_i32_e32 v1, 31, v0
	v_add_nc_u64_e32 v[2:3], v[0:1], v[118:119]
	v_add_nc_u64_e32 v[20:21], v[0:1], v[92:93]
	s_wait_dscnt 0x0
	v_add_nc_u64_e32 v[18:19], v[4:5], v[0:1]
	s_branch .LBB6_11644
.LBB6_11642:                            ;   in Loop: Header=BB6_11644 Depth=2
	s_or_b32 exec_lo, exec_lo, s11
.LBB6_11643:                            ;   in Loop: Header=BB6_11644 Depth=2
	s_delay_alu instid0(SALU_CYCLE_1)
	s_or_b32 exec_lo, exec_lo, s10
	v_lshl_or_b32 v1, v31, 8, v30
	v_dual_lshlrev_b32 v4, 16, v32 :: v_dual_lshlrev_b32 v5, 24, v10
	v_dual_lshlrev_b32 v0, 24, v0 :: v_dual_lshlrev_b32 v7, 16, v7
	v_lshl_or_b32 v16, v6, 8, v34
	v_lshl_or_b32 v10, v27, 8, v26
	s_delay_alu instid0(VALU_DEP_4) | instskip(SKIP_1) | instid1(VALU_DEP_4)
	v_or3_b32 v5, v1, v4, v5
	v_dual_lshlrev_b32 v12, 16, v28 :: v_dual_lshlrev_b32 v13, 24, v29
	v_or3_b32 v7, v16, v7, v0
	scratch_load_b64 v[0:1], off, s33 offset:212 ; 8-byte Folded Reload
	v_lshl_or_b32 v11, v14, 8, v11
	v_dual_lshlrev_b32 v14, 16, v15 :: v_dual_lshlrev_b32 v15, 24, v33
	v_or3_b32 v4, v10, v12, v13
	v_sub_nc_u32_e32 v23, v23, v78
	v_add_nc_u64_e32 v[2:3], v[2:3], v[78:79]
	v_add_nc_u64_e32 v[18:19], v[18:19], v[78:79]
	v_or3_b32 v6, v11, v14, v15
	global_store_b128 v[20:21], v[4:7], off th:TH_STORE_NT
	s_wait_xcnt 0x0
	v_add_nc_u64_e32 v[20:21], v[20:21], v[78:79]
	s_wait_loadcnt 0x0
	v_sub_nc_u32_e32 v22, v22, v0
	v_cmp_gt_i32_e32 vcc_lo, 16, v23
	s_or_b32 s43, vcc_lo, s43
	s_delay_alu instid0(SALU_CYCLE_1)
	s_and_not1_b32 exec_lo, exec_lo, s43
	s_cbranch_execz .LBB6_12539
.LBB6_11644:                            ;   Parent Loop BB6_7467 Depth=1
                                        ; =>  This Inner Loop Header: Depth=2
	global_load_b128 v[14:17], v[18:19], off th:TH_LOAD_NT
	global_load_b128 v[10:13], v[2:3], off th:TH_LOAD_NT
	s_mov_b32 s13, -1
	s_wait_loadcnt 0x1
	v_dual_lshlrev_b32 v5, 24, v14 :: v_dual_bitop2_b32 v0, 3, v14 bitop3:0x40
	v_bfe_i32 v24, v14, 0, 8
	v_and_b32_e32 v4, 0x7c, v14
	s_wait_loadcnt 0x0
	v_and_b32_e32 v7, 0xff, v10
	v_clz_i32_u32_e32 v1, v0
	v_bfe_i32 v26, v10, 0, 8
	v_cmp_lt_i16_e32 vcc_lo, -1, v24
	v_cmp_eq_u32_e64 s10, 0x7c, v4
	v_and_or_b32 v4, 0x80000000, v5, s27
	v_min_u32_e32 v6, 32, v1
	v_bfe_u32 v1, v14, 2, 5
	v_cndmask_b32_e32 v30, 0xff800000, v51, vcc_lo
	v_cmp_eq_u32_e32 vcc_lo, 0, v0
	v_cmp_ne_u16_e64 s12, 0, v7
	v_subrev_nc_u32_e32 v27, 29, v6
	v_cmp_eq_u32_e64 s11, 0, v1
	v_cndmask_b32_e32 v5, 0x7f800001, v30, vcc_lo
	s_and_b32 vcc_lo, exec_lo, s44
	v_lshlrev_b64_e32 v[28:29], v27, v[14:15]
	v_sub_nc_u32_e32 v6, 30, v6
                                        ; implicit-def: $vgpr27
	s_delay_alu instid0(VALU_DEP_2)
	v_and_b32_e32 v7, 3, v28
	s_cbranch_vccz .LBB6_11662
; %bb.11645:                            ;   in Loop: Header=BB6_11644 Depth=2
	v_mov_b32_e32 v27, 0
	s_wait_xcnt 0x0
	s_and_saveexec_b32 s13, s12
	s_cbranch_execz .LBB6_11655
; %bb.11646:                            ;   in Loop: Header=BB6_11644 Depth=2
	v_bfrev_b32_e32 v27, 1
	s_mov_b32 s14, exec_lo
	v_cmpx_ne_u16_e32 0xff80, v26
	s_cbranch_execz .LBB6_11654
; %bb.11647:                            ;   in Loop: Header=BB6_11644 Depth=2
	v_and_b32_e32 v27, 0x7c, v10
	v_and_b32_e32 v28, 3, v10
	s_delay_alu instid0(VALU_DEP_2) | instskip(SKIP_1) | instid1(SALU_CYCLE_1)
	v_cmp_ne_u32_e32 vcc_lo, 0x7c, v27
                                        ; implicit-def: $vgpr27
	s_and_saveexec_b32 s45, vcc_lo
	s_xor_b32 s45, exec_lo, s45
	s_cbranch_execz .LBB6_11651
; %bb.11648:                            ;   in Loop: Header=BB6_11644 Depth=2
	v_bfe_u32 v27, v10, 2, 5
	s_mov_b32 s46, exec_lo
	s_delay_alu instid0(VALU_DEP_1)
	v_cmpx_eq_u32_e32 0, v27
; %bb.11649:                            ;   in Loop: Header=BB6_11644 Depth=2
	v_clz_i32_u32_e32 v27, v28
	s_delay_alu instid0(VALU_DEP_1) | instskip(NEXT) | instid1(VALU_DEP_1)
	v_min_u32_e32 v27, 32, v27
	v_subrev_nc_u32_e32 v28, 29, v27
	s_delay_alu instid0(VALU_DEP_1) | instskip(NEXT) | instid1(VALU_DEP_1)
	v_lshlrev_b64_e32 v[28:29], v28, v[10:11]
	v_dual_sub_nc_u32 v27, 30, v27 :: v_dual_bitop2_b32 v28, 3, v28 bitop3:0x40
; %bb.11650:                            ;   in Loop: Header=BB6_11644 Depth=2
	s_or_b32 exec_lo, exec_lo, s46
	v_lshlrev_b32_e32 v29, 24, v10
	s_delay_alu instid0(VALU_DEP_1) | instskip(NEXT) | instid1(VALU_DEP_1)
	v_and_b32_e32 v29, 0x80000000, v29
	v_lshl_add_u32 v27, v27, 23, v29
	s_delay_alu instid0(VALU_DEP_1) | instskip(NEXT) | instid1(VALU_DEP_1)
	v_lshl_or_b32 v27, v28, 21, v27
                                        ; implicit-def: $vgpr28
	v_add_nc_u32_e32 v27, 0x38000000, v27
.LBB6_11651:                            ;   in Loop: Header=BB6_11644 Depth=2
	s_and_not1_saveexec_b32 s45, s45
; %bb.11652:                            ;   in Loop: Header=BB6_11644 Depth=2
	v_cmp_lt_i16_e32 vcc_lo, -1, v26
	v_cndmask_b32_e32 v27, 0xff800000, v51, vcc_lo
	v_cmp_eq_u32_e32 vcc_lo, 0, v28
	s_delay_alu instid0(VALU_DEP_2)
	v_cndmask_b32_e32 v27, 0x7f800001, v27, vcc_lo
; %bb.11653:                            ;   in Loop: Header=BB6_11644 Depth=2
	s_or_b32 exec_lo, exec_lo, s45
.LBB6_11654:                            ;   in Loop: Header=BB6_11644 Depth=2
	s_delay_alu instid0(SALU_CYCLE_1)
	s_or_b32 exec_lo, exec_lo, s14
.LBB6_11655:                            ;   in Loop: Header=BB6_11644 Depth=2
	s_delay_alu instid0(SALU_CYCLE_1) | instskip(SKIP_3) | instid1(VALU_DEP_1)
	s_or_b32 exec_lo, exec_lo, s13
	v_and_b32_e32 v29, 0xff, v24
	s_mov_b32 s13, 0
	s_mov_b32 s14, exec_lo
	v_cmpx_lt_i16_e32 0x7f, v29
	s_xor_b32 s14, exec_lo, s14
	s_cbranch_execz .LBB6_12491
; %bb.11656:                            ;   in Loop: Header=BB6_11644 Depth=2
	s_mov_b32 s13, -1
	s_mov_b32 s45, exec_lo
	v_cmpx_eq_u16_e32 0x80, v29
; %bb.11657:                            ;   in Loop: Header=BB6_11644 Depth=2
	s_xor_b32 s13, exec_lo, -1
; %bb.11658:                            ;   in Loop: Header=BB6_11644 Depth=2
	s_or_b32 exec_lo, exec_lo, s45
	s_delay_alu instid0(SALU_CYCLE_1)
	s_and_b32 s13, s13, exec_lo
                                        ; implicit-def: $vgpr29
	s_or_saveexec_b32 s14, s14
	v_bfrev_b32_e32 v28, 1
	s_xor_b32 exec_lo, exec_lo, s14
	s_cbranch_execnz .LBB6_12492
.LBB6_11659:                            ;   in Loop: Header=BB6_11644 Depth=2
	s_or_b32 exec_lo, exec_lo, s14
	s_and_saveexec_b32 s14, s13
.LBB6_11660:                            ;   in Loop: Header=BB6_11644 Depth=2
	v_dual_cndmask_b32 v28, v1, v6, s11 :: v_dual_cndmask_b32 v29, v0, v7, s11
	s_delay_alu instid0(VALU_DEP_1) | instskip(NEXT) | instid1(VALU_DEP_1)
	v_lshl_add_u32 v28, v28, 23, v4
	v_lshl_or_b32 v28, v29, 21, v28
	s_delay_alu instid0(VALU_DEP_1)
	v_cndmask_b32_e64 v28, v28, v5, s10
.LBB6_11661:                            ;   in Loop: Header=BB6_11644 Depth=2
	s_or_b32 exec_lo, exec_lo, s14
	s_delay_alu instid0(VALU_DEP_1) | instskip(SKIP_1) | instid1(VALU_DEP_1)
	v_dual_max_num_f32 v28, v28, v28 :: v_dual_max_num_f32 v27, v27, v27
	s_mov_b32 s13, 0
	v_max_num_f32_e32 v27, v27, v28
.LBB6_11662:                            ;   in Loop: Header=BB6_11644 Depth=2
	s_and_b32 vcc_lo, exec_lo, s13
	s_cbranch_vccz .LBB6_11680
; %bb.11663:                            ;   in Loop: Header=BB6_11644 Depth=2
	v_mov_b32_e32 v27, 0
	s_wait_xcnt 0x0
	s_and_saveexec_b32 s13, s12
	s_cbranch_execz .LBB6_11673
; %bb.11664:                            ;   in Loop: Header=BB6_11644 Depth=2
	v_bfrev_b32_e32 v27, 1
	s_mov_b32 s12, exec_lo
	v_cmpx_ne_u16_e32 0xff80, v26
	s_cbranch_execz .LBB6_11672
; %bb.11665:                            ;   in Loop: Header=BB6_11644 Depth=2
	v_and_b32_e32 v27, 0x7c, v10
	v_and_b32_e32 v28, 3, v10
	s_delay_alu instid0(VALU_DEP_2) | instskip(SKIP_1) | instid1(SALU_CYCLE_1)
	v_cmp_ne_u32_e32 vcc_lo, 0x7c, v27
                                        ; implicit-def: $vgpr27
	s_and_saveexec_b32 s14, vcc_lo
	s_xor_b32 s14, exec_lo, s14
	s_cbranch_execz .LBB6_11669
; %bb.11666:                            ;   in Loop: Header=BB6_11644 Depth=2
	v_bfe_u32 v26, v10, 2, 5
	s_mov_b32 s45, exec_lo
	s_delay_alu instid0(VALU_DEP_1)
	v_cmpx_eq_u32_e32 0, v26
; %bb.11667:                            ;   in Loop: Header=BB6_11644 Depth=2
	v_clz_i32_u32_e32 v26, v28
	s_delay_alu instid0(VALU_DEP_1) | instskip(NEXT) | instid1(VALU_DEP_1)
	v_min_u32_e32 v26, 32, v26
	v_subrev_nc_u32_e32 v27, 29, v26
	s_delay_alu instid0(VALU_DEP_1) | instskip(NEXT) | instid1(VALU_DEP_1)
	v_lshlrev_b64_e32 v[28:29], v27, v[10:11]
	v_dual_sub_nc_u32 v26, 30, v26 :: v_dual_bitop2_b32 v28, 3, v28 bitop3:0x40
; %bb.11668:                            ;   in Loop: Header=BB6_11644 Depth=2
	s_or_b32 exec_lo, exec_lo, s45
	v_lshlrev_b32_e32 v27, 24, v10
	s_delay_alu instid0(VALU_DEP_1) | instskip(NEXT) | instid1(VALU_DEP_1)
	v_and_b32_e32 v27, 0x80000000, v27
	v_lshl_add_u32 v26, v26, 23, v27
	s_delay_alu instid0(VALU_DEP_1) | instskip(NEXT) | instid1(VALU_DEP_1)
	v_lshl_or_b32 v26, v28, 21, v26
                                        ; implicit-def: $vgpr28
	v_add_nc_u32_e32 v27, 0x38000000, v26
                                        ; implicit-def: $vgpr26
.LBB6_11669:                            ;   in Loop: Header=BB6_11644 Depth=2
	s_and_not1_saveexec_b32 s14, s14
; %bb.11670:                            ;   in Loop: Header=BB6_11644 Depth=2
	v_cmp_lt_i16_e32 vcc_lo, -1, v26
	v_cndmask_b32_e32 v26, 0xff800000, v51, vcc_lo
	v_cmp_eq_u32_e32 vcc_lo, 0, v28
	s_delay_alu instid0(VALU_DEP_2)
	v_cndmask_b32_e32 v27, 0x7f800001, v26, vcc_lo
; %bb.11671:                            ;   in Loop: Header=BB6_11644 Depth=2
	s_or_b32 exec_lo, exec_lo, s14
.LBB6_11672:                            ;   in Loop: Header=BB6_11644 Depth=2
	s_delay_alu instid0(SALU_CYCLE_1)
	s_or_b32 exec_lo, exec_lo, s12
.LBB6_11673:                            ;   in Loop: Header=BB6_11644 Depth=2
	s_delay_alu instid0(SALU_CYCLE_1) | instskip(SKIP_3) | instid1(VALU_DEP_1)
	s_or_b32 exec_lo, exec_lo, s13
	v_and_b32_e32 v26, 0xff, v24
	s_mov_b32 s12, 0
	s_mov_b32 s13, exec_lo
	v_cmpx_lt_i16_e32 0x7f, v26
	s_xor_b32 s13, exec_lo, s13
	s_cbranch_execz .LBB6_12493
; %bb.11674:                            ;   in Loop: Header=BB6_11644 Depth=2
	s_mov_b32 s12, -1
	s_mov_b32 s14, exec_lo
	v_cmpx_eq_u16_e32 0x80, v26
; %bb.11675:                            ;   in Loop: Header=BB6_11644 Depth=2
	s_xor_b32 s12, exec_lo, -1
; %bb.11676:                            ;   in Loop: Header=BB6_11644 Depth=2
	s_or_b32 exec_lo, exec_lo, s14
	s_delay_alu instid0(SALU_CYCLE_1)
	s_and_b32 s12, s12, exec_lo
                                        ; implicit-def: $vgpr26
	s_or_saveexec_b32 s13, s13
	v_bfrev_b32_e32 v24, 1
	s_xor_b32 exec_lo, exec_lo, s13
	s_cbranch_execnz .LBB6_12494
.LBB6_11677:                            ;   in Loop: Header=BB6_11644 Depth=2
	s_or_b32 exec_lo, exec_lo, s13
	s_and_saveexec_b32 s13, s12
.LBB6_11678:                            ;   in Loop: Header=BB6_11644 Depth=2
	v_dual_cndmask_b32 v1, v1, v6, s11 :: v_dual_cndmask_b32 v0, v0, v7, s11
	s_delay_alu instid0(VALU_DEP_1) | instskip(NEXT) | instid1(VALU_DEP_1)
	v_lshl_add_u32 v1, v1, 23, v4
	v_lshl_or_b32 v0, v0, 21, v1
	s_delay_alu instid0(VALU_DEP_1)
	v_cndmask_b32_e64 v24, v0, v5, s10
.LBB6_11679:                            ;   in Loop: Header=BB6_11644 Depth=2
	s_or_b32 exec_lo, exec_lo, s13
	s_delay_alu instid0(VALU_DEP_1) | instskip(NEXT) | instid1(VALU_DEP_1)
	v_dual_max_num_f32 v0, v24, v24 :: v_dual_max_num_f32 v1, v27, v27
	v_min_num_f32_e32 v27, v1, v0
.LBB6_11680:                            ;   in Loop: Header=BB6_11644 Depth=2
	s_delay_alu instid0(VALU_DEP_1) | instskip(SKIP_2) | instid1(VALU_DEP_2)
	v_and_b32_e32 v0, 0x7f800000, v27
	v_mov_b32_e32 v1, v25
	v_and_b32_e32 v24, 0x7fffff, v27
                                        ; implicit-def: $vgpr26
	v_cmp_ne_u64_e32 vcc_lo, 0x7f800000, v[0:1]
	v_lshrrev_b32_e32 v0, 24, v27
	s_wait_xcnt 0x0
	s_and_saveexec_b32 s10, vcc_lo
	s_delay_alu instid0(SALU_CYCLE_1)
	s_xor_b32 s11, exec_lo, s10
	s_cbranch_execz .LBB6_11694
; %bb.11681:                            ;   in Loop: Header=BB6_11644 Depth=2
	v_and_b32_e32 v4, 0x7fffffff, v27
	v_mov_b32_e32 v5, v25
	v_and_b32_e32 v6, 0x80, v0
                                        ; implicit-def: $vgpr26
	s_mov_b32 s10, exec_lo
	s_delay_alu instid0(VALU_DEP_2)
	v_cmpx_gt_u64_e32 0x47600001, v[4:5]
	s_xor_b32 s12, exec_lo, s10
	s_cbranch_execz .LBB6_11691
; %bb.11682:                            ;   in Loop: Header=BB6_11644 Depth=2
	v_mov_b32_e32 v26, 0
	s_mov_b32 s13, exec_lo
	v_cmpx_ne_u32_e32 0, v27
	s_cbranch_execz .LBB6_11690
; %bb.11683:                            ;   in Loop: Header=BB6_11644 Depth=2
	v_bfe_u32 v7, v27, 23, 8
	v_or_b32_e32 v4, 0x800000, v24
	s_delay_alu instid0(VALU_DEP_2) | instskip(SKIP_1) | instid1(VALU_DEP_2)
	v_sub_nc_u32_e32 v0, 0x71, v7
	v_cmp_gt_u32_e32 vcc_lo, 0x72, v7
	v_cndmask_b32_e32 v0, 0, v0, vcc_lo
	v_cmp_eq_u32_e32 vcc_lo, 0, v7
	s_delay_alu instid0(VALU_DEP_2) | instskip(NEXT) | instid1(VALU_DEP_1)
	v_cndmask_b32_e64 v26, v0, 0x70, vcc_lo
	v_dual_cndmask_b32 v24, v4, v24, vcc_lo :: v_dual_add_nc_u32 v0, 21, v26
	v_add_nc_u32_e32 v5, 20, v26
	s_delay_alu instid0(VALU_DEP_2) | instskip(NEXT) | instid1(VALU_DEP_2)
	v_lshlrev_b64_e64 v[0:1], v0, -1
	v_lshlrev_b64_e64 v[4:5], v5, 1
	s_delay_alu instid0(VALU_DEP_2) | instskip(NEXT) | instid1(VALU_DEP_3)
	v_bfi_b32 v29, v1, 0, 0
	v_bfi_b32 v28, v0, 0, v24
	v_lshrrev_b64 v[0:1], v26, v[24:25]
	s_delay_alu instid0(VALU_DEP_2) | instskip(NEXT) | instid1(VALU_DEP_2)
	v_cmp_eq_u64_e64 s10, v[28:29], v[4:5]
	v_mov_b64_e32 v[4:5], v[0:1]
	s_and_saveexec_b32 s14, s10
; %bb.11684:                            ;   in Loop: Header=BB6_11644 Depth=2
	v_bfe_u32 v24, v0, 21, 1
	s_delay_alu instid0(VALU_DEP_1) | instskip(NEXT) | instid1(VALU_DEP_1)
	v_add_nc_u64_e32 v[4:5], v[0:1], v[24:25]
	v_add_nc_u64_e32 v[4:5], -1, v[4:5]
; %bb.11685:                            ;   in Loop: Header=BB6_11644 Depth=2
	s_or_b32 exec_lo, exec_lo, s14
	v_add_nc_u32_e32 v1, 0xffffff81, v7
	v_lshrrev_b32_e32 v5, 23, v0
	s_mov_b32 s10, exec_lo
	s_delay_alu instid0(VALU_DEP_2) | instskip(NEXT) | instid1(VALU_DEP_1)
	v_cndmask_b32_e64 v1, v1, 0xffffff82, vcc_lo
	v_add3_u32 v5, v26, v1, v5
	v_and_b32_e32 v1, 0x1fffff, v4
                                        ; implicit-def: $vgpr4
	s_delay_alu instid0(VALU_DEP_1) | instskip(NEXT) | instid1(VALU_DEP_1)
	v_dual_add_nc_u32 v7, 14, v5 :: v_dual_add_nc_u32 v24, v1, v0
                                        ; implicit-def: $vgpr0_vgpr1
	v_cmpx_ne_u32_e32 0, v7
	s_xor_b32 s10, exec_lo, s10
; %bb.11686:                            ;   in Loop: Header=BB6_11644 Depth=2
	s_delay_alu instid0(VALU_DEP_2) | instskip(SKIP_1) | instid1(VALU_DEP_1)
	v_cmp_lt_u64_e32 vcc_lo, 0xffffff, v[24:25]
	v_add_nc_u32_e32 v0, 15, v5
	v_cndmask_b32_e32 v4, v7, v0, vcc_lo
	v_cndmask_b32_e64 v0, 0, 1, vcc_lo
	s_delay_alu instid0(VALU_DEP_1)
	v_lshrrev_b64 v[0:1], v0, v[24:25]
; %bb.11687:                            ;   in Loop: Header=BB6_11644 Depth=2
	s_and_not1_saveexec_b32 s10, s10
; %bb.11688:                            ;   in Loop: Header=BB6_11644 Depth=2
	v_mov_b64_e32 v[0:1], v[24:25]
	v_bfe_u32 v4, v24, 23, 1
; %bb.11689:                            ;   in Loop: Header=BB6_11644 Depth=2
	s_or_b32 exec_lo, exec_lo, s10
	s_delay_alu instid0(VALU_DEP_2) | instskip(NEXT) | instid1(VALU_DEP_2)
	v_lshrrev_b64 v[0:1], 21, v[0:1]
	v_cmp_gt_i32_e32 vcc_lo, 32, v4
	v_min_i32_e32 v5, 31, v4
	v_cmp_eq_u32_e64 s10, 0, v4
	s_delay_alu instid0(VALU_DEP_4) | instskip(NEXT) | instid1(VALU_DEP_3)
	v_cndmask_b32_e32 v1, 0, v1, vcc_lo
	v_dual_cndmask_b32 v0, 3, v0 :: v_dual_lshlrev_b32 v5, 2, v5
	s_delay_alu instid0(VALU_DEP_1) | instskip(NEXT) | instid1(VALU_DEP_2)
	v_and_b32_e32 v5, 0xfc, v5
	v_cmp_eq_u64_e32 vcc_lo, 0, v[0:1]
	s_delay_alu instid0(VALU_DEP_2)
	v_and_or_b32 v0, v0, 3, v5
	s_and_b32 s10, s10, vcc_lo
	s_delay_alu instid0(VALU_DEP_1) | instid1(SALU_CYCLE_1)
	v_cndmask_b32_e64 v0, v0, 0, s10
	s_delay_alu instid0(VALU_DEP_1)
	v_or_b32_e32 v26, v0, v6
.LBB6_11690:                            ;   in Loop: Header=BB6_11644 Depth=2
	s_or_b32 exec_lo, exec_lo, s13
                                        ; implicit-def: $vgpr6
.LBB6_11691:                            ;   in Loop: Header=BB6_11644 Depth=2
	s_and_not1_saveexec_b32 s10, s12
; %bb.11692:                            ;   in Loop: Header=BB6_11644 Depth=2
	v_or_b32_e32 v26, 0x7b, v6
; %bb.11693:                            ;   in Loop: Header=BB6_11644 Depth=2
	s_or_b32 exec_lo, exec_lo, s10
                                        ; implicit-def: $vgpr27
                                        ; implicit-def: $vgpr0
.LBB6_11694:                            ;   in Loop: Header=BB6_11644 Depth=2
	s_and_not1_saveexec_b32 s10, s11
	s_cbranch_execz .LBB6_11700
; %bb.11695:                            ;   in Loop: Header=BB6_11644 Depth=2
	s_mov_b32 s11, exec_lo
                                        ; implicit-def: $vgpr26
	v_cmpx_ne_u64_e32 0, v[24:25]
	s_xor_b32 s11, exec_lo, s11
; %bb.11696:                            ;   in Loop: Header=BB6_11644 Depth=2
	v_or_b32_e32 v26, 0x7f, v0
                                        ; implicit-def: $vgpr27
; %bb.11697:                            ;   in Loop: Header=BB6_11644 Depth=2
	s_and_not1_saveexec_b32 s11, s11
; %bb.11698:                            ;   in Loop: Header=BB6_11644 Depth=2
	v_cmp_lt_i32_e32 vcc_lo, -1, v27
	v_cndmask_b32_e32 v26, 0xfc, v41, vcc_lo
; %bb.11699:                            ;   in Loop: Header=BB6_11644 Depth=2
	s_or_b32 exec_lo, exec_lo, s11
.LBB6_11700:                            ;   in Loop: Header=BB6_11644 Depth=2
	s_delay_alu instid0(SALU_CYCLE_1) | instskip(SKIP_3) | instid1(VALU_DEP_2)
	s_or_b32 exec_lo, exec_lo, s10
	v_lshrrev_b16 v24, 8, v14
	v_cmp_lt_i16_e32 vcc_lo, -1, v14
	s_mov_b32 s13, -1
	v_and_b32_e32 v1, 0xffff, v24
	v_dual_cndmask_b32 v7, 0xff800000, v51 :: v_dual_lshlrev_b32 v6, 24, v24
	s_delay_alu instid0(VALU_DEP_2) | instskip(SKIP_2) | instid1(VALU_DEP_4)
	v_and_b32_e32 v4, 3, v1
	v_and_b32_e32 v32, 0x7c, v1
	v_bfe_u32 v5, v1, 2, 5
                                        ; implicit-def: $vgpr1
	v_and_or_b32 v6, 0x80000000, v6, s27
	s_delay_alu instid0(VALU_DEP_4) | instskip(SKIP_3) | instid1(VALU_DEP_4)
	v_clz_i32_u32_e32 v0, v4
	v_cmp_eq_u32_e32 vcc_lo, 0, v4
	v_cmp_eq_u32_e64 s10, 0x7c, v32
	v_cmp_eq_u32_e64 s11, 0, v5
	v_min_u32_e32 v27, 32, v0
	v_lshrrev_b16 v0, 8, v10
	v_cndmask_b32_e32 v7, 0x7f800001, v7, vcc_lo
	s_and_b32 vcc_lo, exec_lo, s44
	s_delay_alu instid0(VALU_DEP_3) | instskip(NEXT) | instid1(VALU_DEP_3)
	v_subrev_nc_u32_e32 v28, 29, v27
	v_and_b32_e32 v29, 0xffff, v0
	v_cmp_ne_u16_e64 s12, 0, v0
	s_delay_alu instid0(VALU_DEP_3) | instskip(NEXT) | instid1(VALU_DEP_1)
	v_lshlrev_b64_e32 v[30:31], v28, v[24:25]
	v_dual_sub_nc_u32 v27, 30, v27 :: v_dual_bitop2_b32 v28, 3, v30 bitop3:0x40
	s_cbranch_vccz .LBB6_11718
; %bb.11701:                            ;   in Loop: Header=BB6_11644 Depth=2
	v_mov_b32_e32 v1, 0
	s_and_saveexec_b32 s13, s12
	s_cbranch_execz .LBB6_11711
; %bb.11702:                            ;   in Loop: Header=BB6_11644 Depth=2
	v_bfrev_b32_e32 v1, 1
	s_mov_b32 s14, exec_lo
	v_cmpx_ne_u16_e32 0x80, v0
	s_cbranch_execz .LBB6_11710
; %bb.11703:                            ;   in Loop: Header=BB6_11644 Depth=2
	v_and_b32_e32 v1, 0x7c, v29
	v_and_b32_e32 v30, 3, v29
	s_delay_alu instid0(VALU_DEP_2) | instskip(SKIP_1) | instid1(SALU_CYCLE_1)
	v_cmp_ne_u32_e32 vcc_lo, 0x7c, v1
                                        ; implicit-def: $vgpr1
	s_and_saveexec_b32 s45, vcc_lo
	s_xor_b32 s45, exec_lo, s45
	s_cbranch_execz .LBB6_11707
; %bb.11704:                            ;   in Loop: Header=BB6_11644 Depth=2
	v_bfe_u32 v1, v29, 2, 5
	s_mov_b32 s46, exec_lo
	s_delay_alu instid0(VALU_DEP_1)
	v_cmpx_eq_u32_e32 0, v1
; %bb.11705:                            ;   in Loop: Header=BB6_11644 Depth=2
	v_clz_i32_u32_e32 v1, v30
	s_delay_alu instid0(VALU_DEP_1) | instskip(SKIP_1) | instid1(VALU_DEP_2)
	v_min_u32_e32 v32, 32, v1
	v_mov_b32_e32 v1, v25
	v_subrev_nc_u32_e32 v30, 29, v32
	s_delay_alu instid0(VALU_DEP_1) | instskip(NEXT) | instid1(VALU_DEP_1)
	v_lshlrev_b64_e32 v[30:31], v30, v[0:1]
	v_dual_sub_nc_u32 v1, 30, v32 :: v_dual_bitop2_b32 v30, 3, v30 bitop3:0x40
; %bb.11706:                            ;   in Loop: Header=BB6_11644 Depth=2
	s_or_b32 exec_lo, exec_lo, s46
	v_lshlrev_b32_e32 v31, 16, v10
	s_delay_alu instid0(VALU_DEP_1) | instskip(NEXT) | instid1(VALU_DEP_1)
	v_and_b32_e32 v31, 0x80000000, v31
	v_lshl_add_u32 v1, v1, 23, v31
	s_delay_alu instid0(VALU_DEP_1) | instskip(NEXT) | instid1(VALU_DEP_1)
	v_lshl_or_b32 v1, v30, 21, v1
                                        ; implicit-def: $vgpr30
	v_add_nc_u32_e32 v1, 0x38000000, v1
.LBB6_11707:                            ;   in Loop: Header=BB6_11644 Depth=2
	s_and_not1_saveexec_b32 s45, s45
; %bb.11708:                            ;   in Loop: Header=BB6_11644 Depth=2
	v_cmp_lt_i16_e32 vcc_lo, -1, v10
	v_cndmask_b32_e32 v1, 0xff800000, v51, vcc_lo
	v_cmp_eq_u32_e32 vcc_lo, 0, v30
	s_delay_alu instid0(VALU_DEP_2)
	v_cndmask_b32_e32 v1, 0x7f800001, v1, vcc_lo
; %bb.11709:                            ;   in Loop: Header=BB6_11644 Depth=2
	s_or_b32 exec_lo, exec_lo, s45
.LBB6_11710:                            ;   in Loop: Header=BB6_11644 Depth=2
	s_delay_alu instid0(SALU_CYCLE_1)
	s_or_b32 exec_lo, exec_lo, s14
.LBB6_11711:                            ;   in Loop: Header=BB6_11644 Depth=2
	s_delay_alu instid0(SALU_CYCLE_1)
	s_or_b32 exec_lo, exec_lo, s13
	s_mov_b32 s13, 0
	s_mov_b32 s14, exec_lo
	v_cmpx_lt_i16_e32 0x7f, v24
	s_xor_b32 s14, exec_lo, s14
	s_cbranch_execz .LBB6_12495
; %bb.11712:                            ;   in Loop: Header=BB6_11644 Depth=2
	s_mov_b32 s13, -1
	s_mov_b32 s45, exec_lo
	v_cmpx_eq_u16_e32 0x80, v24
; %bb.11713:                            ;   in Loop: Header=BB6_11644 Depth=2
	s_xor_b32 s13, exec_lo, -1
; %bb.11714:                            ;   in Loop: Header=BB6_11644 Depth=2
	s_or_b32 exec_lo, exec_lo, s45
	s_delay_alu instid0(SALU_CYCLE_1)
	s_and_b32 s13, s13, exec_lo
	s_or_saveexec_b32 s14, s14
	v_bfrev_b32_e32 v30, 1
	s_xor_b32 exec_lo, exec_lo, s14
	s_cbranch_execnz .LBB6_12496
.LBB6_11715:                            ;   in Loop: Header=BB6_11644 Depth=2
	s_or_b32 exec_lo, exec_lo, s14
	s_and_saveexec_b32 s14, s13
.LBB6_11716:                            ;   in Loop: Header=BB6_11644 Depth=2
	v_dual_cndmask_b32 v30, v5, v27, s11 :: v_dual_cndmask_b32 v31, v4, v28, s11
	s_delay_alu instid0(VALU_DEP_1) | instskip(NEXT) | instid1(VALU_DEP_1)
	v_lshl_add_u32 v30, v30, 23, v6
	v_lshl_or_b32 v30, v31, 21, v30
	s_delay_alu instid0(VALU_DEP_1)
	v_cndmask_b32_e64 v30, v30, v7, s10
.LBB6_11717:                            ;   in Loop: Header=BB6_11644 Depth=2
	s_or_b32 exec_lo, exec_lo, s14
	s_delay_alu instid0(VALU_DEP_1) | instskip(SKIP_1) | instid1(VALU_DEP_1)
	v_dual_max_num_f32 v30, v30, v30 :: v_dual_max_num_f32 v1, v1, v1
	s_mov_b32 s13, 0
	v_max_num_f32_e32 v1, v1, v30
.LBB6_11718:                            ;   in Loop: Header=BB6_11644 Depth=2
	s_and_b32 vcc_lo, exec_lo, s13
	s_cbranch_vccz .LBB6_11736
; %bb.11719:                            ;   in Loop: Header=BB6_11644 Depth=2
	v_mov_b32_e32 v1, 0
	s_and_saveexec_b32 s13, s12
	s_cbranch_execz .LBB6_11729
; %bb.11720:                            ;   in Loop: Header=BB6_11644 Depth=2
	v_bfrev_b32_e32 v1, 1
	s_mov_b32 s12, exec_lo
	v_cmpx_ne_u16_e32 0x80, v0
	s_cbranch_execz .LBB6_11728
; %bb.11721:                            ;   in Loop: Header=BB6_11644 Depth=2
	v_and_b32_e32 v1, 0x7c, v29
	v_and_b32_e32 v30, 3, v29
	s_delay_alu instid0(VALU_DEP_2) | instskip(SKIP_1) | instid1(SALU_CYCLE_1)
	v_cmp_ne_u32_e32 vcc_lo, 0x7c, v1
                                        ; implicit-def: $vgpr1
	s_and_saveexec_b32 s14, vcc_lo
	s_xor_b32 s14, exec_lo, s14
	s_cbranch_execz .LBB6_11725
; %bb.11722:                            ;   in Loop: Header=BB6_11644 Depth=2
	v_bfe_u32 v1, v29, 2, 5
	s_mov_b32 s45, exec_lo
	s_delay_alu instid0(VALU_DEP_1)
	v_cmpx_eq_u32_e32 0, v1
; %bb.11723:                            ;   in Loop: Header=BB6_11644 Depth=2
	v_clz_i32_u32_e32 v1, v30
	s_delay_alu instid0(VALU_DEP_1) | instskip(SKIP_1) | instid1(VALU_DEP_2)
	v_min_u32_e32 v29, 32, v1
	v_mov_b32_e32 v1, v25
	v_subrev_nc_u32_e32 v30, 29, v29
	s_delay_alu instid0(VALU_DEP_1) | instskip(NEXT) | instid1(VALU_DEP_1)
	v_lshlrev_b64_e32 v[0:1], v30, v[0:1]
	v_dual_sub_nc_u32 v1, 30, v29 :: v_dual_bitop2_b32 v30, 3, v0 bitop3:0x40
; %bb.11724:                            ;   in Loop: Header=BB6_11644 Depth=2
	s_or_b32 exec_lo, exec_lo, s45
	v_lshlrev_b32_e32 v0, 16, v10
	s_delay_alu instid0(VALU_DEP_1) | instskip(NEXT) | instid1(VALU_DEP_1)
	v_and_b32_e32 v0, 0x80000000, v0
	v_lshl_add_u32 v0, v1, 23, v0
	s_delay_alu instid0(VALU_DEP_1) | instskip(NEXT) | instid1(VALU_DEP_1)
	v_lshl_or_b32 v0, v30, 21, v0
                                        ; implicit-def: $vgpr30
	v_add_nc_u32_e32 v1, 0x38000000, v0
.LBB6_11725:                            ;   in Loop: Header=BB6_11644 Depth=2
	s_and_not1_saveexec_b32 s14, s14
; %bb.11726:                            ;   in Loop: Header=BB6_11644 Depth=2
	v_cmp_lt_i16_e32 vcc_lo, -1, v10
	v_cndmask_b32_e32 v0, 0xff800000, v51, vcc_lo
	v_cmp_eq_u32_e32 vcc_lo, 0, v30
	s_delay_alu instid0(VALU_DEP_2)
	v_cndmask_b32_e32 v1, 0x7f800001, v0, vcc_lo
; %bb.11727:                            ;   in Loop: Header=BB6_11644 Depth=2
	s_or_b32 exec_lo, exec_lo, s14
.LBB6_11728:                            ;   in Loop: Header=BB6_11644 Depth=2
	s_delay_alu instid0(SALU_CYCLE_1)
	s_or_b32 exec_lo, exec_lo, s12
.LBB6_11729:                            ;   in Loop: Header=BB6_11644 Depth=2
	s_delay_alu instid0(SALU_CYCLE_1)
	s_or_b32 exec_lo, exec_lo, s13
	s_mov_b32 s12, 0
	s_mov_b32 s13, exec_lo
	v_cmpx_lt_i16_e32 0x7f, v24
	s_xor_b32 s13, exec_lo, s13
	s_cbranch_execz .LBB6_12497
; %bb.11730:                            ;   in Loop: Header=BB6_11644 Depth=2
	s_mov_b32 s12, -1
	s_mov_b32 s14, exec_lo
	v_cmpx_eq_u16_e32 0x80, v24
; %bb.11731:                            ;   in Loop: Header=BB6_11644 Depth=2
	s_xor_b32 s12, exec_lo, -1
; %bb.11732:                            ;   in Loop: Header=BB6_11644 Depth=2
	s_or_b32 exec_lo, exec_lo, s14
	s_delay_alu instid0(SALU_CYCLE_1)
	s_and_b32 s12, s12, exec_lo
	s_or_saveexec_b32 s13, s13
	v_bfrev_b32_e32 v0, 1
	s_xor_b32 exec_lo, exec_lo, s13
	s_cbranch_execnz .LBB6_12498
.LBB6_11733:                            ;   in Loop: Header=BB6_11644 Depth=2
	s_or_b32 exec_lo, exec_lo, s13
	s_and_saveexec_b32 s13, s12
.LBB6_11734:                            ;   in Loop: Header=BB6_11644 Depth=2
	v_dual_cndmask_b32 v0, v5, v27, s11 :: v_dual_cndmask_b32 v4, v4, v28, s11
	s_delay_alu instid0(VALU_DEP_1) | instskip(NEXT) | instid1(VALU_DEP_1)
	v_lshl_add_u32 v0, v0, 23, v6
	v_lshl_or_b32 v0, v4, 21, v0
	s_delay_alu instid0(VALU_DEP_1)
	v_cndmask_b32_e64 v0, v0, v7, s10
.LBB6_11735:                            ;   in Loop: Header=BB6_11644 Depth=2
	s_or_b32 exec_lo, exec_lo, s13
	s_delay_alu instid0(VALU_DEP_1) | instskip(NEXT) | instid1(VALU_DEP_1)
	v_dual_max_num_f32 v0, v0, v0 :: v_dual_max_num_f32 v1, v1, v1
	v_min_num_f32_e32 v1, v1, v0
.LBB6_11736:                            ;   in Loop: Header=BB6_11644 Depth=2
	s_delay_alu instid0(VALU_DEP_1) | instskip(SKIP_3) | instid1(VALU_DEP_2)
	v_and_b32_e32 v4, 0x7f800000, v1
	v_dual_mov_b32 v5, v25 :: v_dual_lshrrev_b32 v0, 24, v1
	v_and_b32_e32 v24, 0x7fffff, v1
                                        ; implicit-def: $vgpr27
	s_mov_b32 s10, exec_lo
	v_cmpx_ne_u64_e32 0x7f800000, v[4:5]
	s_xor_b32 s11, exec_lo, s10
	s_cbranch_execz .LBB6_11750
; %bb.11737:                            ;   in Loop: Header=BB6_11644 Depth=2
	v_and_b32_e32 v4, 0x7fffffff, v1
	v_mov_b32_e32 v5, v25
	v_and_b32_e32 v6, 0x80, v0
                                        ; implicit-def: $vgpr27
	s_mov_b32 s10, exec_lo
	s_delay_alu instid0(VALU_DEP_2)
	v_cmpx_gt_u64_e32 0x47600001, v[4:5]
	s_xor_b32 s12, exec_lo, s10
	s_cbranch_execz .LBB6_11747
; %bb.11738:                            ;   in Loop: Header=BB6_11644 Depth=2
	v_mov_b32_e32 v27, 0
	s_mov_b32 s13, exec_lo
	v_cmpx_ne_u32_e32 0, v1
	s_cbranch_execz .LBB6_11746
; %bb.11739:                            ;   in Loop: Header=BB6_11644 Depth=2
	v_bfe_u32 v7, v1, 23, 8
	v_or_b32_e32 v4, 0x800000, v24
	s_delay_alu instid0(VALU_DEP_2) | instskip(SKIP_1) | instid1(VALU_DEP_2)
	v_sub_nc_u32_e32 v0, 0x71, v7
	v_cmp_gt_u32_e32 vcc_lo, 0x72, v7
	v_cndmask_b32_e32 v0, 0, v0, vcc_lo
	v_cmp_eq_u32_e32 vcc_lo, 0, v7
	s_delay_alu instid0(VALU_DEP_2) | instskip(NEXT) | instid1(VALU_DEP_1)
	v_cndmask_b32_e64 v27, v0, 0x70, vcc_lo
	v_dual_cndmask_b32 v24, v4, v24, vcc_lo :: v_dual_add_nc_u32 v0, 21, v27
	v_add_nc_u32_e32 v5, 20, v27
	s_delay_alu instid0(VALU_DEP_2) | instskip(NEXT) | instid1(VALU_DEP_2)
	v_lshlrev_b64_e64 v[0:1], v0, -1
	v_lshlrev_b64_e64 v[4:5], v5, 1
	s_delay_alu instid0(VALU_DEP_2) | instskip(NEXT) | instid1(VALU_DEP_3)
	v_bfi_b32 v29, v1, 0, 0
	v_bfi_b32 v28, v0, 0, v24
	v_lshrrev_b64 v[0:1], v27, v[24:25]
	s_delay_alu instid0(VALU_DEP_2) | instskip(NEXT) | instid1(VALU_DEP_2)
	v_cmp_eq_u64_e64 s10, v[28:29], v[4:5]
	v_mov_b64_e32 v[4:5], v[0:1]
	s_and_saveexec_b32 s14, s10
; %bb.11740:                            ;   in Loop: Header=BB6_11644 Depth=2
	v_bfe_u32 v24, v0, 21, 1
	s_delay_alu instid0(VALU_DEP_1) | instskip(NEXT) | instid1(VALU_DEP_1)
	v_add_nc_u64_e32 v[4:5], v[0:1], v[24:25]
	v_add_nc_u64_e32 v[4:5], -1, v[4:5]
; %bb.11741:                            ;   in Loop: Header=BB6_11644 Depth=2
	s_or_b32 exec_lo, exec_lo, s14
	v_add_nc_u32_e32 v1, 0xffffff81, v7
	v_lshrrev_b32_e32 v5, 23, v0
	s_mov_b32 s10, exec_lo
	s_delay_alu instid0(VALU_DEP_2) | instskip(NEXT) | instid1(VALU_DEP_1)
	v_cndmask_b32_e64 v1, v1, 0xffffff82, vcc_lo
	v_add3_u32 v5, v27, v1, v5
	v_and_b32_e32 v1, 0x1fffff, v4
                                        ; implicit-def: $vgpr4
	s_delay_alu instid0(VALU_DEP_1) | instskip(NEXT) | instid1(VALU_DEP_1)
	v_dual_add_nc_u32 v7, 14, v5 :: v_dual_add_nc_u32 v24, v1, v0
                                        ; implicit-def: $vgpr0_vgpr1
	v_cmpx_ne_u32_e32 0, v7
	s_xor_b32 s10, exec_lo, s10
; %bb.11742:                            ;   in Loop: Header=BB6_11644 Depth=2
	s_delay_alu instid0(VALU_DEP_2) | instskip(SKIP_1) | instid1(VALU_DEP_1)
	v_cmp_lt_u64_e32 vcc_lo, 0xffffff, v[24:25]
	v_add_nc_u32_e32 v0, 15, v5
	v_cndmask_b32_e32 v4, v7, v0, vcc_lo
	v_cndmask_b32_e64 v0, 0, 1, vcc_lo
	s_delay_alu instid0(VALU_DEP_1)
	v_lshrrev_b64 v[0:1], v0, v[24:25]
; %bb.11743:                            ;   in Loop: Header=BB6_11644 Depth=2
	s_and_not1_saveexec_b32 s10, s10
; %bb.11744:                            ;   in Loop: Header=BB6_11644 Depth=2
	v_mov_b64_e32 v[0:1], v[24:25]
	v_bfe_u32 v4, v24, 23, 1
; %bb.11745:                            ;   in Loop: Header=BB6_11644 Depth=2
	s_or_b32 exec_lo, exec_lo, s10
	s_delay_alu instid0(VALU_DEP_2) | instskip(NEXT) | instid1(VALU_DEP_2)
	v_lshrrev_b64 v[0:1], 21, v[0:1]
	v_cmp_gt_i32_e32 vcc_lo, 32, v4
	v_min_i32_e32 v5, 31, v4
	v_cmp_eq_u32_e64 s10, 0, v4
	s_delay_alu instid0(VALU_DEP_4) | instskip(NEXT) | instid1(VALU_DEP_3)
	v_cndmask_b32_e32 v1, 0, v1, vcc_lo
	v_dual_cndmask_b32 v0, 3, v0 :: v_dual_lshlrev_b32 v5, 2, v5
	s_delay_alu instid0(VALU_DEP_1) | instskip(NEXT) | instid1(VALU_DEP_2)
	v_and_b32_e32 v5, 0xfc, v5
	v_cmp_eq_u64_e32 vcc_lo, 0, v[0:1]
	s_delay_alu instid0(VALU_DEP_2)
	v_and_or_b32 v0, v0, 3, v5
	s_and_b32 s10, s10, vcc_lo
	s_delay_alu instid0(VALU_DEP_1) | instid1(SALU_CYCLE_1)
	v_cndmask_b32_e64 v0, v0, 0, s10
	s_delay_alu instid0(VALU_DEP_1)
	v_or_b32_e32 v27, v0, v6
.LBB6_11746:                            ;   in Loop: Header=BB6_11644 Depth=2
	s_or_b32 exec_lo, exec_lo, s13
                                        ; implicit-def: $vgpr6
.LBB6_11747:                            ;   in Loop: Header=BB6_11644 Depth=2
	s_and_not1_saveexec_b32 s10, s12
; %bb.11748:                            ;   in Loop: Header=BB6_11644 Depth=2
	v_or_b32_e32 v27, 0x7b, v6
; %bb.11749:                            ;   in Loop: Header=BB6_11644 Depth=2
	s_or_b32 exec_lo, exec_lo, s10
                                        ; implicit-def: $vgpr1
                                        ; implicit-def: $vgpr0
.LBB6_11750:                            ;   in Loop: Header=BB6_11644 Depth=2
	s_and_not1_saveexec_b32 s10, s11
	s_cbranch_execz .LBB6_11756
; %bb.11751:                            ;   in Loop: Header=BB6_11644 Depth=2
	s_mov_b32 s11, exec_lo
                                        ; implicit-def: $vgpr27
	v_cmpx_ne_u64_e32 0, v[24:25]
	s_xor_b32 s11, exec_lo, s11
; %bb.11752:                            ;   in Loop: Header=BB6_11644 Depth=2
	v_or_b32_e32 v27, 0x7f, v0
                                        ; implicit-def: $vgpr1
; %bb.11753:                            ;   in Loop: Header=BB6_11644 Depth=2
	s_and_not1_saveexec_b32 s11, s11
; %bb.11754:                            ;   in Loop: Header=BB6_11644 Depth=2
	v_cmp_lt_i32_e32 vcc_lo, -1, v1
	v_cndmask_b32_e32 v27, 0xfc, v41, vcc_lo
; %bb.11755:                            ;   in Loop: Header=BB6_11644 Depth=2
	s_or_b32 exec_lo, exec_lo, s11
.LBB6_11756:                            ;   in Loop: Header=BB6_11644 Depth=2
	s_delay_alu instid0(SALU_CYCLE_1) | instskip(SKIP_4) | instid1(VALU_DEP_4)
	s_or_b32 exec_lo, exec_lo, s10
	v_bfe_u32 v1, v14, 16, 2
	v_dual_lshrrev_b32 v6, 16, v14 :: v_dual_lshlrev_b32 v24, 8, v14
	v_bfe_u32 v4, v14, 18, 5
	v_and_b32_e32 v5, 0x7c0000, v14
	v_clz_i32_u32_e32 v0, v1
	s_delay_alu instid0(VALU_DEP_4)
	v_bfe_i32 v28, v6, 0, 8
	s_mov_b32 s13, -1
	v_cmp_eq_u32_e64 s11, 0, v4
	v_cmp_eq_u32_e64 s10, 0x7c0000, v5
	v_min_u32_e32 v7, 32, v0
	v_lshrrev_b32_e32 v0, 16, v10
	v_cmp_lt_i16_e32 vcc_lo, -1, v28
	v_and_or_b32 v5, 0x80000000, v24, s27
	s_delay_alu instid0(VALU_DEP_4) | instskip(NEXT) | instid1(VALU_DEP_1)
	v_subrev_nc_u32_e32 v30, 29, v7
	v_lshlrev_b64_e32 v[30:31], v30, v[6:7]
	v_cndmask_b32_e32 v6, 0xff800000, v51, vcc_lo
	v_sub_nc_u32_e32 v7, 30, v7
	v_and_b32_e32 v29, 0xff, v0
	v_cmp_eq_u32_e32 vcc_lo, 0, v1
	v_and_b32_e32 v24, 3, v30
	s_delay_alu instid0(VALU_DEP_3)
	v_cmp_ne_u16_e64 s12, 0, v29
	v_cndmask_b32_e32 v6, 0x7f800001, v6, vcc_lo
	s_and_b32 vcc_lo, exec_lo, s44
                                        ; implicit-def: $vgpr30
	s_cbranch_vccz .LBB6_11774
; %bb.11757:                            ;   in Loop: Header=BB6_11644 Depth=2
	v_mov_b32_e32 v30, 0
	s_and_saveexec_b32 s13, s12
	s_cbranch_execz .LBB6_11767
; %bb.11758:                            ;   in Loop: Header=BB6_11644 Depth=2
	v_bfrev_b32_e32 v30, 1
	s_mov_b32 s14, exec_lo
	v_cmpx_ne_u16_e32 0x80, v29
	s_cbranch_execz .LBB6_11766
; %bb.11759:                            ;   in Loop: Header=BB6_11644 Depth=2
	v_and_b32_e32 v30, 0x7c0000, v10
	v_bfe_u32 v31, v10, 16, 2
	s_delay_alu instid0(VALU_DEP_2) | instskip(SKIP_1) | instid1(SALU_CYCLE_1)
	v_cmp_ne_u32_e32 vcc_lo, 0x7c0000, v30
                                        ; implicit-def: $vgpr30
	s_and_saveexec_b32 s45, vcc_lo
	s_xor_b32 s45, exec_lo, s45
	s_cbranch_execz .LBB6_11763
; %bb.11760:                            ;   in Loop: Header=BB6_11644 Depth=2
	v_bfe_u32 v30, v10, 18, 5
	s_mov_b32 s46, exec_lo
	s_delay_alu instid0(VALU_DEP_1)
	v_cmpx_eq_u32_e32 0, v30
; %bb.11761:                            ;   in Loop: Header=BB6_11644 Depth=2
	v_clz_i32_u32_e32 v30, v31
	s_delay_alu instid0(VALU_DEP_1) | instskip(NEXT) | instid1(VALU_DEP_1)
	v_min_u32_e32 v30, 32, v30
	v_subrev_nc_u32_e32 v31, 29, v30
	s_delay_alu instid0(VALU_DEP_1) | instskip(NEXT) | instid1(VALU_DEP_1)
	v_lshlrev_b64_e32 v[32:33], v31, v[0:1]
	v_dual_sub_nc_u32 v30, 30, v30 :: v_dual_bitop2_b32 v31, 3, v32 bitop3:0x40
; %bb.11762:                            ;   in Loop: Header=BB6_11644 Depth=2
	s_or_b32 exec_lo, exec_lo, s46
	v_lshlrev_b32_e32 v32, 24, v0
	s_delay_alu instid0(VALU_DEP_1) | instskip(NEXT) | instid1(VALU_DEP_1)
	v_and_b32_e32 v32, 0x80000000, v32
	v_lshl_add_u32 v30, v30, 23, v32
	s_delay_alu instid0(VALU_DEP_1) | instskip(NEXT) | instid1(VALU_DEP_1)
	v_lshl_or_b32 v30, v31, 21, v30
                                        ; implicit-def: $vgpr31
	v_add_nc_u32_e32 v30, 0x38000000, v30
.LBB6_11763:                            ;   in Loop: Header=BB6_11644 Depth=2
	s_and_not1_saveexec_b32 s45, s45
; %bb.11764:                            ;   in Loop: Header=BB6_11644 Depth=2
	v_bfe_i32 v30, v0, 0, 8
	s_delay_alu instid0(VALU_DEP_1) | instskip(SKIP_2) | instid1(VALU_DEP_2)
	v_cmp_lt_i16_e32 vcc_lo, -1, v30
	v_cndmask_b32_e32 v30, 0xff800000, v51, vcc_lo
	v_cmp_eq_u32_e32 vcc_lo, 0, v31
	v_cndmask_b32_e32 v30, 0x7f800001, v30, vcc_lo
; %bb.11765:                            ;   in Loop: Header=BB6_11644 Depth=2
	s_or_b32 exec_lo, exec_lo, s45
.LBB6_11766:                            ;   in Loop: Header=BB6_11644 Depth=2
	s_delay_alu instid0(SALU_CYCLE_1)
	s_or_b32 exec_lo, exec_lo, s14
.LBB6_11767:                            ;   in Loop: Header=BB6_11644 Depth=2
	s_delay_alu instid0(SALU_CYCLE_1) | instskip(SKIP_3) | instid1(VALU_DEP_1)
	s_or_b32 exec_lo, exec_lo, s13
	v_and_b32_e32 v32, 0xff, v28
	s_mov_b32 s13, 0
	s_mov_b32 s14, exec_lo
	v_cmpx_lt_i16_e32 0x7f, v32
	s_xor_b32 s14, exec_lo, s14
	s_cbranch_execz .LBB6_12499
; %bb.11768:                            ;   in Loop: Header=BB6_11644 Depth=2
	s_mov_b32 s13, -1
	s_mov_b32 s45, exec_lo
	v_cmpx_eq_u16_e32 0x80, v32
; %bb.11769:                            ;   in Loop: Header=BB6_11644 Depth=2
	s_xor_b32 s13, exec_lo, -1
; %bb.11770:                            ;   in Loop: Header=BB6_11644 Depth=2
	s_or_b32 exec_lo, exec_lo, s45
	s_delay_alu instid0(SALU_CYCLE_1)
	s_and_b32 s13, s13, exec_lo
                                        ; implicit-def: $vgpr32
	s_or_saveexec_b32 s14, s14
	v_bfrev_b32_e32 v31, 1
	s_xor_b32 exec_lo, exec_lo, s14
	s_cbranch_execnz .LBB6_12500
.LBB6_11771:                            ;   in Loop: Header=BB6_11644 Depth=2
	s_or_b32 exec_lo, exec_lo, s14
	s_and_saveexec_b32 s14, s13
.LBB6_11772:                            ;   in Loop: Header=BB6_11644 Depth=2
	v_dual_cndmask_b32 v31, v4, v7, s11 :: v_dual_cndmask_b32 v32, v1, v24, s11
	s_delay_alu instid0(VALU_DEP_1) | instskip(NEXT) | instid1(VALU_DEP_1)
	v_lshl_add_u32 v31, v31, 23, v5
	v_lshl_or_b32 v31, v32, 21, v31
	s_delay_alu instid0(VALU_DEP_1)
	v_cndmask_b32_e64 v31, v31, v6, s10
.LBB6_11773:                            ;   in Loop: Header=BB6_11644 Depth=2
	s_or_b32 exec_lo, exec_lo, s14
	s_delay_alu instid0(VALU_DEP_1) | instskip(SKIP_1) | instid1(VALU_DEP_1)
	v_dual_max_num_f32 v31, v31, v31 :: v_dual_max_num_f32 v30, v30, v30
	s_mov_b32 s13, 0
	v_max_num_f32_e32 v30, v30, v31
.LBB6_11774:                            ;   in Loop: Header=BB6_11644 Depth=2
	s_and_b32 vcc_lo, exec_lo, s13
	s_cbranch_vccz .LBB6_11792
; %bb.11775:                            ;   in Loop: Header=BB6_11644 Depth=2
	v_mov_b32_e32 v30, 0
	s_and_saveexec_b32 s13, s12
	s_cbranch_execz .LBB6_11785
; %bb.11776:                            ;   in Loop: Header=BB6_11644 Depth=2
	v_bfrev_b32_e32 v30, 1
	s_mov_b32 s12, exec_lo
	v_cmpx_ne_u16_e32 0x80, v29
	s_cbranch_execz .LBB6_11784
; %bb.11777:                            ;   in Loop: Header=BB6_11644 Depth=2
	v_and_b32_e32 v30, 0x7c0000, v10
	v_bfe_u32 v29, v10, 16, 2
	s_delay_alu instid0(VALU_DEP_2) | instskip(SKIP_1) | instid1(SALU_CYCLE_1)
	v_cmp_ne_u32_e32 vcc_lo, 0x7c0000, v30
                                        ; implicit-def: $vgpr30
	s_and_saveexec_b32 s14, vcc_lo
	s_xor_b32 s14, exec_lo, s14
	s_cbranch_execz .LBB6_11781
; %bb.11778:                            ;   in Loop: Header=BB6_11644 Depth=2
	v_bfe_u32 v30, v10, 18, 5
	s_mov_b32 s45, exec_lo
	s_delay_alu instid0(VALU_DEP_1)
	v_cmpx_eq_u32_e32 0, v30
; %bb.11779:                            ;   in Loop: Header=BB6_11644 Depth=2
	v_clz_i32_u32_e32 v29, v29
	s_delay_alu instid0(VALU_DEP_1) | instskip(NEXT) | instid1(VALU_DEP_1)
	v_min_u32_e32 v29, 32, v29
	v_subrev_nc_u32_e32 v30, 29, v29
	s_delay_alu instid0(VALU_DEP_1) | instskip(NEXT) | instid1(VALU_DEP_1)
	v_lshlrev_b64_e32 v[32:33], v30, v[0:1]
	v_dual_sub_nc_u32 v30, 30, v29 :: v_dual_bitop2_b32 v29, 3, v32 bitop3:0x40
; %bb.11780:                            ;   in Loop: Header=BB6_11644 Depth=2
	s_or_b32 exec_lo, exec_lo, s45
	v_lshlrev_b32_e32 v0, 24, v0
	s_delay_alu instid0(VALU_DEP_1) | instskip(NEXT) | instid1(VALU_DEP_1)
	v_and_b32_e32 v0, 0x80000000, v0
	v_lshl_add_u32 v0, v30, 23, v0
	s_delay_alu instid0(VALU_DEP_1) | instskip(NEXT) | instid1(VALU_DEP_1)
	v_lshl_or_b32 v0, v29, 21, v0
                                        ; implicit-def: $vgpr29
	v_add_nc_u32_e32 v30, 0x38000000, v0
                                        ; implicit-def: $vgpr0
.LBB6_11781:                            ;   in Loop: Header=BB6_11644 Depth=2
	s_and_not1_saveexec_b32 s14, s14
; %bb.11782:                            ;   in Loop: Header=BB6_11644 Depth=2
	v_bfe_i32 v0, v0, 0, 8
	s_delay_alu instid0(VALU_DEP_1) | instskip(SKIP_2) | instid1(VALU_DEP_2)
	v_cmp_lt_i16_e32 vcc_lo, -1, v0
	v_cndmask_b32_e32 v0, 0xff800000, v51, vcc_lo
	v_cmp_eq_u32_e32 vcc_lo, 0, v29
	v_cndmask_b32_e32 v30, 0x7f800001, v0, vcc_lo
; %bb.11783:                            ;   in Loop: Header=BB6_11644 Depth=2
	s_or_b32 exec_lo, exec_lo, s14
.LBB6_11784:                            ;   in Loop: Header=BB6_11644 Depth=2
	s_delay_alu instid0(SALU_CYCLE_1)
	s_or_b32 exec_lo, exec_lo, s12
.LBB6_11785:                            ;   in Loop: Header=BB6_11644 Depth=2
	s_delay_alu instid0(SALU_CYCLE_1) | instskip(SKIP_3) | instid1(VALU_DEP_1)
	s_or_b32 exec_lo, exec_lo, s13
	v_and_b32_e32 v28, 0xff, v28
	s_mov_b32 s12, 0
	s_mov_b32 s13, exec_lo
	v_cmpx_lt_i16_e32 0x7f, v28
	s_xor_b32 s13, exec_lo, s13
	s_cbranch_execz .LBB6_12501
; %bb.11786:                            ;   in Loop: Header=BB6_11644 Depth=2
	s_mov_b32 s12, -1
	s_mov_b32 s14, exec_lo
	v_cmpx_eq_u16_e32 0x80, v28
; %bb.11787:                            ;   in Loop: Header=BB6_11644 Depth=2
	s_xor_b32 s12, exec_lo, -1
; %bb.11788:                            ;   in Loop: Header=BB6_11644 Depth=2
	s_or_b32 exec_lo, exec_lo, s14
	s_delay_alu instid0(SALU_CYCLE_1)
	s_and_b32 s12, s12, exec_lo
                                        ; implicit-def: $vgpr28
	s_or_saveexec_b32 s13, s13
	v_bfrev_b32_e32 v0, 1
	s_xor_b32 exec_lo, exec_lo, s13
	s_cbranch_execnz .LBB6_12502
.LBB6_11789:                            ;   in Loop: Header=BB6_11644 Depth=2
	s_or_b32 exec_lo, exec_lo, s13
	s_and_saveexec_b32 s13, s12
.LBB6_11790:                            ;   in Loop: Header=BB6_11644 Depth=2
	v_dual_cndmask_b32 v0, v4, v7, s11 :: v_dual_cndmask_b32 v1, v1, v24, s11
	s_delay_alu instid0(VALU_DEP_1) | instskip(NEXT) | instid1(VALU_DEP_1)
	v_lshl_add_u32 v0, v0, 23, v5
	v_lshl_or_b32 v0, v1, 21, v0
	s_delay_alu instid0(VALU_DEP_1)
	v_cndmask_b32_e64 v0, v0, v6, s10
.LBB6_11791:                            ;   in Loop: Header=BB6_11644 Depth=2
	s_or_b32 exec_lo, exec_lo, s13
	s_delay_alu instid0(VALU_DEP_1) | instskip(NEXT) | instid1(VALU_DEP_1)
	v_dual_max_num_f32 v0, v0, v0 :: v_dual_max_num_f32 v1, v30, v30
	v_min_num_f32_e32 v30, v1, v0
.LBB6_11792:                            ;   in Loop: Header=BB6_11644 Depth=2
	s_delay_alu instid0(VALU_DEP_1) | instskip(SKIP_2) | instid1(VALU_DEP_2)
	v_and_b32_e32 v0, 0x7f800000, v30
	v_mov_b32_e32 v1, v25
	v_and_b32_e32 v24, 0x7fffff, v30
                                        ; implicit-def: $vgpr28
	v_cmp_ne_u64_e32 vcc_lo, 0x7f800000, v[0:1]
	v_lshrrev_b32_e32 v0, 24, v30
	s_and_saveexec_b32 s10, vcc_lo
	s_delay_alu instid0(SALU_CYCLE_1)
	s_xor_b32 s11, exec_lo, s10
	s_cbranch_execz .LBB6_11806
; %bb.11793:                            ;   in Loop: Header=BB6_11644 Depth=2
	v_and_b32_e32 v4, 0x7fffffff, v30
	v_mov_b32_e32 v5, v25
	v_and_b32_e32 v6, 0x80, v0
                                        ; implicit-def: $vgpr28
	s_mov_b32 s10, exec_lo
	s_delay_alu instid0(VALU_DEP_2)
	v_cmpx_gt_u64_e32 0x47600001, v[4:5]
	s_xor_b32 s12, exec_lo, s10
	s_cbranch_execz .LBB6_11803
; %bb.11794:                            ;   in Loop: Header=BB6_11644 Depth=2
	v_mov_b32_e32 v28, 0
	s_mov_b32 s13, exec_lo
	v_cmpx_ne_u32_e32 0, v30
	s_cbranch_execz .LBB6_11802
; %bb.11795:                            ;   in Loop: Header=BB6_11644 Depth=2
	v_bfe_u32 v7, v30, 23, 8
	v_or_b32_e32 v4, 0x800000, v24
	s_delay_alu instid0(VALU_DEP_2) | instskip(SKIP_1) | instid1(VALU_DEP_2)
	v_sub_nc_u32_e32 v0, 0x71, v7
	v_cmp_gt_u32_e32 vcc_lo, 0x72, v7
	v_cndmask_b32_e32 v0, 0, v0, vcc_lo
	v_cmp_eq_u32_e32 vcc_lo, 0, v7
	s_delay_alu instid0(VALU_DEP_2) | instskip(SKIP_1) | instid1(VALU_DEP_2)
	v_cndmask_b32_e64 v28, v0, 0x70, vcc_lo
	v_cndmask_b32_e32 v24, v4, v24, vcc_lo
	v_dual_add_nc_u32 v0, 21, v28 :: v_dual_add_nc_u32 v5, 20, v28
	s_delay_alu instid0(VALU_DEP_1) | instskip(NEXT) | instid1(VALU_DEP_2)
	v_lshlrev_b64_e64 v[0:1], v0, -1
	v_lshlrev_b64_e64 v[4:5], v5, 1
	s_delay_alu instid0(VALU_DEP_2) | instskip(NEXT) | instid1(VALU_DEP_3)
	v_bfi_b32 v31, v1, 0, 0
	v_bfi_b32 v30, v0, 0, v24
	v_lshrrev_b64 v[0:1], v28, v[24:25]
	s_delay_alu instid0(VALU_DEP_2) | instskip(NEXT) | instid1(VALU_DEP_2)
	v_cmp_eq_u64_e64 s10, v[30:31], v[4:5]
	v_mov_b64_e32 v[4:5], v[0:1]
	s_and_saveexec_b32 s14, s10
; %bb.11796:                            ;   in Loop: Header=BB6_11644 Depth=2
	v_bfe_u32 v24, v0, 21, 1
	s_delay_alu instid0(VALU_DEP_1) | instskip(NEXT) | instid1(VALU_DEP_1)
	v_add_nc_u64_e32 v[4:5], v[0:1], v[24:25]
	v_add_nc_u64_e32 v[4:5], -1, v[4:5]
; %bb.11797:                            ;   in Loop: Header=BB6_11644 Depth=2
	s_or_b32 exec_lo, exec_lo, s14
	v_add_nc_u32_e32 v1, 0xffffff81, v7
	v_lshrrev_b32_e32 v5, 23, v0
	s_mov_b32 s10, exec_lo
	s_delay_alu instid0(VALU_DEP_2) | instskip(NEXT) | instid1(VALU_DEP_1)
	v_cndmask_b32_e64 v1, v1, 0xffffff82, vcc_lo
	v_add3_u32 v5, v28, v1, v5
	v_and_b32_e32 v1, 0x1fffff, v4
                                        ; implicit-def: $vgpr4
	s_delay_alu instid0(VALU_DEP_1) | instskip(NEXT) | instid1(VALU_DEP_1)
	v_dual_add_nc_u32 v7, 14, v5 :: v_dual_add_nc_u32 v24, v1, v0
                                        ; implicit-def: $vgpr0_vgpr1
	v_cmpx_ne_u32_e32 0, v7
	s_xor_b32 s10, exec_lo, s10
; %bb.11798:                            ;   in Loop: Header=BB6_11644 Depth=2
	s_delay_alu instid0(VALU_DEP_2) | instskip(SKIP_1) | instid1(VALU_DEP_1)
	v_cmp_lt_u64_e32 vcc_lo, 0xffffff, v[24:25]
	v_add_nc_u32_e32 v0, 15, v5
	v_cndmask_b32_e32 v4, v7, v0, vcc_lo
	v_cndmask_b32_e64 v0, 0, 1, vcc_lo
	s_delay_alu instid0(VALU_DEP_1)
	v_lshrrev_b64 v[0:1], v0, v[24:25]
; %bb.11799:                            ;   in Loop: Header=BB6_11644 Depth=2
	s_and_not1_saveexec_b32 s10, s10
; %bb.11800:                            ;   in Loop: Header=BB6_11644 Depth=2
	v_mov_b64_e32 v[0:1], v[24:25]
	v_bfe_u32 v4, v24, 23, 1
; %bb.11801:                            ;   in Loop: Header=BB6_11644 Depth=2
	s_or_b32 exec_lo, exec_lo, s10
	s_delay_alu instid0(VALU_DEP_2) | instskip(NEXT) | instid1(VALU_DEP_2)
	v_lshrrev_b64 v[0:1], 21, v[0:1]
	v_cmp_gt_i32_e32 vcc_lo, 32, v4
	v_min_i32_e32 v5, 31, v4
	v_cmp_eq_u32_e64 s10, 0, v4
	s_delay_alu instid0(VALU_DEP_4) | instskip(NEXT) | instid1(VALU_DEP_3)
	v_cndmask_b32_e32 v1, 0, v1, vcc_lo
	v_dual_cndmask_b32 v0, 3, v0 :: v_dual_lshlrev_b32 v5, 2, v5
	s_delay_alu instid0(VALU_DEP_1) | instskip(NEXT) | instid1(VALU_DEP_2)
	v_and_b32_e32 v5, 0xfc, v5
	v_cmp_eq_u64_e32 vcc_lo, 0, v[0:1]
	s_delay_alu instid0(VALU_DEP_2)
	v_and_or_b32 v0, v0, 3, v5
	s_and_b32 s10, s10, vcc_lo
	s_delay_alu instid0(VALU_DEP_1) | instid1(SALU_CYCLE_1)
	v_cndmask_b32_e64 v0, v0, 0, s10
	s_delay_alu instid0(VALU_DEP_1)
	v_or_b32_e32 v28, v0, v6
.LBB6_11802:                            ;   in Loop: Header=BB6_11644 Depth=2
	s_or_b32 exec_lo, exec_lo, s13
                                        ; implicit-def: $vgpr6
.LBB6_11803:                            ;   in Loop: Header=BB6_11644 Depth=2
	s_and_not1_saveexec_b32 s10, s12
; %bb.11804:                            ;   in Loop: Header=BB6_11644 Depth=2
	v_or_b32_e32 v28, 0x7b, v6
; %bb.11805:                            ;   in Loop: Header=BB6_11644 Depth=2
	s_or_b32 exec_lo, exec_lo, s10
                                        ; implicit-def: $vgpr30
                                        ; implicit-def: $vgpr0
.LBB6_11806:                            ;   in Loop: Header=BB6_11644 Depth=2
	s_and_not1_saveexec_b32 s10, s11
	s_cbranch_execz .LBB6_11812
; %bb.11807:                            ;   in Loop: Header=BB6_11644 Depth=2
	s_mov_b32 s11, exec_lo
                                        ; implicit-def: $vgpr28
	v_cmpx_ne_u64_e32 0, v[24:25]
	s_xor_b32 s11, exec_lo, s11
; %bb.11808:                            ;   in Loop: Header=BB6_11644 Depth=2
	v_or_b32_e32 v28, 0x7f, v0
                                        ; implicit-def: $vgpr30
; %bb.11809:                            ;   in Loop: Header=BB6_11644 Depth=2
	s_and_not1_saveexec_b32 s11, s11
; %bb.11810:                            ;   in Loop: Header=BB6_11644 Depth=2
	v_cmp_lt_i32_e32 vcc_lo, -1, v30
	v_cndmask_b32_e32 v28, 0xfc, v41, vcc_lo
; %bb.11811:                            ;   in Loop: Header=BB6_11644 Depth=2
	s_or_b32 exec_lo, exec_lo, s11
.LBB6_11812:                            ;   in Loop: Header=BB6_11644 Depth=2
	s_delay_alu instid0(SALU_CYCLE_1)
	s_or_b32 exec_lo, exec_lo, s10
	v_bfe_u32 v1, v14, 24, 2
	v_lshrrev_b32_e32 v6, 24, v14
	v_cmp_lt_i32_e32 vcc_lo, -1, v14
	v_and_b32_e32 v24, 0x7c000000, v14
	v_cmp_gt_u32_e64 s10, 0x1000000, v14
	v_clz_i32_u32_e32 v4, v1
	v_and_or_b32 v5, 0x80000000, v14, s27
	v_cndmask_b32_e32 v32, 0xff800000, v51, vcc_lo
	v_cmp_eq_u32_e32 vcc_lo, 0, v1
	v_cmp_lt_u32_e64 s14, 0xffffff, v10
	v_min_u32_e32 v7, 32, v4
	v_bfe_u32 v4, v14, 26, 5
	v_lshrrev_b32_e32 v0, 24, v10
	v_cmp_eq_u32_e64 s11, 0x80, v6
	v_cmp_eq_u32_e64 s12, 0x7c000000, v24
	v_subrev_nc_u32_e32 v29, 29, v7
	v_cmp_eq_u32_e64 s13, 0, v4
	s_mov_b32 s45, -1
	v_lshlrev_b64_e32 v[30:31], v29, v[6:7]
	v_dual_cndmask_b32 v6, 0x7f800001, v32 :: v_dual_sub_nc_u32 v7, 30, v7
	s_and_b32 vcc_lo, exec_lo, s44
	s_delay_alu instid0(VALU_DEP_2)
	v_and_b32_e32 v24, 3, v30
                                        ; implicit-def: $vgpr30
	s_cbranch_vccz .LBB6_11824
; %bb.11813:                            ;   in Loop: Header=BB6_11644 Depth=2
	v_mov_b32_e32 v29, 0
	s_and_saveexec_b32 s45, s14
	s_cbranch_execz .LBB6_11823
; %bb.11814:                            ;   in Loop: Header=BB6_11644 Depth=2
	v_bfrev_b32_e32 v29, 1
	s_mov_b32 s46, exec_lo
	v_cmpx_ne_u32_e32 0x80, v0
	s_cbranch_execz .LBB6_11822
; %bb.11815:                            ;   in Loop: Header=BB6_11644 Depth=2
	v_and_b32_e32 v29, 0x7c000000, v10
	v_bfe_u32 v30, v10, 24, 2
	s_delay_alu instid0(VALU_DEP_2) | instskip(SKIP_1) | instid1(SALU_CYCLE_1)
	v_cmp_ne_u32_e32 vcc_lo, 0x7c000000, v29
                                        ; implicit-def: $vgpr29
	s_and_saveexec_b32 s47, vcc_lo
	s_xor_b32 s47, exec_lo, s47
	s_cbranch_execz .LBB6_11819
; %bb.11816:                            ;   in Loop: Header=BB6_11644 Depth=2
	v_bfe_u32 v29, v10, 26, 5
	s_mov_b32 s56, exec_lo
	s_delay_alu instid0(VALU_DEP_1)
	v_cmpx_eq_u32_e32 0, v29
; %bb.11817:                            ;   in Loop: Header=BB6_11644 Depth=2
	v_clz_i32_u32_e32 v29, v30
	s_delay_alu instid0(VALU_DEP_1) | instskip(NEXT) | instid1(VALU_DEP_1)
	v_min_u32_e32 v29, 32, v29
	v_subrev_nc_u32_e32 v30, 29, v29
	s_delay_alu instid0(VALU_DEP_1) | instskip(NEXT) | instid1(VALU_DEP_1)
	v_lshlrev_b64_e32 v[30:31], v30, v[0:1]
	v_dual_sub_nc_u32 v29, 30, v29 :: v_dual_bitop2_b32 v30, 3, v30 bitop3:0x40
; %bb.11818:                            ;   in Loop: Header=BB6_11644 Depth=2
	s_or_b32 exec_lo, exec_lo, s56
	v_and_b32_e32 v31, 0x80000000, v10
	s_delay_alu instid0(VALU_DEP_1) | instskip(NEXT) | instid1(VALU_DEP_1)
	v_lshl_add_u32 v29, v29, 23, v31
	v_lshl_or_b32 v29, v30, 21, v29
                                        ; implicit-def: $vgpr30
	s_delay_alu instid0(VALU_DEP_1)
	v_add_nc_u32_e32 v29, 0x38000000, v29
.LBB6_11819:                            ;   in Loop: Header=BB6_11644 Depth=2
	s_and_not1_saveexec_b32 s47, s47
; %bb.11820:                            ;   in Loop: Header=BB6_11644 Depth=2
	v_cmp_lt_i32_e32 vcc_lo, -1, v10
	v_cndmask_b32_e32 v29, 0xff800000, v51, vcc_lo
	v_cmp_eq_u32_e32 vcc_lo, 0, v30
	s_delay_alu instid0(VALU_DEP_2)
	v_cndmask_b32_e32 v29, 0x7f800001, v29, vcc_lo
; %bb.11821:                            ;   in Loop: Header=BB6_11644 Depth=2
	s_or_b32 exec_lo, exec_lo, s47
.LBB6_11822:                            ;   in Loop: Header=BB6_11644 Depth=2
	s_delay_alu instid0(SALU_CYCLE_1)
	s_or_b32 exec_lo, exec_lo, s46
.LBB6_11823:                            ;   in Loop: Header=BB6_11644 Depth=2
	s_delay_alu instid0(SALU_CYCLE_1) | instskip(SKIP_3) | instid1(VALU_DEP_2)
	s_or_b32 exec_lo, exec_lo, s45
	v_dual_cndmask_b32 v30, v4, v7, s13 :: v_dual_cndmask_b32 v31, v1, v24, s13
	s_mov_b32 s45, 0
	v_max_num_f32_e32 v29, v29, v29
	v_lshl_add_u32 v30, v30, 23, v5
	s_delay_alu instid0(VALU_DEP_1) | instskip(NEXT) | instid1(VALU_DEP_1)
	v_lshl_or_b32 v30, v31, 21, v30
	v_cndmask_b32_e64 v30, v30, v6, s12
	s_delay_alu instid0(VALU_DEP_1) | instskip(NEXT) | instid1(VALU_DEP_1)
	v_cndmask_b32_e64 v30, v30, 0x80000000, s11
	v_cndmask_b32_e64 v30, v30, 0, s10
	s_delay_alu instid0(VALU_DEP_1) | instskip(NEXT) | instid1(VALU_DEP_1)
	v_max_num_f32_e32 v30, v30, v30
	v_max_num_f32_e32 v30, v29, v30
.LBB6_11824:                            ;   in Loop: Header=BB6_11644 Depth=2
	s_and_b32 vcc_lo, exec_lo, s45
	s_cbranch_vccz .LBB6_11836
; %bb.11825:                            ;   in Loop: Header=BB6_11644 Depth=2
	v_mov_b32_e32 v29, 0
	s_and_saveexec_b32 s45, s14
	s_cbranch_execz .LBB6_11835
; %bb.11826:                            ;   in Loop: Header=BB6_11644 Depth=2
	v_bfrev_b32_e32 v29, 1
	s_mov_b32 s14, exec_lo
	v_cmpx_ne_u32_e32 0x80, v0
	s_cbranch_execz .LBB6_11834
; %bb.11827:                            ;   in Loop: Header=BB6_11644 Depth=2
	v_and_b32_e32 v29, 0x7c000000, v10
	v_bfe_u32 v30, v10, 24, 2
	s_delay_alu instid0(VALU_DEP_2) | instskip(SKIP_1) | instid1(SALU_CYCLE_1)
	v_cmp_ne_u32_e32 vcc_lo, 0x7c000000, v29
                                        ; implicit-def: $vgpr29
	s_and_saveexec_b32 s46, vcc_lo
	s_xor_b32 s46, exec_lo, s46
	s_cbranch_execz .LBB6_11831
; %bb.11828:                            ;   in Loop: Header=BB6_11644 Depth=2
	v_bfe_u32 v29, v10, 26, 5
	s_mov_b32 s47, exec_lo
	s_delay_alu instid0(VALU_DEP_1)
	v_cmpx_eq_u32_e32 0, v29
; %bb.11829:                            ;   in Loop: Header=BB6_11644 Depth=2
	v_clz_i32_u32_e32 v29, v30
	s_delay_alu instid0(VALU_DEP_1) | instskip(NEXT) | instid1(VALU_DEP_1)
	v_min_u32_e32 v29, 32, v29
	v_subrev_nc_u32_e32 v30, 29, v29
	s_delay_alu instid0(VALU_DEP_1) | instskip(NEXT) | instid1(VALU_DEP_1)
	v_lshlrev_b64_e32 v[30:31], v30, v[0:1]
	v_dual_sub_nc_u32 v29, 30, v29 :: v_dual_bitop2_b32 v30, 3, v30 bitop3:0x40
; %bb.11830:                            ;   in Loop: Header=BB6_11644 Depth=2
	s_or_b32 exec_lo, exec_lo, s47
	v_and_b32_e32 v0, 0x80000000, v10
	s_delay_alu instid0(VALU_DEP_1) | instskip(NEXT) | instid1(VALU_DEP_1)
	v_lshl_add_u32 v0, v29, 23, v0
	v_lshl_or_b32 v0, v30, 21, v0
                                        ; implicit-def: $vgpr30
	s_delay_alu instid0(VALU_DEP_1)
	v_add_nc_u32_e32 v29, 0x38000000, v0
.LBB6_11831:                            ;   in Loop: Header=BB6_11644 Depth=2
	s_and_not1_saveexec_b32 s46, s46
; %bb.11832:                            ;   in Loop: Header=BB6_11644 Depth=2
	v_cmp_lt_i32_e32 vcc_lo, -1, v10
	v_cndmask_b32_e32 v0, 0xff800000, v51, vcc_lo
	v_cmp_eq_u32_e32 vcc_lo, 0, v30
	s_delay_alu instid0(VALU_DEP_2)
	v_cndmask_b32_e32 v29, 0x7f800001, v0, vcc_lo
; %bb.11833:                            ;   in Loop: Header=BB6_11644 Depth=2
	s_or_b32 exec_lo, exec_lo, s46
.LBB6_11834:                            ;   in Loop: Header=BB6_11644 Depth=2
	s_delay_alu instid0(SALU_CYCLE_1)
	s_or_b32 exec_lo, exec_lo, s14
.LBB6_11835:                            ;   in Loop: Header=BB6_11644 Depth=2
	s_delay_alu instid0(SALU_CYCLE_1) | instskip(SKIP_1) | instid1(VALU_DEP_1)
	s_or_b32 exec_lo, exec_lo, s45
	v_dual_cndmask_b32 v0, v4, v7, s13 :: v_dual_cndmask_b32 v1, v1, v24, s13
	v_lshl_add_u32 v0, v0, 23, v5
	s_delay_alu instid0(VALU_DEP_1) | instskip(NEXT) | instid1(VALU_DEP_1)
	v_lshl_or_b32 v0, v1, 21, v0
	v_dual_max_num_f32 v1, v29, v29 :: v_dual_cndmask_b32 v0, v0, v6, s12
	s_delay_alu instid0(VALU_DEP_1) | instskip(NEXT) | instid1(VALU_DEP_1)
	v_cndmask_b32_e64 v0, v0, 0x80000000, s11
	v_cndmask_b32_e64 v0, v0, 0, s10
	s_delay_alu instid0(VALU_DEP_1) | instskip(NEXT) | instid1(VALU_DEP_1)
	v_max_num_f32_e32 v0, v0, v0
	v_min_num_f32_e32 v30, v1, v0
.LBB6_11836:                            ;   in Loop: Header=BB6_11644 Depth=2
	s_delay_alu instid0(VALU_DEP_1) | instskip(SKIP_2) | instid1(VALU_DEP_2)
	v_and_b32_e32 v0, 0x7f800000, v30
	v_mov_b32_e32 v1, v25
	v_and_b32_e32 v24, 0x7fffff, v30
                                        ; implicit-def: $vgpr29
	v_cmp_ne_u64_e32 vcc_lo, 0x7f800000, v[0:1]
	v_lshrrev_b32_e32 v0, 24, v30
	s_and_saveexec_b32 s10, vcc_lo
	s_delay_alu instid0(SALU_CYCLE_1)
	s_xor_b32 s11, exec_lo, s10
	s_cbranch_execz .LBB6_11850
; %bb.11837:                            ;   in Loop: Header=BB6_11644 Depth=2
	v_and_b32_e32 v4, 0x7fffffff, v30
	v_mov_b32_e32 v5, v25
	v_and_b32_e32 v6, 0x80, v0
                                        ; implicit-def: $vgpr29
	s_mov_b32 s10, exec_lo
	s_delay_alu instid0(VALU_DEP_2)
	v_cmpx_gt_u64_e32 0x47600001, v[4:5]
	s_xor_b32 s12, exec_lo, s10
	s_cbranch_execz .LBB6_11847
; %bb.11838:                            ;   in Loop: Header=BB6_11644 Depth=2
	v_mov_b32_e32 v29, 0
	s_mov_b32 s13, exec_lo
	v_cmpx_ne_u32_e32 0, v30
	s_cbranch_execz .LBB6_11846
; %bb.11839:                            ;   in Loop: Header=BB6_11644 Depth=2
	v_bfe_u32 v7, v30, 23, 8
	v_or_b32_e32 v4, 0x800000, v24
	s_delay_alu instid0(VALU_DEP_2) | instskip(SKIP_1) | instid1(VALU_DEP_2)
	v_sub_nc_u32_e32 v0, 0x71, v7
	v_cmp_gt_u32_e32 vcc_lo, 0x72, v7
	v_cndmask_b32_e32 v0, 0, v0, vcc_lo
	v_cmp_eq_u32_e32 vcc_lo, 0, v7
	s_delay_alu instid0(VALU_DEP_2) | instskip(NEXT) | instid1(VALU_DEP_1)
	v_cndmask_b32_e64 v29, v0, 0x70, vcc_lo
	v_dual_cndmask_b32 v24, v4, v24, vcc_lo :: v_dual_add_nc_u32 v0, 21, v29
	v_add_nc_u32_e32 v5, 20, v29
	s_delay_alu instid0(VALU_DEP_2) | instskip(NEXT) | instid1(VALU_DEP_2)
	v_lshlrev_b64_e64 v[0:1], v0, -1
	v_lshlrev_b64_e64 v[4:5], v5, 1
	s_delay_alu instid0(VALU_DEP_2) | instskip(NEXT) | instid1(VALU_DEP_3)
	v_bfi_b32 v31, v1, 0, 0
	v_bfi_b32 v30, v0, 0, v24
	v_lshrrev_b64 v[0:1], v29, v[24:25]
	s_delay_alu instid0(VALU_DEP_2) | instskip(NEXT) | instid1(VALU_DEP_2)
	v_cmp_eq_u64_e64 s10, v[30:31], v[4:5]
	v_mov_b64_e32 v[4:5], v[0:1]
	s_and_saveexec_b32 s14, s10
; %bb.11840:                            ;   in Loop: Header=BB6_11644 Depth=2
	v_bfe_u32 v24, v0, 21, 1
	s_delay_alu instid0(VALU_DEP_1) | instskip(NEXT) | instid1(VALU_DEP_1)
	v_add_nc_u64_e32 v[4:5], v[0:1], v[24:25]
	v_add_nc_u64_e32 v[4:5], -1, v[4:5]
; %bb.11841:                            ;   in Loop: Header=BB6_11644 Depth=2
	s_or_b32 exec_lo, exec_lo, s14
	v_add_nc_u32_e32 v1, 0xffffff81, v7
	v_lshrrev_b32_e32 v5, 23, v0
	s_mov_b32 s10, exec_lo
	s_delay_alu instid0(VALU_DEP_2) | instskip(NEXT) | instid1(VALU_DEP_1)
	v_cndmask_b32_e64 v1, v1, 0xffffff82, vcc_lo
	v_add3_u32 v5, v29, v1, v5
	v_and_b32_e32 v1, 0x1fffff, v4
                                        ; implicit-def: $vgpr4
	s_delay_alu instid0(VALU_DEP_1) | instskip(NEXT) | instid1(VALU_DEP_1)
	v_dual_add_nc_u32 v7, 14, v5 :: v_dual_add_nc_u32 v24, v1, v0
                                        ; implicit-def: $vgpr0_vgpr1
	v_cmpx_ne_u32_e32 0, v7
	s_xor_b32 s10, exec_lo, s10
; %bb.11842:                            ;   in Loop: Header=BB6_11644 Depth=2
	s_delay_alu instid0(VALU_DEP_2) | instskip(SKIP_1) | instid1(VALU_DEP_1)
	v_cmp_lt_u64_e32 vcc_lo, 0xffffff, v[24:25]
	v_add_nc_u32_e32 v0, 15, v5
	v_cndmask_b32_e32 v4, v7, v0, vcc_lo
	v_cndmask_b32_e64 v0, 0, 1, vcc_lo
	s_delay_alu instid0(VALU_DEP_1)
	v_lshrrev_b64 v[0:1], v0, v[24:25]
; %bb.11843:                            ;   in Loop: Header=BB6_11644 Depth=2
	s_and_not1_saveexec_b32 s10, s10
; %bb.11844:                            ;   in Loop: Header=BB6_11644 Depth=2
	v_mov_b64_e32 v[0:1], v[24:25]
	v_bfe_u32 v4, v24, 23, 1
; %bb.11845:                            ;   in Loop: Header=BB6_11644 Depth=2
	s_or_b32 exec_lo, exec_lo, s10
	s_delay_alu instid0(VALU_DEP_2) | instskip(NEXT) | instid1(VALU_DEP_2)
	v_lshrrev_b64 v[0:1], 21, v[0:1]
	v_cmp_gt_i32_e32 vcc_lo, 32, v4
	v_min_i32_e32 v5, 31, v4
	v_cmp_eq_u32_e64 s10, 0, v4
	s_delay_alu instid0(VALU_DEP_4) | instskip(NEXT) | instid1(VALU_DEP_3)
	v_cndmask_b32_e32 v1, 0, v1, vcc_lo
	v_dual_cndmask_b32 v0, 3, v0 :: v_dual_lshlrev_b32 v5, 2, v5
	s_delay_alu instid0(VALU_DEP_1) | instskip(NEXT) | instid1(VALU_DEP_2)
	v_and_b32_e32 v5, 0xfc, v5
	v_cmp_eq_u64_e32 vcc_lo, 0, v[0:1]
	s_delay_alu instid0(VALU_DEP_2)
	v_and_or_b32 v0, v0, 3, v5
	s_and_b32 s10, s10, vcc_lo
	s_delay_alu instid0(VALU_DEP_1) | instid1(SALU_CYCLE_1)
	v_cndmask_b32_e64 v0, v0, 0, s10
	s_delay_alu instid0(VALU_DEP_1)
	v_or_b32_e32 v29, v0, v6
.LBB6_11846:                            ;   in Loop: Header=BB6_11644 Depth=2
	s_or_b32 exec_lo, exec_lo, s13
                                        ; implicit-def: $vgpr6
.LBB6_11847:                            ;   in Loop: Header=BB6_11644 Depth=2
	s_and_not1_saveexec_b32 s10, s12
; %bb.11848:                            ;   in Loop: Header=BB6_11644 Depth=2
	v_or_b32_e32 v29, 0x7b, v6
; %bb.11849:                            ;   in Loop: Header=BB6_11644 Depth=2
	s_or_b32 exec_lo, exec_lo, s10
                                        ; implicit-def: $vgpr30
                                        ; implicit-def: $vgpr0
.LBB6_11850:                            ;   in Loop: Header=BB6_11644 Depth=2
	s_and_not1_saveexec_b32 s10, s11
	s_cbranch_execz .LBB6_11856
; %bb.11851:                            ;   in Loop: Header=BB6_11644 Depth=2
	s_mov_b32 s11, exec_lo
                                        ; implicit-def: $vgpr29
	v_cmpx_ne_u64_e32 0, v[24:25]
	s_xor_b32 s11, exec_lo, s11
; %bb.11852:                            ;   in Loop: Header=BB6_11644 Depth=2
	v_or_b32_e32 v29, 0x7f, v0
                                        ; implicit-def: $vgpr30
; %bb.11853:                            ;   in Loop: Header=BB6_11644 Depth=2
	s_and_not1_saveexec_b32 s11, s11
; %bb.11854:                            ;   in Loop: Header=BB6_11644 Depth=2
	v_cmp_lt_i32_e32 vcc_lo, -1, v30
	v_cndmask_b32_e32 v29, 0xfc, v41, vcc_lo
; %bb.11855:                            ;   in Loop: Header=BB6_11644 Depth=2
	s_or_b32 exec_lo, exec_lo, s11
.LBB6_11856:                            ;   in Loop: Header=BB6_11644 Depth=2
	s_delay_alu instid0(SALU_CYCLE_1) | instskip(SKIP_4) | instid1(VALU_DEP_4)
	s_or_b32 exec_lo, exec_lo, s10
	v_dual_mov_b32 v24, v15 :: v_dual_bitop2_b32 v4, 3, v15 bitop3:0x40
	v_bfe_i32 v32, v15, 0, 8
	v_bfe_u32 v5, v15, 2, 5
	v_and_b32_e32 v6, 0x7c, v15
	v_clz_i32_u32_e32 v0, v4
	v_lshlrev_b32_e32 v7, 24, v15
	v_cmp_lt_i16_e32 vcc_lo, -1, v32
	v_mov_b32_e32 v1, v25
	v_and_b32_e32 v33, 0xff, v11
	v_min_u32_e32 v30, 32, v0
	v_mov_b32_e32 v0, v11
	v_cndmask_b32_e32 v36, 0xff800000, v51, vcc_lo
	v_cmp_eq_u32_e32 vcc_lo, 0, v4
	v_cmp_eq_u32_e64 s10, 0x7c, v6
	v_subrev_nc_u32_e32 v31, 29, v30
	v_cmp_eq_u32_e64 s11, 0, v5
	v_and_or_b32 v6, 0x80000000, v7, s27
	v_cmp_ne_u16_e64 s12, 0, v33
	v_dual_cndmask_b32 v7, 0x7f800001, v36 :: v_dual_sub_nc_u32 v30, 30, v30
	v_lshlrev_b64_e32 v[34:35], v31, v[24:25]
	s_and_b32 vcc_lo, exec_lo, s44
	s_mov_b32 s13, -1
	s_delay_alu instid0(VALU_DEP_1)
	v_and_b32_e32 v31, 3, v34
                                        ; implicit-def: $vgpr34
	s_cbranch_vccz .LBB6_11874
; %bb.11857:                            ;   in Loop: Header=BB6_11644 Depth=2
	v_mov_b32_e32 v34, 0
	s_and_saveexec_b32 s13, s12
	s_cbranch_execz .LBB6_11867
; %bb.11858:                            ;   in Loop: Header=BB6_11644 Depth=2
	v_bfrev_b32_e32 v34, 1
	s_mov_b32 s14, exec_lo
	v_cmpx_ne_u16_e32 0x80, v33
	s_cbranch_execz .LBB6_11866
; %bb.11859:                            ;   in Loop: Header=BB6_11644 Depth=2
	v_and_b32_e32 v34, 0x7c, v11
	v_and_b32_e32 v35, 3, v11
	s_delay_alu instid0(VALU_DEP_2) | instskip(SKIP_1) | instid1(SALU_CYCLE_1)
	v_cmp_ne_u32_e32 vcc_lo, 0x7c, v34
                                        ; implicit-def: $vgpr34
	s_and_saveexec_b32 s45, vcc_lo
	s_xor_b32 s45, exec_lo, s45
	s_cbranch_execz .LBB6_11863
; %bb.11860:                            ;   in Loop: Header=BB6_11644 Depth=2
	v_bfe_u32 v34, v11, 2, 5
	s_mov_b32 s46, exec_lo
	s_delay_alu instid0(VALU_DEP_1)
	v_cmpx_eq_u32_e32 0, v34
; %bb.11861:                            ;   in Loop: Header=BB6_11644 Depth=2
	v_clz_i32_u32_e32 v34, v35
	s_delay_alu instid0(VALU_DEP_1) | instskip(NEXT) | instid1(VALU_DEP_1)
	v_min_u32_e32 v34, 32, v34
	v_subrev_nc_u32_e32 v35, 29, v34
	s_delay_alu instid0(VALU_DEP_1) | instskip(NEXT) | instid1(VALU_DEP_1)
	v_lshlrev_b64_e32 v[36:37], v35, v[0:1]
	v_dual_sub_nc_u32 v34, 30, v34 :: v_dual_bitop2_b32 v35, 3, v36 bitop3:0x40
; %bb.11862:                            ;   in Loop: Header=BB6_11644 Depth=2
	s_or_b32 exec_lo, exec_lo, s46
	v_lshlrev_b32_e32 v36, 24, v11
	s_delay_alu instid0(VALU_DEP_1) | instskip(NEXT) | instid1(VALU_DEP_1)
	v_and_b32_e32 v36, 0x80000000, v36
	v_lshl_add_u32 v34, v34, 23, v36
	s_delay_alu instid0(VALU_DEP_1) | instskip(NEXT) | instid1(VALU_DEP_1)
	v_lshl_or_b32 v34, v35, 21, v34
                                        ; implicit-def: $vgpr35
	v_add_nc_u32_e32 v34, 0x38000000, v34
.LBB6_11863:                            ;   in Loop: Header=BB6_11644 Depth=2
	s_and_not1_saveexec_b32 s45, s45
; %bb.11864:                            ;   in Loop: Header=BB6_11644 Depth=2
	v_bfe_i32 v34, v11, 0, 8
	s_delay_alu instid0(VALU_DEP_1) | instskip(SKIP_2) | instid1(VALU_DEP_2)
	v_cmp_lt_i16_e32 vcc_lo, -1, v34
	v_cndmask_b32_e32 v34, 0xff800000, v51, vcc_lo
	v_cmp_eq_u32_e32 vcc_lo, 0, v35
	v_cndmask_b32_e32 v34, 0x7f800001, v34, vcc_lo
; %bb.11865:                            ;   in Loop: Header=BB6_11644 Depth=2
	s_or_b32 exec_lo, exec_lo, s45
.LBB6_11866:                            ;   in Loop: Header=BB6_11644 Depth=2
	s_delay_alu instid0(SALU_CYCLE_1)
	s_or_b32 exec_lo, exec_lo, s14
.LBB6_11867:                            ;   in Loop: Header=BB6_11644 Depth=2
	s_delay_alu instid0(SALU_CYCLE_1) | instskip(SKIP_3) | instid1(VALU_DEP_1)
	s_or_b32 exec_lo, exec_lo, s13
	v_and_b32_e32 v36, 0xff, v32
	s_mov_b32 s13, 0
	s_mov_b32 s14, exec_lo
	v_cmpx_lt_i16_e32 0x7f, v36
	s_xor_b32 s14, exec_lo, s14
	s_cbranch_execz .LBB6_12503
; %bb.11868:                            ;   in Loop: Header=BB6_11644 Depth=2
	s_mov_b32 s13, -1
	s_mov_b32 s45, exec_lo
	v_cmpx_eq_u16_e32 0x80, v36
; %bb.11869:                            ;   in Loop: Header=BB6_11644 Depth=2
	s_xor_b32 s13, exec_lo, -1
; %bb.11870:                            ;   in Loop: Header=BB6_11644 Depth=2
	s_or_b32 exec_lo, exec_lo, s45
	s_delay_alu instid0(SALU_CYCLE_1)
	s_and_b32 s13, s13, exec_lo
                                        ; implicit-def: $vgpr36
	s_or_saveexec_b32 s14, s14
	v_bfrev_b32_e32 v35, 1
	s_xor_b32 exec_lo, exec_lo, s14
	s_cbranch_execnz .LBB6_12504
.LBB6_11871:                            ;   in Loop: Header=BB6_11644 Depth=2
	s_or_b32 exec_lo, exec_lo, s14
	s_and_saveexec_b32 s14, s13
.LBB6_11872:                            ;   in Loop: Header=BB6_11644 Depth=2
	v_dual_cndmask_b32 v35, v5, v30, s11 :: v_dual_cndmask_b32 v36, v4, v31, s11
	s_delay_alu instid0(VALU_DEP_1) | instskip(NEXT) | instid1(VALU_DEP_1)
	v_lshl_add_u32 v35, v35, 23, v6
	v_lshl_or_b32 v35, v36, 21, v35
	s_delay_alu instid0(VALU_DEP_1)
	v_cndmask_b32_e64 v35, v35, v7, s10
.LBB6_11873:                            ;   in Loop: Header=BB6_11644 Depth=2
	s_or_b32 exec_lo, exec_lo, s14
	s_delay_alu instid0(VALU_DEP_1) | instskip(SKIP_1) | instid1(VALU_DEP_1)
	v_dual_max_num_f32 v35, v35, v35 :: v_dual_max_num_f32 v34, v34, v34
	s_mov_b32 s13, 0
	v_max_num_f32_e32 v34, v34, v35
.LBB6_11874:                            ;   in Loop: Header=BB6_11644 Depth=2
	s_and_b32 vcc_lo, exec_lo, s13
	s_cbranch_vccz .LBB6_11892
; %bb.11875:                            ;   in Loop: Header=BB6_11644 Depth=2
	v_mov_b32_e32 v34, 0
	s_and_saveexec_b32 s13, s12
	s_cbranch_execz .LBB6_11885
; %bb.11876:                            ;   in Loop: Header=BB6_11644 Depth=2
	v_bfrev_b32_e32 v34, 1
	s_mov_b32 s12, exec_lo
	v_cmpx_ne_u16_e32 0x80, v33
	s_cbranch_execz .LBB6_11884
; %bb.11877:                            ;   in Loop: Header=BB6_11644 Depth=2
	v_and_b32_e32 v34, 0x7c, v11
	v_and_b32_e32 v33, 3, v11
	s_delay_alu instid0(VALU_DEP_2) | instskip(SKIP_1) | instid1(SALU_CYCLE_1)
	v_cmp_ne_u32_e32 vcc_lo, 0x7c, v34
                                        ; implicit-def: $vgpr34
	s_and_saveexec_b32 s14, vcc_lo
	s_xor_b32 s14, exec_lo, s14
	s_cbranch_execz .LBB6_11881
; %bb.11878:                            ;   in Loop: Header=BB6_11644 Depth=2
	v_bfe_u32 v34, v11, 2, 5
	s_mov_b32 s45, exec_lo
	s_delay_alu instid0(VALU_DEP_1)
	v_cmpx_eq_u32_e32 0, v34
; %bb.11879:                            ;   in Loop: Header=BB6_11644 Depth=2
	v_clz_i32_u32_e32 v33, v33
	s_delay_alu instid0(VALU_DEP_1) | instskip(NEXT) | instid1(VALU_DEP_1)
	v_min_u32_e32 v33, 32, v33
	v_subrev_nc_u32_e32 v34, 29, v33
	s_delay_alu instid0(VALU_DEP_1) | instskip(NEXT) | instid1(VALU_DEP_1)
	v_lshlrev_b64_e32 v[36:37], v34, v[0:1]
	v_dual_sub_nc_u32 v34, 30, v33 :: v_dual_bitop2_b32 v33, 3, v36 bitop3:0x40
; %bb.11880:                            ;   in Loop: Header=BB6_11644 Depth=2
	s_or_b32 exec_lo, exec_lo, s45
	v_lshlrev_b32_e32 v1, 24, v11
	s_delay_alu instid0(VALU_DEP_1) | instskip(NEXT) | instid1(VALU_DEP_1)
	v_and_b32_e32 v1, 0x80000000, v1
	v_lshl_add_u32 v1, v34, 23, v1
	s_delay_alu instid0(VALU_DEP_1) | instskip(NEXT) | instid1(VALU_DEP_1)
	v_lshl_or_b32 v1, v33, 21, v1
                                        ; implicit-def: $vgpr33
	v_add_nc_u32_e32 v34, 0x38000000, v1
.LBB6_11881:                            ;   in Loop: Header=BB6_11644 Depth=2
	s_and_not1_saveexec_b32 s14, s14
; %bb.11882:                            ;   in Loop: Header=BB6_11644 Depth=2
	v_bfe_i32 v1, v11, 0, 8
	s_delay_alu instid0(VALU_DEP_1) | instskip(SKIP_2) | instid1(VALU_DEP_2)
	v_cmp_lt_i16_e32 vcc_lo, -1, v1
	v_cndmask_b32_e32 v1, 0xff800000, v51, vcc_lo
	v_cmp_eq_u32_e32 vcc_lo, 0, v33
	v_cndmask_b32_e32 v34, 0x7f800001, v1, vcc_lo
; %bb.11883:                            ;   in Loop: Header=BB6_11644 Depth=2
	s_or_b32 exec_lo, exec_lo, s14
.LBB6_11884:                            ;   in Loop: Header=BB6_11644 Depth=2
	s_delay_alu instid0(SALU_CYCLE_1)
	s_or_b32 exec_lo, exec_lo, s12
.LBB6_11885:                            ;   in Loop: Header=BB6_11644 Depth=2
	s_delay_alu instid0(SALU_CYCLE_1) | instskip(SKIP_3) | instid1(VALU_DEP_1)
	s_or_b32 exec_lo, exec_lo, s13
	v_and_b32_e32 v32, 0xff, v32
	s_mov_b32 s12, 0
	s_mov_b32 s13, exec_lo
	v_cmpx_lt_i16_e32 0x7f, v32
	s_xor_b32 s13, exec_lo, s13
	s_cbranch_execz .LBB6_12505
; %bb.11886:                            ;   in Loop: Header=BB6_11644 Depth=2
	s_mov_b32 s12, -1
	s_mov_b32 s14, exec_lo
	v_cmpx_eq_u16_e32 0x80, v32
; %bb.11887:                            ;   in Loop: Header=BB6_11644 Depth=2
	s_xor_b32 s12, exec_lo, -1
; %bb.11888:                            ;   in Loop: Header=BB6_11644 Depth=2
	s_or_b32 exec_lo, exec_lo, s14
	s_delay_alu instid0(SALU_CYCLE_1)
	s_and_b32 s12, s12, exec_lo
                                        ; implicit-def: $vgpr32
	s_or_saveexec_b32 s13, s13
	v_bfrev_b32_e32 v1, 1
	s_xor_b32 exec_lo, exec_lo, s13
	s_cbranch_execnz .LBB6_12506
.LBB6_11889:                            ;   in Loop: Header=BB6_11644 Depth=2
	s_or_b32 exec_lo, exec_lo, s13
	s_and_saveexec_b32 s13, s12
.LBB6_11890:                            ;   in Loop: Header=BB6_11644 Depth=2
	v_dual_cndmask_b32 v1, v5, v30, s11 :: v_dual_cndmask_b32 v4, v4, v31, s11
	s_delay_alu instid0(VALU_DEP_1) | instskip(NEXT) | instid1(VALU_DEP_1)
	v_lshl_add_u32 v1, v1, 23, v6
	v_lshl_or_b32 v1, v4, 21, v1
	s_delay_alu instid0(VALU_DEP_1)
	v_cndmask_b32_e64 v1, v1, v7, s10
.LBB6_11891:                            ;   in Loop: Header=BB6_11644 Depth=2
	s_or_b32 exec_lo, exec_lo, s13
	s_delay_alu instid0(VALU_DEP_1) | instskip(NEXT) | instid1(VALU_DEP_1)
	v_dual_max_num_f32 v1, v1, v1 :: v_dual_max_num_f32 v4, v34, v34
	v_min_num_f32_e32 v34, v4, v1
.LBB6_11892:                            ;   in Loop: Header=BB6_11644 Depth=2
	s_delay_alu instid0(VALU_DEP_1) | instskip(SKIP_4) | instid1(VALU_DEP_3)
	v_and_b32_e32 v6, 0x7f800000, v34
	v_dual_mov_b32 v7, v25 :: v_dual_mov_b32 v5, v25
	v_and_b32_e32 v4, 0x7fffff, v34
	v_lshrrev_b32_e32 v1, 24, v34
                                        ; implicit-def: $vgpr30
	s_mov_b32 s10, exec_lo
	v_cmpx_ne_u64_e32 0x7f800000, v[6:7]
	s_xor_b32 s11, exec_lo, s10
	s_cbranch_execz .LBB6_11906
; %bb.11893:                            ;   in Loop: Header=BB6_11644 Depth=2
	v_and_b32_e32 v6, 0x7fffffff, v34
	v_mov_b32_e32 v7, v25
	v_and_b32_e32 v1, 0x80, v1
                                        ; implicit-def: $vgpr30
	s_mov_b32 s10, exec_lo
	s_delay_alu instid0(VALU_DEP_2)
	v_cmpx_gt_u64_e32 0x47600001, v[6:7]
	s_xor_b32 s12, exec_lo, s10
	s_cbranch_execz .LBB6_11903
; %bb.11894:                            ;   in Loop: Header=BB6_11644 Depth=2
	v_mov_b32_e32 v30, 0
	s_mov_b32 s13, exec_lo
	v_cmpx_ne_u32_e32 0, v34
	s_cbranch_execz .LBB6_11902
; %bb.11895:                            ;   in Loop: Header=BB6_11644 Depth=2
	v_bfe_u32 v30, v34, 23, 8
	v_or_b32_e32 v32, 0x800000, v4
	s_delay_alu instid0(VALU_DEP_2) | instskip(SKIP_1) | instid1(VALU_DEP_2)
	v_sub_nc_u32_e32 v6, 0x71, v30
	v_cmp_gt_u32_e32 vcc_lo, 0x72, v30
	v_cndmask_b32_e32 v6, 0, v6, vcc_lo
	v_cmp_eq_u32_e32 vcc_lo, 0, v30
	s_delay_alu instid0(VALU_DEP_2) | instskip(NEXT) | instid1(VALU_DEP_1)
	v_cndmask_b32_e64 v31, v6, 0x70, vcc_lo
	v_dual_cndmask_b32 v4, v32, v4, vcc_lo :: v_dual_add_nc_u32 v6, 21, v31
	v_add_nc_u32_e32 v33, 20, v31
	s_delay_alu instid0(VALU_DEP_2) | instskip(NEXT) | instid1(VALU_DEP_2)
	v_lshlrev_b64_e64 v[6:7], v6, -1
	v_lshlrev_b64_e64 v[32:33], v33, 1
	s_delay_alu instid0(VALU_DEP_2) | instskip(SKIP_1) | instid1(VALU_DEP_4)
	v_bfi_b32 v6, v6, 0, v4
	v_lshrrev_b64 v[4:5], v31, v[4:5]
	v_bfi_b32 v7, v7, 0, 0
	s_delay_alu instid0(VALU_DEP_1) | instskip(NEXT) | instid1(VALU_DEP_3)
	v_cmp_eq_u64_e64 s10, v[6:7], v[32:33]
	v_mov_b64_e32 v[6:7], v[4:5]
	s_and_saveexec_b32 s14, s10
; %bb.11896:                            ;   in Loop: Header=BB6_11644 Depth=2
	v_bfe_u32 v6, v4, 21, 1
	v_mov_b32_e32 v7, v25
	s_delay_alu instid0(VALU_DEP_1) | instskip(NEXT) | instid1(VALU_DEP_1)
	v_add_nc_u64_e32 v[6:7], v[4:5], v[6:7]
	v_add_nc_u64_e32 v[6:7], -1, v[6:7]
; %bb.11897:                            ;   in Loop: Header=BB6_11644 Depth=2
	s_or_b32 exec_lo, exec_lo, s14
	v_add_nc_u32_e32 v5, 0xffffff81, v30
	v_lshrrev_b32_e32 v7, 23, v4
	s_mov_b32 s10, exec_lo
	s_delay_alu instid0(VALU_DEP_2) | instskip(NEXT) | instid1(VALU_DEP_1)
	v_cndmask_b32_e64 v5, v5, 0xffffff82, vcc_lo
	v_add3_u32 v7, v31, v5, v7
	v_and_b32_e32 v5, 0x1fffff, v6
                                        ; implicit-def: $vgpr6
	s_delay_alu instid0(VALU_DEP_1) | instskip(SKIP_1) | instid1(VALU_DEP_2)
	v_dual_add_nc_u32 v30, 14, v7 :: v_dual_add_nc_u32 v4, v5, v4
	v_mov_b32_e32 v5, v25
	v_cmpx_ne_u32_e32 0, v30
	s_xor_b32 s10, exec_lo, s10
; %bb.11898:                            ;   in Loop: Header=BB6_11644 Depth=2
	s_delay_alu instid0(VALU_DEP_2) | instskip(SKIP_2) | instid1(VALU_DEP_2)
	v_cmp_lt_u64_e32 vcc_lo, 0xffffff, v[4:5]
	v_add_nc_u32_e32 v6, 15, v7
	v_cndmask_b32_e64 v7, 0, 1, vcc_lo
	v_cndmask_b32_e32 v6, v30, v6, vcc_lo
	s_delay_alu instid0(VALU_DEP_2)
	v_lshrrev_b64 v[4:5], v7, v[4:5]
; %bb.11899:                            ;   in Loop: Header=BB6_11644 Depth=2
	s_and_not1_saveexec_b32 s10, s10
; %bb.11900:                            ;   in Loop: Header=BB6_11644 Depth=2
	s_delay_alu instid0(VALU_DEP_1)
	v_bfe_u32 v6, v4, 23, 1
; %bb.11901:                            ;   in Loop: Header=BB6_11644 Depth=2
	s_or_b32 exec_lo, exec_lo, s10
	s_delay_alu instid0(VALU_DEP_2) | instskip(NEXT) | instid1(VALU_DEP_2)
	v_lshrrev_b64 v[4:5], 21, v[4:5]
	v_cmp_gt_i32_e32 vcc_lo, 32, v6
	v_min_i32_e32 v7, 31, v6
	v_cmp_eq_u32_e64 s10, 0, v6
	s_delay_alu instid0(VALU_DEP_2) | instskip(SKIP_1) | instid1(VALU_DEP_2)
	v_dual_cndmask_b32 v5, 0, v5, vcc_lo :: v_dual_lshlrev_b32 v7, 2, v7
	v_cndmask_b32_e32 v4, 3, v4, vcc_lo
	v_and_b32_e32 v7, 0xfc, v7
	s_delay_alu instid0(VALU_DEP_2) | instskip(NEXT) | instid1(VALU_DEP_2)
	v_cmp_eq_u64_e32 vcc_lo, 0, v[4:5]
	v_and_or_b32 v4, v4, 3, v7
	s_and_b32 s10, s10, vcc_lo
	s_delay_alu instid0(VALU_DEP_1) | instid1(SALU_CYCLE_1)
	v_cndmask_b32_e64 v4, v4, 0, s10
	s_delay_alu instid0(VALU_DEP_1)
	v_or_b32_e32 v30, v4, v1
.LBB6_11902:                            ;   in Loop: Header=BB6_11644 Depth=2
	s_or_b32 exec_lo, exec_lo, s13
                                        ; implicit-def: $vgpr1
.LBB6_11903:                            ;   in Loop: Header=BB6_11644 Depth=2
	s_and_not1_saveexec_b32 s10, s12
; %bb.11904:                            ;   in Loop: Header=BB6_11644 Depth=2
	v_or_b32_e32 v30, 0x7b, v1
; %bb.11905:                            ;   in Loop: Header=BB6_11644 Depth=2
	s_or_b32 exec_lo, exec_lo, s10
                                        ; implicit-def: $vgpr34
                                        ; implicit-def: $vgpr4_vgpr5
                                        ; implicit-def: $vgpr1
.LBB6_11906:                            ;   in Loop: Header=BB6_11644 Depth=2
	s_and_not1_saveexec_b32 s10, s11
	s_cbranch_execz .LBB6_11912
; %bb.11907:                            ;   in Loop: Header=BB6_11644 Depth=2
	s_mov_b32 s11, exec_lo
                                        ; implicit-def: $vgpr30
	v_cmpx_ne_u64_e32 0, v[4:5]
	s_xor_b32 s11, exec_lo, s11
; %bb.11908:                            ;   in Loop: Header=BB6_11644 Depth=2
	v_or_b32_e32 v30, 0x7f, v1
                                        ; implicit-def: $vgpr34
; %bb.11909:                            ;   in Loop: Header=BB6_11644 Depth=2
	s_and_not1_saveexec_b32 s11, s11
; %bb.11910:                            ;   in Loop: Header=BB6_11644 Depth=2
	v_cmp_lt_i32_e32 vcc_lo, -1, v34
	v_cndmask_b32_e32 v30, 0xfc, v41, vcc_lo
; %bb.11911:                            ;   in Loop: Header=BB6_11644 Depth=2
	s_or_b32 exec_lo, exec_lo, s11
.LBB6_11912:                            ;   in Loop: Header=BB6_11644 Depth=2
	s_delay_alu instid0(SALU_CYCLE_1)
	s_or_b32 exec_lo, exec_lo, s10
	v_lshrrev_b16 v4, 8, v24
	v_cmp_lt_i16_e32 vcc_lo, -1, v24
	v_lshrrev_b16 v6, 8, v0
	s_mov_b32 s13, -1
	v_mov_b32_e32 v5, v25
	v_and_b32_e32 v7, 0xffff, v4
	s_delay_alu instid0(VALU_DEP_3) | instskip(NEXT) | instid1(VALU_DEP_2)
	v_cmp_ne_u16_e64 s12, 0, v6
	v_and_b32_e32 v31, 3, v7
	v_and_b32_e32 v37, 0x7c, v7
	v_bfe_u32 v24, v7, 2, 5
                                        ; implicit-def: $vgpr7
	s_delay_alu instid0(VALU_DEP_3) | instskip(NEXT) | instid1(VALU_DEP_3)
	v_clz_i32_u32_e32 v1, v31
	v_cmp_eq_u32_e64 s10, 0x7c, v37
	s_delay_alu instid0(VALU_DEP_3) | instskip(NEXT) | instid1(VALU_DEP_3)
	v_cmp_eq_u32_e64 s11, 0, v24
	v_min_u32_e32 v33, 32, v1
	v_cndmask_b32_e32 v32, 0xff800000, v51, vcc_lo
	v_cmp_eq_u32_e32 vcc_lo, 0, v31
	v_and_b32_e32 v1, 0xffff, v6
	s_delay_alu instid0(VALU_DEP_4) | instskip(NEXT) | instid1(VALU_DEP_4)
	v_subrev_nc_u32_e32 v34, 29, v33
	v_dual_cndmask_b32 v32, 0x7f800001, v32 :: v_dual_sub_nc_u32 v33, 30, v33
	s_and_b32 vcc_lo, exec_lo, s44
	s_delay_alu instid0(VALU_DEP_2) | instskip(NEXT) | instid1(VALU_DEP_1)
	v_lshlrev_b64_e32 v[34:35], v34, v[4:5]
	v_dual_lshlrev_b32 v36, 24, v4 :: v_dual_bitop2_b32 v34, 3, v34 bitop3:0x40
	s_delay_alu instid0(VALU_DEP_1)
	v_and_or_b32 v5, 0x80000000, v36, s27
	s_cbranch_vccz .LBB6_11930
; %bb.11913:                            ;   in Loop: Header=BB6_11644 Depth=2
	v_mov_b32_e32 v7, 0
	s_and_saveexec_b32 s13, s12
	s_cbranch_execz .LBB6_11923
; %bb.11914:                            ;   in Loop: Header=BB6_11644 Depth=2
	v_bfrev_b32_e32 v7, 1
	s_mov_b32 s14, exec_lo
	v_cmpx_ne_u16_e32 0x80, v6
	s_cbranch_execz .LBB6_11922
; %bb.11915:                            ;   in Loop: Header=BB6_11644 Depth=2
	v_and_b32_e32 v7, 0x7c, v1
	v_and_b32_e32 v35, 3, v1
	s_delay_alu instid0(VALU_DEP_2) | instskip(SKIP_1) | instid1(SALU_CYCLE_1)
	v_cmp_ne_u32_e32 vcc_lo, 0x7c, v7
                                        ; implicit-def: $vgpr7
	s_and_saveexec_b32 s45, vcc_lo
	s_xor_b32 s45, exec_lo, s45
	s_cbranch_execz .LBB6_11919
; %bb.11916:                            ;   in Loop: Header=BB6_11644 Depth=2
	v_bfe_u32 v7, v1, 2, 5
	s_mov_b32 s46, exec_lo
	s_delay_alu instid0(VALU_DEP_1)
	v_cmpx_eq_u32_e32 0, v7
; %bb.11917:                            ;   in Loop: Header=BB6_11644 Depth=2
	v_clz_i32_u32_e32 v7, v35
	s_delay_alu instid0(VALU_DEP_1) | instskip(SKIP_1) | instid1(VALU_DEP_2)
	v_min_u32_e32 v35, 32, v7
	v_mov_b32_e32 v7, v25
	v_subrev_nc_u32_e32 v36, 29, v35
	s_delay_alu instid0(VALU_DEP_1) | instskip(NEXT) | instid1(VALU_DEP_1)
	v_lshlrev_b64_e32 v[36:37], v36, v[6:7]
	v_dual_sub_nc_u32 v7, 30, v35 :: v_dual_bitop2_b32 v35, 3, v36 bitop3:0x40
; %bb.11918:                            ;   in Loop: Header=BB6_11644 Depth=2
	s_or_b32 exec_lo, exec_lo, s46
	v_lshlrev_b32_e32 v36, 16, v0
	s_delay_alu instid0(VALU_DEP_1) | instskip(NEXT) | instid1(VALU_DEP_1)
	v_and_b32_e32 v36, 0x80000000, v36
	v_lshl_add_u32 v7, v7, 23, v36
	s_delay_alu instid0(VALU_DEP_1) | instskip(NEXT) | instid1(VALU_DEP_1)
	v_lshl_or_b32 v7, v35, 21, v7
                                        ; implicit-def: $vgpr35
	v_add_nc_u32_e32 v7, 0x38000000, v7
.LBB6_11919:                            ;   in Loop: Header=BB6_11644 Depth=2
	s_and_not1_saveexec_b32 s45, s45
; %bb.11920:                            ;   in Loop: Header=BB6_11644 Depth=2
	v_cmp_lt_i16_e32 vcc_lo, -1, v0
	v_cndmask_b32_e32 v7, 0xff800000, v51, vcc_lo
	v_cmp_eq_u32_e32 vcc_lo, 0, v35
	s_delay_alu instid0(VALU_DEP_2)
	v_cndmask_b32_e32 v7, 0x7f800001, v7, vcc_lo
; %bb.11921:                            ;   in Loop: Header=BB6_11644 Depth=2
	s_or_b32 exec_lo, exec_lo, s45
.LBB6_11922:                            ;   in Loop: Header=BB6_11644 Depth=2
	s_delay_alu instid0(SALU_CYCLE_1)
	s_or_b32 exec_lo, exec_lo, s14
.LBB6_11923:                            ;   in Loop: Header=BB6_11644 Depth=2
	s_delay_alu instid0(SALU_CYCLE_1)
	s_or_b32 exec_lo, exec_lo, s13
	s_mov_b32 s13, 0
	s_mov_b32 s14, exec_lo
	v_cmpx_lt_i16_e32 0x7f, v4
	s_xor_b32 s14, exec_lo, s14
	s_cbranch_execz .LBB6_12507
; %bb.11924:                            ;   in Loop: Header=BB6_11644 Depth=2
	s_mov_b32 s13, -1
	s_mov_b32 s45, exec_lo
	v_cmpx_eq_u16_e32 0x80, v4
; %bb.11925:                            ;   in Loop: Header=BB6_11644 Depth=2
	s_xor_b32 s13, exec_lo, -1
; %bb.11926:                            ;   in Loop: Header=BB6_11644 Depth=2
	s_or_b32 exec_lo, exec_lo, s45
	s_delay_alu instid0(SALU_CYCLE_1)
	s_and_b32 s13, s13, exec_lo
	s_or_saveexec_b32 s14, s14
	v_bfrev_b32_e32 v35, 1
	s_xor_b32 exec_lo, exec_lo, s14
	s_cbranch_execnz .LBB6_12508
.LBB6_11927:                            ;   in Loop: Header=BB6_11644 Depth=2
	s_or_b32 exec_lo, exec_lo, s14
	s_and_saveexec_b32 s14, s13
.LBB6_11928:                            ;   in Loop: Header=BB6_11644 Depth=2
	v_dual_cndmask_b32 v35, v24, v33, s11 :: v_dual_cndmask_b32 v36, v31, v34, s11
	s_delay_alu instid0(VALU_DEP_1) | instskip(NEXT) | instid1(VALU_DEP_1)
	v_lshl_add_u32 v35, v35, 23, v5
	v_lshl_or_b32 v35, v36, 21, v35
	s_delay_alu instid0(VALU_DEP_1)
	v_cndmask_b32_e64 v35, v35, v32, s10
.LBB6_11929:                            ;   in Loop: Header=BB6_11644 Depth=2
	s_or_b32 exec_lo, exec_lo, s14
	s_delay_alu instid0(VALU_DEP_1) | instskip(SKIP_2) | instid1(VALU_DEP_1)
	v_max_num_f32_e32 v35, v35, v35
	v_max_num_f32_e32 v7, v7, v7
	s_mov_b32 s13, 0
	v_max_num_f32_e32 v7, v7, v35
.LBB6_11930:                            ;   in Loop: Header=BB6_11644 Depth=2
	s_and_b32 vcc_lo, exec_lo, s13
	s_cbranch_vccz .LBB6_11948
; %bb.11931:                            ;   in Loop: Header=BB6_11644 Depth=2
	v_mov_b32_e32 v7, 0
	s_and_saveexec_b32 s13, s12
	s_cbranch_execz .LBB6_11941
; %bb.11932:                            ;   in Loop: Header=BB6_11644 Depth=2
	v_bfrev_b32_e32 v7, 1
	s_mov_b32 s12, exec_lo
	v_cmpx_ne_u16_e32 0x80, v6
	s_cbranch_execz .LBB6_11940
; %bb.11933:                            ;   in Loop: Header=BB6_11644 Depth=2
	v_and_b32_e32 v7, 0x7c, v1
	v_and_b32_e32 v35, 3, v1
	s_delay_alu instid0(VALU_DEP_2) | instskip(SKIP_1) | instid1(SALU_CYCLE_1)
	v_cmp_ne_u32_e32 vcc_lo, 0x7c, v7
                                        ; implicit-def: $vgpr7
	s_and_saveexec_b32 s14, vcc_lo
	s_xor_b32 s14, exec_lo, s14
	s_cbranch_execz .LBB6_11937
; %bb.11934:                            ;   in Loop: Header=BB6_11644 Depth=2
	v_bfe_u32 v1, v1, 2, 5
	s_mov_b32 s45, exec_lo
	s_delay_alu instid0(VALU_DEP_1)
	v_cmpx_eq_u32_e32 0, v1
	s_cbranch_execz .LBB6_11936
; %bb.11935:                            ;   in Loop: Header=BB6_11644 Depth=2
	v_clz_i32_u32_e32 v1, v35
	s_delay_alu instid0(VALU_DEP_1) | instskip(SKIP_1) | instid1(VALU_DEP_2)
	v_min_u32_e32 v1, 32, v1
	v_mov_b32_e32 v7, v25
	v_subrev_nc_u32_e32 v35, 29, v1
	v_sub_nc_u32_e32 v1, 30, v1
	s_delay_alu instid0(VALU_DEP_2) | instskip(NEXT) | instid1(VALU_DEP_1)
	v_lshlrev_b64_e32 v[6:7], v35, v[6:7]
	v_and_b32_e32 v35, 3, v6
.LBB6_11936:                            ;   in Loop: Header=BB6_11644 Depth=2
	s_or_b32 exec_lo, exec_lo, s45
	v_lshlrev_b32_e32 v0, 16, v0
	s_delay_alu instid0(VALU_DEP_1) | instskip(NEXT) | instid1(VALU_DEP_1)
	v_and_b32_e32 v0, 0x80000000, v0
	v_lshl_add_u32 v0, v1, 23, v0
	s_delay_alu instid0(VALU_DEP_1) | instskip(NEXT) | instid1(VALU_DEP_1)
	v_lshl_or_b32 v0, v35, 21, v0
                                        ; implicit-def: $vgpr35
	v_add_nc_u32_e32 v7, 0x38000000, v0
                                        ; implicit-def: $vgpr0_vgpr1
.LBB6_11937:                            ;   in Loop: Header=BB6_11644 Depth=2
	s_and_not1_saveexec_b32 s14, s14
; %bb.11938:                            ;   in Loop: Header=BB6_11644 Depth=2
	v_cmp_lt_i16_e32 vcc_lo, -1, v0
	v_cndmask_b32_e32 v0, 0xff800000, v51, vcc_lo
	v_cmp_eq_u32_e32 vcc_lo, 0, v35
	s_delay_alu instid0(VALU_DEP_2)
	v_cndmask_b32_e32 v7, 0x7f800001, v0, vcc_lo
; %bb.11939:                            ;   in Loop: Header=BB6_11644 Depth=2
	s_or_b32 exec_lo, exec_lo, s14
.LBB6_11940:                            ;   in Loop: Header=BB6_11644 Depth=2
	s_delay_alu instid0(SALU_CYCLE_1)
	s_or_b32 exec_lo, exec_lo, s12
.LBB6_11941:                            ;   in Loop: Header=BB6_11644 Depth=2
	s_delay_alu instid0(SALU_CYCLE_1)
	s_or_b32 exec_lo, exec_lo, s13
	s_mov_b32 s12, 0
	s_mov_b32 s13, exec_lo
	v_cmpx_lt_i16_e32 0x7f, v4
	s_xor_b32 s13, exec_lo, s13
	s_cbranch_execz .LBB6_12509
; %bb.11942:                            ;   in Loop: Header=BB6_11644 Depth=2
	s_mov_b32 s12, -1
	s_mov_b32 s14, exec_lo
	v_cmpx_eq_u16_e32 0x80, v4
; %bb.11943:                            ;   in Loop: Header=BB6_11644 Depth=2
	s_xor_b32 s12, exec_lo, -1
; %bb.11944:                            ;   in Loop: Header=BB6_11644 Depth=2
	s_or_b32 exec_lo, exec_lo, s14
	s_delay_alu instid0(SALU_CYCLE_1)
	s_and_b32 s12, s12, exec_lo
                                        ; implicit-def: $vgpr4
	s_or_saveexec_b32 s13, s13
	v_bfrev_b32_e32 v0, 1
	s_xor_b32 exec_lo, exec_lo, s13
	s_cbranch_execnz .LBB6_12510
.LBB6_11945:                            ;   in Loop: Header=BB6_11644 Depth=2
	s_or_b32 exec_lo, exec_lo, s13
	s_and_saveexec_b32 s13, s12
.LBB6_11946:                            ;   in Loop: Header=BB6_11644 Depth=2
	v_dual_cndmask_b32 v0, v24, v33, s11 :: v_dual_cndmask_b32 v1, v31, v34, s11
	s_delay_alu instid0(VALU_DEP_1) | instskip(NEXT) | instid1(VALU_DEP_1)
	v_lshl_add_u32 v0, v0, 23, v5
	v_lshl_or_b32 v0, v1, 21, v0
	s_delay_alu instid0(VALU_DEP_1)
	v_cndmask_b32_e64 v0, v0, v32, s10
.LBB6_11947:                            ;   in Loop: Header=BB6_11644 Depth=2
	s_or_b32 exec_lo, exec_lo, s13
	s_delay_alu instid0(VALU_DEP_1) | instskip(NEXT) | instid1(VALU_DEP_1)
	v_dual_max_num_f32 v0, v0, v0 :: v_dual_max_num_f32 v1, v7, v7
	v_min_num_f32_e32 v7, v1, v0
.LBB6_11948:                            ;   in Loop: Header=BB6_11644 Depth=2
	s_delay_alu instid0(VALU_DEP_1) | instskip(SKIP_2) | instid1(VALU_DEP_2)
	v_and_b32_e32 v0, 0x7f800000, v7
	v_mov_b32_e32 v1, v25
	v_and_b32_e32 v24, 0x7fffff, v7
                                        ; implicit-def: $vgpr31
	v_cmp_ne_u64_e32 vcc_lo, 0x7f800000, v[0:1]
	v_lshrrev_b32_e32 v0, 24, v7
	s_and_saveexec_b32 s10, vcc_lo
	s_delay_alu instid0(SALU_CYCLE_1)
	s_xor_b32 s11, exec_lo, s10
	s_cbranch_execz .LBB6_11962
; %bb.11949:                            ;   in Loop: Header=BB6_11644 Depth=2
	v_and_b32_e32 v4, 0x7fffffff, v7
	v_mov_b32_e32 v5, v25
	v_and_b32_e32 v6, 0x80, v0
                                        ; implicit-def: $vgpr31
	s_mov_b32 s10, exec_lo
	s_delay_alu instid0(VALU_DEP_2)
	v_cmpx_gt_u64_e32 0x47600001, v[4:5]
	s_xor_b32 s12, exec_lo, s10
	s_cbranch_execz .LBB6_11959
; %bb.11950:                            ;   in Loop: Header=BB6_11644 Depth=2
	v_mov_b32_e32 v31, 0
	s_mov_b32 s13, exec_lo
	v_cmpx_ne_u32_e32 0, v7
	s_cbranch_execz .LBB6_11958
; %bb.11951:                            ;   in Loop: Header=BB6_11644 Depth=2
	v_bfe_u32 v7, v7, 23, 8
	v_or_b32_e32 v4, 0x800000, v24
	s_delay_alu instid0(VALU_DEP_2) | instskip(SKIP_1) | instid1(VALU_DEP_2)
	v_sub_nc_u32_e32 v0, 0x71, v7
	v_cmp_gt_u32_e32 vcc_lo, 0x72, v7
	v_cndmask_b32_e32 v0, 0, v0, vcc_lo
	v_cmp_eq_u32_e32 vcc_lo, 0, v7
	s_delay_alu instid0(VALU_DEP_2) | instskip(NEXT) | instid1(VALU_DEP_1)
	v_cndmask_b32_e64 v31, v0, 0x70, vcc_lo
	v_dual_cndmask_b32 v24, v4, v24, vcc_lo :: v_dual_add_nc_u32 v0, 21, v31
	v_add_nc_u32_e32 v5, 20, v31
	s_delay_alu instid0(VALU_DEP_2) | instskip(NEXT) | instid1(VALU_DEP_2)
	v_lshlrev_b64_e64 v[0:1], v0, -1
	v_lshlrev_b64_e64 v[4:5], v5, 1
	s_delay_alu instid0(VALU_DEP_2) | instskip(NEXT) | instid1(VALU_DEP_3)
	v_bfi_b32 v33, v1, 0, 0
	v_bfi_b32 v32, v0, 0, v24
	v_lshrrev_b64 v[0:1], v31, v[24:25]
	s_delay_alu instid0(VALU_DEP_2) | instskip(NEXT) | instid1(VALU_DEP_2)
	v_cmp_eq_u64_e64 s10, v[32:33], v[4:5]
	v_mov_b64_e32 v[4:5], v[0:1]
	s_and_saveexec_b32 s14, s10
; %bb.11952:                            ;   in Loop: Header=BB6_11644 Depth=2
	v_bfe_u32 v24, v0, 21, 1
	s_delay_alu instid0(VALU_DEP_1) | instskip(NEXT) | instid1(VALU_DEP_1)
	v_add_nc_u64_e32 v[4:5], v[0:1], v[24:25]
	v_add_nc_u64_e32 v[4:5], -1, v[4:5]
; %bb.11953:                            ;   in Loop: Header=BB6_11644 Depth=2
	s_or_b32 exec_lo, exec_lo, s14
	v_add_nc_u32_e32 v1, 0xffffff81, v7
	v_lshrrev_b32_e32 v5, 23, v0
	s_mov_b32 s10, exec_lo
	s_delay_alu instid0(VALU_DEP_2) | instskip(NEXT) | instid1(VALU_DEP_1)
	v_cndmask_b32_e64 v1, v1, 0xffffff82, vcc_lo
	v_add3_u32 v5, v31, v1, v5
	v_and_b32_e32 v1, 0x1fffff, v4
                                        ; implicit-def: $vgpr4
	s_delay_alu instid0(VALU_DEP_1) | instskip(NEXT) | instid1(VALU_DEP_1)
	v_dual_add_nc_u32 v7, 14, v5 :: v_dual_add_nc_u32 v24, v1, v0
                                        ; implicit-def: $vgpr0_vgpr1
	v_cmpx_ne_u32_e32 0, v7
	s_xor_b32 s10, exec_lo, s10
; %bb.11954:                            ;   in Loop: Header=BB6_11644 Depth=2
	s_delay_alu instid0(VALU_DEP_2) | instskip(SKIP_1) | instid1(VALU_DEP_1)
	v_cmp_lt_u64_e32 vcc_lo, 0xffffff, v[24:25]
	v_add_nc_u32_e32 v0, 15, v5
	v_cndmask_b32_e32 v4, v7, v0, vcc_lo
	v_cndmask_b32_e64 v0, 0, 1, vcc_lo
	s_delay_alu instid0(VALU_DEP_1)
	v_lshrrev_b64 v[0:1], v0, v[24:25]
; %bb.11955:                            ;   in Loop: Header=BB6_11644 Depth=2
	s_and_not1_saveexec_b32 s10, s10
; %bb.11956:                            ;   in Loop: Header=BB6_11644 Depth=2
	v_mov_b64_e32 v[0:1], v[24:25]
	v_bfe_u32 v4, v24, 23, 1
; %bb.11957:                            ;   in Loop: Header=BB6_11644 Depth=2
	s_or_b32 exec_lo, exec_lo, s10
	s_delay_alu instid0(VALU_DEP_2) | instskip(NEXT) | instid1(VALU_DEP_2)
	v_lshrrev_b64 v[0:1], 21, v[0:1]
	v_cmp_gt_i32_e32 vcc_lo, 32, v4
	v_min_i32_e32 v5, 31, v4
	v_cmp_eq_u32_e64 s10, 0, v4
	s_delay_alu instid0(VALU_DEP_4) | instskip(NEXT) | instid1(VALU_DEP_3)
	v_cndmask_b32_e32 v1, 0, v1, vcc_lo
	v_dual_cndmask_b32 v0, 3, v0 :: v_dual_lshlrev_b32 v5, 2, v5
	s_delay_alu instid0(VALU_DEP_1) | instskip(NEXT) | instid1(VALU_DEP_2)
	v_and_b32_e32 v5, 0xfc, v5
	v_cmp_eq_u64_e32 vcc_lo, 0, v[0:1]
	s_delay_alu instid0(VALU_DEP_2)
	v_and_or_b32 v0, v0, 3, v5
	s_and_b32 s10, s10, vcc_lo
	s_delay_alu instid0(VALU_DEP_1) | instid1(SALU_CYCLE_1)
	v_cndmask_b32_e64 v0, v0, 0, s10
	s_delay_alu instid0(VALU_DEP_1)
	v_or_b32_e32 v31, v0, v6
.LBB6_11958:                            ;   in Loop: Header=BB6_11644 Depth=2
	s_or_b32 exec_lo, exec_lo, s13
                                        ; implicit-def: $vgpr6
.LBB6_11959:                            ;   in Loop: Header=BB6_11644 Depth=2
	s_and_not1_saveexec_b32 s10, s12
; %bb.11960:                            ;   in Loop: Header=BB6_11644 Depth=2
	v_or_b32_e32 v31, 0x7b, v6
; %bb.11961:                            ;   in Loop: Header=BB6_11644 Depth=2
	s_or_b32 exec_lo, exec_lo, s10
                                        ; implicit-def: $vgpr7
                                        ; implicit-def: $vgpr0
.LBB6_11962:                            ;   in Loop: Header=BB6_11644 Depth=2
	s_and_not1_saveexec_b32 s10, s11
	s_cbranch_execz .LBB6_11968
; %bb.11963:                            ;   in Loop: Header=BB6_11644 Depth=2
	s_mov_b32 s11, exec_lo
                                        ; implicit-def: $vgpr31
	v_cmpx_ne_u64_e32 0, v[24:25]
	s_xor_b32 s11, exec_lo, s11
; %bb.11964:                            ;   in Loop: Header=BB6_11644 Depth=2
	v_or_b32_e32 v31, 0x7f, v0
                                        ; implicit-def: $vgpr7
; %bb.11965:                            ;   in Loop: Header=BB6_11644 Depth=2
	s_and_not1_saveexec_b32 s11, s11
; %bb.11966:                            ;   in Loop: Header=BB6_11644 Depth=2
	v_cmp_lt_i32_e32 vcc_lo, -1, v7
	v_cndmask_b32_e32 v31, 0xfc, v41, vcc_lo
; %bb.11967:                            ;   in Loop: Header=BB6_11644 Depth=2
	s_or_b32 exec_lo, exec_lo, s11
.LBB6_11968:                            ;   in Loop: Header=BB6_11644 Depth=2
	s_delay_alu instid0(SALU_CYCLE_1) | instskip(SKIP_4) | instid1(VALU_DEP_3)
	s_or_b32 exec_lo, exec_lo, s10
	v_bfe_u32 v1, v15, 16, 2
	v_dual_lshrrev_b32 v6, 16, v15 :: v_dual_lshlrev_b32 v24, 8, v15
	v_and_b32_e32 v5, 0x7c0000, v15
	s_mov_b32 s13, -1
	v_clz_i32_u32_e32 v4, v1
	s_delay_alu instid0(VALU_DEP_3) | instskip(NEXT) | instid1(VALU_DEP_3)
	v_bfe_i32 v32, v6, 0, 8
	v_cmp_eq_u32_e64 s10, 0x7c0000, v5
	v_and_or_b32 v5, 0x80000000, v24, s27
	s_delay_alu instid0(VALU_DEP_4) | instskip(NEXT) | instid1(VALU_DEP_4)
	v_min_u32_e32 v7, 32, v4
	v_cmp_lt_i16_e32 vcc_lo, -1, v32
	v_bfe_u32 v4, v15, 18, 5
	s_delay_alu instid0(VALU_DEP_3) | instskip(NEXT) | instid1(VALU_DEP_2)
	v_subrev_nc_u32_e32 v34, 29, v7
	v_cmp_eq_u32_e64 s11, 0, v4
	s_delay_alu instid0(VALU_DEP_2) | instskip(SKIP_3) | instid1(VALU_DEP_4)
	v_lshlrev_b64_e32 v[34:35], v34, v[6:7]
	v_lshrrev_b32_e32 v0, 16, v11
	v_cndmask_b32_e32 v6, 0xff800000, v51, vcc_lo
	v_cmp_eq_u32_e32 vcc_lo, 0, v1
	v_dual_sub_nc_u32 v7, 30, v7 :: v_dual_bitop2_b32 v24, 3, v34 bitop3:0x40
	s_delay_alu instid0(VALU_DEP_4) | instskip(NEXT) | instid1(VALU_DEP_4)
	v_and_b32_e32 v33, 0xff, v0
	v_cndmask_b32_e32 v6, 0x7f800001, v6, vcc_lo
	s_and_b32 vcc_lo, exec_lo, s44
                                        ; implicit-def: $vgpr34
	s_delay_alu instid0(VALU_DEP_2)
	v_cmp_ne_u16_e64 s12, 0, v33
	s_cbranch_vccz .LBB6_11986
; %bb.11969:                            ;   in Loop: Header=BB6_11644 Depth=2
	v_mov_b32_e32 v34, 0
	s_and_saveexec_b32 s13, s12
	s_cbranch_execz .LBB6_11979
; %bb.11970:                            ;   in Loop: Header=BB6_11644 Depth=2
	v_bfrev_b32_e32 v34, 1
	s_mov_b32 s14, exec_lo
	v_cmpx_ne_u16_e32 0x80, v33
	s_cbranch_execz .LBB6_11978
; %bb.11971:                            ;   in Loop: Header=BB6_11644 Depth=2
	v_and_b32_e32 v34, 0x7c0000, v11
	v_bfe_u32 v35, v11, 16, 2
	s_delay_alu instid0(VALU_DEP_2) | instskip(SKIP_1) | instid1(SALU_CYCLE_1)
	v_cmp_ne_u32_e32 vcc_lo, 0x7c0000, v34
                                        ; implicit-def: $vgpr34
	s_and_saveexec_b32 s45, vcc_lo
	s_xor_b32 s45, exec_lo, s45
	s_cbranch_execz .LBB6_11975
; %bb.11972:                            ;   in Loop: Header=BB6_11644 Depth=2
	v_bfe_u32 v34, v11, 18, 5
	s_mov_b32 s46, exec_lo
	s_delay_alu instid0(VALU_DEP_1)
	v_cmpx_eq_u32_e32 0, v34
; %bb.11973:                            ;   in Loop: Header=BB6_11644 Depth=2
	v_clz_i32_u32_e32 v34, v35
	s_delay_alu instid0(VALU_DEP_1) | instskip(NEXT) | instid1(VALU_DEP_1)
	v_min_u32_e32 v34, 32, v34
	v_subrev_nc_u32_e32 v35, 29, v34
	s_delay_alu instid0(VALU_DEP_1) | instskip(NEXT) | instid1(VALU_DEP_1)
	v_lshlrev_b64_e32 v[36:37], v35, v[0:1]
	v_dual_sub_nc_u32 v34, 30, v34 :: v_dual_bitop2_b32 v35, 3, v36 bitop3:0x40
; %bb.11974:                            ;   in Loop: Header=BB6_11644 Depth=2
	s_or_b32 exec_lo, exec_lo, s46
	v_lshlrev_b32_e32 v36, 24, v0
	s_delay_alu instid0(VALU_DEP_1) | instskip(NEXT) | instid1(VALU_DEP_1)
	v_and_b32_e32 v36, 0x80000000, v36
	v_lshl_add_u32 v34, v34, 23, v36
	s_delay_alu instid0(VALU_DEP_1) | instskip(NEXT) | instid1(VALU_DEP_1)
	v_lshl_or_b32 v34, v35, 21, v34
                                        ; implicit-def: $vgpr35
	v_add_nc_u32_e32 v34, 0x38000000, v34
.LBB6_11975:                            ;   in Loop: Header=BB6_11644 Depth=2
	s_and_not1_saveexec_b32 s45, s45
; %bb.11976:                            ;   in Loop: Header=BB6_11644 Depth=2
	v_bfe_i32 v34, v0, 0, 8
	s_delay_alu instid0(VALU_DEP_1) | instskip(SKIP_2) | instid1(VALU_DEP_2)
	v_cmp_lt_i16_e32 vcc_lo, -1, v34
	v_cndmask_b32_e32 v34, 0xff800000, v51, vcc_lo
	v_cmp_eq_u32_e32 vcc_lo, 0, v35
	v_cndmask_b32_e32 v34, 0x7f800001, v34, vcc_lo
; %bb.11977:                            ;   in Loop: Header=BB6_11644 Depth=2
	s_or_b32 exec_lo, exec_lo, s45
.LBB6_11978:                            ;   in Loop: Header=BB6_11644 Depth=2
	s_delay_alu instid0(SALU_CYCLE_1)
	s_or_b32 exec_lo, exec_lo, s14
.LBB6_11979:                            ;   in Loop: Header=BB6_11644 Depth=2
	s_delay_alu instid0(SALU_CYCLE_1) | instskip(SKIP_3) | instid1(VALU_DEP_1)
	s_or_b32 exec_lo, exec_lo, s13
	v_and_b32_e32 v36, 0xff, v32
	s_mov_b32 s13, 0
	s_mov_b32 s14, exec_lo
	v_cmpx_lt_i16_e32 0x7f, v36
	s_xor_b32 s14, exec_lo, s14
	s_cbranch_execz .LBB6_12511
; %bb.11980:                            ;   in Loop: Header=BB6_11644 Depth=2
	s_mov_b32 s13, -1
	s_mov_b32 s45, exec_lo
	v_cmpx_eq_u16_e32 0x80, v36
; %bb.11981:                            ;   in Loop: Header=BB6_11644 Depth=2
	s_xor_b32 s13, exec_lo, -1
; %bb.11982:                            ;   in Loop: Header=BB6_11644 Depth=2
	s_or_b32 exec_lo, exec_lo, s45
	s_delay_alu instid0(SALU_CYCLE_1)
	s_and_b32 s13, s13, exec_lo
                                        ; implicit-def: $vgpr36
	s_or_saveexec_b32 s14, s14
	v_bfrev_b32_e32 v35, 1
	s_xor_b32 exec_lo, exec_lo, s14
	s_cbranch_execnz .LBB6_12512
.LBB6_11983:                            ;   in Loop: Header=BB6_11644 Depth=2
	s_or_b32 exec_lo, exec_lo, s14
	s_and_saveexec_b32 s14, s13
.LBB6_11984:                            ;   in Loop: Header=BB6_11644 Depth=2
	v_dual_cndmask_b32 v35, v4, v7, s11 :: v_dual_cndmask_b32 v36, v1, v24, s11
	s_delay_alu instid0(VALU_DEP_1) | instskip(NEXT) | instid1(VALU_DEP_1)
	v_lshl_add_u32 v35, v35, 23, v5
	v_lshl_or_b32 v35, v36, 21, v35
	s_delay_alu instid0(VALU_DEP_1)
	v_cndmask_b32_e64 v35, v35, v6, s10
.LBB6_11985:                            ;   in Loop: Header=BB6_11644 Depth=2
	s_or_b32 exec_lo, exec_lo, s14
	s_delay_alu instid0(VALU_DEP_1) | instskip(SKIP_1) | instid1(VALU_DEP_1)
	v_dual_max_num_f32 v35, v35, v35 :: v_dual_max_num_f32 v34, v34, v34
	s_mov_b32 s13, 0
	v_max_num_f32_e32 v34, v34, v35
.LBB6_11986:                            ;   in Loop: Header=BB6_11644 Depth=2
	s_and_b32 vcc_lo, exec_lo, s13
	s_cbranch_vccz .LBB6_12004
; %bb.11987:                            ;   in Loop: Header=BB6_11644 Depth=2
	v_mov_b32_e32 v34, 0
	s_and_saveexec_b32 s13, s12
	s_cbranch_execz .LBB6_11997
; %bb.11988:                            ;   in Loop: Header=BB6_11644 Depth=2
	v_bfrev_b32_e32 v34, 1
	s_mov_b32 s12, exec_lo
	v_cmpx_ne_u16_e32 0x80, v33
	s_cbranch_execz .LBB6_11996
; %bb.11989:                            ;   in Loop: Header=BB6_11644 Depth=2
	v_and_b32_e32 v34, 0x7c0000, v11
	v_bfe_u32 v33, v11, 16, 2
	s_delay_alu instid0(VALU_DEP_2) | instskip(SKIP_1) | instid1(SALU_CYCLE_1)
	v_cmp_ne_u32_e32 vcc_lo, 0x7c0000, v34
                                        ; implicit-def: $vgpr34
	s_and_saveexec_b32 s14, vcc_lo
	s_xor_b32 s14, exec_lo, s14
	s_cbranch_execz .LBB6_11993
; %bb.11990:                            ;   in Loop: Header=BB6_11644 Depth=2
	v_bfe_u32 v34, v11, 18, 5
	s_mov_b32 s45, exec_lo
	s_delay_alu instid0(VALU_DEP_1)
	v_cmpx_eq_u32_e32 0, v34
; %bb.11991:                            ;   in Loop: Header=BB6_11644 Depth=2
	v_clz_i32_u32_e32 v33, v33
	s_delay_alu instid0(VALU_DEP_1) | instskip(NEXT) | instid1(VALU_DEP_1)
	v_min_u32_e32 v33, 32, v33
	v_subrev_nc_u32_e32 v34, 29, v33
	s_delay_alu instid0(VALU_DEP_1) | instskip(NEXT) | instid1(VALU_DEP_1)
	v_lshlrev_b64_e32 v[36:37], v34, v[0:1]
	v_dual_sub_nc_u32 v34, 30, v33 :: v_dual_bitop2_b32 v33, 3, v36 bitop3:0x40
; %bb.11992:                            ;   in Loop: Header=BB6_11644 Depth=2
	s_or_b32 exec_lo, exec_lo, s45
	v_lshlrev_b32_e32 v0, 24, v0
	s_delay_alu instid0(VALU_DEP_1) | instskip(NEXT) | instid1(VALU_DEP_1)
	v_and_b32_e32 v0, 0x80000000, v0
	v_lshl_add_u32 v0, v34, 23, v0
	s_delay_alu instid0(VALU_DEP_1) | instskip(NEXT) | instid1(VALU_DEP_1)
	v_lshl_or_b32 v0, v33, 21, v0
                                        ; implicit-def: $vgpr33
	v_add_nc_u32_e32 v34, 0x38000000, v0
                                        ; implicit-def: $vgpr0
.LBB6_11993:                            ;   in Loop: Header=BB6_11644 Depth=2
	s_and_not1_saveexec_b32 s14, s14
; %bb.11994:                            ;   in Loop: Header=BB6_11644 Depth=2
	v_bfe_i32 v0, v0, 0, 8
	s_delay_alu instid0(VALU_DEP_1) | instskip(SKIP_2) | instid1(VALU_DEP_2)
	v_cmp_lt_i16_e32 vcc_lo, -1, v0
	v_cndmask_b32_e32 v0, 0xff800000, v51, vcc_lo
	v_cmp_eq_u32_e32 vcc_lo, 0, v33
	v_cndmask_b32_e32 v34, 0x7f800001, v0, vcc_lo
; %bb.11995:                            ;   in Loop: Header=BB6_11644 Depth=2
	s_or_b32 exec_lo, exec_lo, s14
.LBB6_11996:                            ;   in Loop: Header=BB6_11644 Depth=2
	s_delay_alu instid0(SALU_CYCLE_1)
	s_or_b32 exec_lo, exec_lo, s12
.LBB6_11997:                            ;   in Loop: Header=BB6_11644 Depth=2
	s_delay_alu instid0(SALU_CYCLE_1) | instskip(SKIP_3) | instid1(VALU_DEP_1)
	s_or_b32 exec_lo, exec_lo, s13
	v_and_b32_e32 v32, 0xff, v32
	s_mov_b32 s12, 0
	s_mov_b32 s13, exec_lo
	v_cmpx_lt_i16_e32 0x7f, v32
	s_xor_b32 s13, exec_lo, s13
	s_cbranch_execz .LBB6_12513
; %bb.11998:                            ;   in Loop: Header=BB6_11644 Depth=2
	s_mov_b32 s12, -1
	s_mov_b32 s14, exec_lo
	v_cmpx_eq_u16_e32 0x80, v32
; %bb.11999:                            ;   in Loop: Header=BB6_11644 Depth=2
	s_xor_b32 s12, exec_lo, -1
; %bb.12000:                            ;   in Loop: Header=BB6_11644 Depth=2
	s_or_b32 exec_lo, exec_lo, s14
	s_delay_alu instid0(SALU_CYCLE_1)
	s_and_b32 s12, s12, exec_lo
                                        ; implicit-def: $vgpr32
	s_or_saveexec_b32 s13, s13
	v_bfrev_b32_e32 v0, 1
	s_xor_b32 exec_lo, exec_lo, s13
	s_cbranch_execnz .LBB6_12514
.LBB6_12001:                            ;   in Loop: Header=BB6_11644 Depth=2
	s_or_b32 exec_lo, exec_lo, s13
	s_and_saveexec_b32 s13, s12
.LBB6_12002:                            ;   in Loop: Header=BB6_11644 Depth=2
	v_dual_cndmask_b32 v0, v4, v7, s11 :: v_dual_cndmask_b32 v1, v1, v24, s11
	s_delay_alu instid0(VALU_DEP_1) | instskip(NEXT) | instid1(VALU_DEP_1)
	v_lshl_add_u32 v0, v0, 23, v5
	v_lshl_or_b32 v0, v1, 21, v0
	s_delay_alu instid0(VALU_DEP_1)
	v_cndmask_b32_e64 v0, v0, v6, s10
.LBB6_12003:                            ;   in Loop: Header=BB6_11644 Depth=2
	s_or_b32 exec_lo, exec_lo, s13
	s_delay_alu instid0(VALU_DEP_1) | instskip(NEXT) | instid1(VALU_DEP_1)
	v_dual_max_num_f32 v0, v0, v0 :: v_dual_max_num_f32 v1, v34, v34
	v_min_num_f32_e32 v34, v1, v0
.LBB6_12004:                            ;   in Loop: Header=BB6_11644 Depth=2
	s_delay_alu instid0(VALU_DEP_1) | instskip(SKIP_2) | instid1(VALU_DEP_2)
	v_and_b32_e32 v0, 0x7f800000, v34
	v_mov_b32_e32 v1, v25
	v_and_b32_e32 v24, 0x7fffff, v34
                                        ; implicit-def: $vgpr32
	v_cmp_ne_u64_e32 vcc_lo, 0x7f800000, v[0:1]
	v_lshrrev_b32_e32 v0, 24, v34
	s_and_saveexec_b32 s10, vcc_lo
	s_delay_alu instid0(SALU_CYCLE_1)
	s_xor_b32 s11, exec_lo, s10
	s_cbranch_execz .LBB6_12018
; %bb.12005:                            ;   in Loop: Header=BB6_11644 Depth=2
	v_and_b32_e32 v4, 0x7fffffff, v34
	v_mov_b32_e32 v5, v25
	v_and_b32_e32 v6, 0x80, v0
                                        ; implicit-def: $vgpr32
	s_mov_b32 s10, exec_lo
	s_delay_alu instid0(VALU_DEP_2)
	v_cmpx_gt_u64_e32 0x47600001, v[4:5]
	s_xor_b32 s12, exec_lo, s10
	s_cbranch_execz .LBB6_12015
; %bb.12006:                            ;   in Loop: Header=BB6_11644 Depth=2
	v_mov_b32_e32 v32, 0
	s_mov_b32 s13, exec_lo
	v_cmpx_ne_u32_e32 0, v34
	s_cbranch_execz .LBB6_12014
; %bb.12007:                            ;   in Loop: Header=BB6_11644 Depth=2
	v_bfe_u32 v7, v34, 23, 8
	v_or_b32_e32 v4, 0x800000, v24
	s_delay_alu instid0(VALU_DEP_2) | instskip(SKIP_1) | instid1(VALU_DEP_2)
	v_sub_nc_u32_e32 v0, 0x71, v7
	v_cmp_gt_u32_e32 vcc_lo, 0x72, v7
	v_cndmask_b32_e32 v0, 0, v0, vcc_lo
	v_cmp_eq_u32_e32 vcc_lo, 0, v7
	s_delay_alu instid0(VALU_DEP_2) | instskip(SKIP_1) | instid1(VALU_DEP_2)
	v_cndmask_b32_e64 v32, v0, 0x70, vcc_lo
	v_cndmask_b32_e32 v24, v4, v24, vcc_lo
	v_dual_add_nc_u32 v0, 21, v32 :: v_dual_add_nc_u32 v5, 20, v32
	s_delay_alu instid0(VALU_DEP_1) | instskip(NEXT) | instid1(VALU_DEP_2)
	v_lshlrev_b64_e64 v[0:1], v0, -1
	v_lshlrev_b64_e64 v[4:5], v5, 1
	s_delay_alu instid0(VALU_DEP_2) | instskip(NEXT) | instid1(VALU_DEP_3)
	v_bfi_b32 v35, v1, 0, 0
	v_bfi_b32 v34, v0, 0, v24
	v_lshrrev_b64 v[0:1], v32, v[24:25]
	s_delay_alu instid0(VALU_DEP_2) | instskip(NEXT) | instid1(VALU_DEP_2)
	v_cmp_eq_u64_e64 s10, v[34:35], v[4:5]
	v_mov_b64_e32 v[4:5], v[0:1]
	s_and_saveexec_b32 s14, s10
; %bb.12008:                            ;   in Loop: Header=BB6_11644 Depth=2
	v_bfe_u32 v24, v0, 21, 1
	s_delay_alu instid0(VALU_DEP_1) | instskip(NEXT) | instid1(VALU_DEP_1)
	v_add_nc_u64_e32 v[4:5], v[0:1], v[24:25]
	v_add_nc_u64_e32 v[4:5], -1, v[4:5]
; %bb.12009:                            ;   in Loop: Header=BB6_11644 Depth=2
	s_or_b32 exec_lo, exec_lo, s14
	v_add_nc_u32_e32 v1, 0xffffff81, v7
	v_lshrrev_b32_e32 v5, 23, v0
	s_mov_b32 s10, exec_lo
	s_delay_alu instid0(VALU_DEP_2) | instskip(NEXT) | instid1(VALU_DEP_1)
	v_cndmask_b32_e64 v1, v1, 0xffffff82, vcc_lo
	v_add3_u32 v5, v32, v1, v5
	v_and_b32_e32 v1, 0x1fffff, v4
                                        ; implicit-def: $vgpr4
	s_delay_alu instid0(VALU_DEP_1) | instskip(NEXT) | instid1(VALU_DEP_1)
	v_dual_add_nc_u32 v7, 14, v5 :: v_dual_add_nc_u32 v24, v1, v0
                                        ; implicit-def: $vgpr0_vgpr1
	v_cmpx_ne_u32_e32 0, v7
	s_xor_b32 s10, exec_lo, s10
; %bb.12010:                            ;   in Loop: Header=BB6_11644 Depth=2
	s_delay_alu instid0(VALU_DEP_2) | instskip(SKIP_1) | instid1(VALU_DEP_1)
	v_cmp_lt_u64_e32 vcc_lo, 0xffffff, v[24:25]
	v_add_nc_u32_e32 v0, 15, v5
	v_cndmask_b32_e32 v4, v7, v0, vcc_lo
	v_cndmask_b32_e64 v0, 0, 1, vcc_lo
	s_delay_alu instid0(VALU_DEP_1)
	v_lshrrev_b64 v[0:1], v0, v[24:25]
; %bb.12011:                            ;   in Loop: Header=BB6_11644 Depth=2
	s_and_not1_saveexec_b32 s10, s10
; %bb.12012:                            ;   in Loop: Header=BB6_11644 Depth=2
	v_mov_b64_e32 v[0:1], v[24:25]
	v_bfe_u32 v4, v24, 23, 1
; %bb.12013:                            ;   in Loop: Header=BB6_11644 Depth=2
	s_or_b32 exec_lo, exec_lo, s10
	s_delay_alu instid0(VALU_DEP_2) | instskip(NEXT) | instid1(VALU_DEP_2)
	v_lshrrev_b64 v[0:1], 21, v[0:1]
	v_cmp_gt_i32_e32 vcc_lo, 32, v4
	v_min_i32_e32 v5, 31, v4
	v_cmp_eq_u32_e64 s10, 0, v4
	s_delay_alu instid0(VALU_DEP_4) | instskip(NEXT) | instid1(VALU_DEP_3)
	v_cndmask_b32_e32 v1, 0, v1, vcc_lo
	v_dual_cndmask_b32 v0, 3, v0 :: v_dual_lshlrev_b32 v5, 2, v5
	s_delay_alu instid0(VALU_DEP_1) | instskip(NEXT) | instid1(VALU_DEP_2)
	v_and_b32_e32 v5, 0xfc, v5
	v_cmp_eq_u64_e32 vcc_lo, 0, v[0:1]
	s_delay_alu instid0(VALU_DEP_2)
	v_and_or_b32 v0, v0, 3, v5
	s_and_b32 s10, s10, vcc_lo
	s_delay_alu instid0(VALU_DEP_1) | instid1(SALU_CYCLE_1)
	v_cndmask_b32_e64 v0, v0, 0, s10
	s_delay_alu instid0(VALU_DEP_1)
	v_or_b32_e32 v32, v0, v6
.LBB6_12014:                            ;   in Loop: Header=BB6_11644 Depth=2
	s_or_b32 exec_lo, exec_lo, s13
                                        ; implicit-def: $vgpr6
.LBB6_12015:                            ;   in Loop: Header=BB6_11644 Depth=2
	s_and_not1_saveexec_b32 s10, s12
; %bb.12016:                            ;   in Loop: Header=BB6_11644 Depth=2
	v_or_b32_e32 v32, 0x7b, v6
; %bb.12017:                            ;   in Loop: Header=BB6_11644 Depth=2
	s_or_b32 exec_lo, exec_lo, s10
                                        ; implicit-def: $vgpr34
                                        ; implicit-def: $vgpr0
.LBB6_12018:                            ;   in Loop: Header=BB6_11644 Depth=2
	s_and_not1_saveexec_b32 s10, s11
	s_cbranch_execz .LBB6_12024
; %bb.12019:                            ;   in Loop: Header=BB6_11644 Depth=2
	s_mov_b32 s11, exec_lo
                                        ; implicit-def: $vgpr32
	v_cmpx_ne_u64_e32 0, v[24:25]
	s_xor_b32 s11, exec_lo, s11
; %bb.12020:                            ;   in Loop: Header=BB6_11644 Depth=2
	v_or_b32_e32 v32, 0x7f, v0
                                        ; implicit-def: $vgpr34
; %bb.12021:                            ;   in Loop: Header=BB6_11644 Depth=2
	s_and_not1_saveexec_b32 s11, s11
; %bb.12022:                            ;   in Loop: Header=BB6_11644 Depth=2
	v_cmp_lt_i32_e32 vcc_lo, -1, v34
	v_cndmask_b32_e32 v32, 0xfc, v41, vcc_lo
; %bb.12023:                            ;   in Loop: Header=BB6_11644 Depth=2
	s_or_b32 exec_lo, exec_lo, s11
.LBB6_12024:                            ;   in Loop: Header=BB6_11644 Depth=2
	s_delay_alu instid0(SALU_CYCLE_1)
	s_or_b32 exec_lo, exec_lo, s10
	v_bfe_u32 v1, v15, 24, 2
	v_lshrrev_b32_e32 v6, 24, v15
	v_cmp_lt_i64_e32 vcc_lo, -1, v[14:15]
	v_cmp_gt_u64_e64 s10, s[18:19], v[14:15]
	v_and_b32_e32 v24, 0x7c000000, v15
	v_clz_i32_u32_e32 v4, v1
	v_and_or_b32 v5, 0x80000000, v15, s27
	v_cmp_lt_u64_e64 s14, s[16:17], v[10:11]
	v_cmp_eq_u32_e64 s11, 0x80, v6
	v_cndmask_b32_e32 v34, 0xff800000, v51, vcc_lo
	v_min_u32_e32 v7, 32, v4
	v_bfe_u32 v4, v15, 26, 5
	v_cmp_eq_u32_e32 vcc_lo, 0, v1
	v_cmp_eq_u32_e64 s12, 0x7c000000, v24
	s_mov_b32 s45, -1
	v_subrev_nc_u32_e32 v33, 29, v7
	v_cmp_eq_u32_e64 s13, 0, v4
	s_delay_alu instid0(VALU_DEP_2) | instskip(SKIP_3) | instid1(VALU_DEP_3)
	v_lshlrev_b64_e32 v[14:15], v33, v[6:7]
	v_lshrrev_b32_e32 v0, 24, v11
	v_dual_cndmask_b32 v6, 0x7f800001, v34 :: v_dual_sub_nc_u32 v7, 30, v7
	s_and_b32 vcc_lo, exec_lo, s44
                                        ; implicit-def: $vgpr15
	v_and_b32_e32 v14, 3, v14
	s_cbranch_vccz .LBB6_12036
; %bb.12025:                            ;   in Loop: Header=BB6_11644 Depth=2
	v_mov_b32_e32 v15, 0
	s_and_saveexec_b32 s45, s14
	s_cbranch_execz .LBB6_12035
; %bb.12026:                            ;   in Loop: Header=BB6_11644 Depth=2
	v_bfrev_b32_e32 v15, 1
	s_mov_b32 s46, exec_lo
	v_cmpx_ne_u32_e32 0x80, v0
	s_cbranch_execz .LBB6_12034
; %bb.12027:                            ;   in Loop: Header=BB6_11644 Depth=2
	v_and_b32_e32 v15, 0x7c000000, v11
	v_bfe_u32 v24, v11, 24, 2
	s_delay_alu instid0(VALU_DEP_2) | instskip(SKIP_1) | instid1(SALU_CYCLE_1)
	v_cmp_ne_u32_e32 vcc_lo, 0x7c000000, v15
                                        ; implicit-def: $vgpr15
	s_and_saveexec_b32 s47, vcc_lo
	s_xor_b32 s47, exec_lo, s47
	s_cbranch_execz .LBB6_12031
; %bb.12028:                            ;   in Loop: Header=BB6_11644 Depth=2
	v_bfe_u32 v15, v11, 26, 5
	s_mov_b32 s56, exec_lo
	s_delay_alu instid0(VALU_DEP_1)
	v_cmpx_eq_u32_e32 0, v15
; %bb.12029:                            ;   in Loop: Header=BB6_11644 Depth=2
	v_clz_i32_u32_e32 v15, v24
	s_delay_alu instid0(VALU_DEP_1) | instskip(NEXT) | instid1(VALU_DEP_1)
	v_min_u32_e32 v15, 32, v15
	v_subrev_nc_u32_e32 v24, 29, v15
	s_delay_alu instid0(VALU_DEP_1) | instskip(NEXT) | instid1(VALU_DEP_1)
	v_lshlrev_b64_e32 v[34:35], v24, v[0:1]
	v_dual_sub_nc_u32 v15, 30, v15 :: v_dual_bitop2_b32 v24, 3, v34 bitop3:0x40
; %bb.12030:                            ;   in Loop: Header=BB6_11644 Depth=2
	s_or_b32 exec_lo, exec_lo, s56
	v_and_b32_e32 v33, 0x80000000, v11
	s_delay_alu instid0(VALU_DEP_1) | instskip(NEXT) | instid1(VALU_DEP_1)
	v_lshl_add_u32 v15, v15, 23, v33
	v_lshl_or_b32 v15, v24, 21, v15
                                        ; implicit-def: $vgpr24
	s_delay_alu instid0(VALU_DEP_1)
	v_add_nc_u32_e32 v15, 0x38000000, v15
.LBB6_12031:                            ;   in Loop: Header=BB6_11644 Depth=2
	s_and_not1_saveexec_b32 s47, s47
; %bb.12032:                            ;   in Loop: Header=BB6_11644 Depth=2
	v_cmp_lt_i64_e32 vcc_lo, -1, v[10:11]
	v_cndmask_b32_e32 v15, 0xff800000, v51, vcc_lo
	v_cmp_eq_u32_e32 vcc_lo, 0, v24
	s_delay_alu instid0(VALU_DEP_2)
	v_cndmask_b32_e32 v15, 0x7f800001, v15, vcc_lo
; %bb.12033:                            ;   in Loop: Header=BB6_11644 Depth=2
	s_or_b32 exec_lo, exec_lo, s47
.LBB6_12034:                            ;   in Loop: Header=BB6_11644 Depth=2
	s_delay_alu instid0(SALU_CYCLE_1)
	s_or_b32 exec_lo, exec_lo, s46
.LBB6_12035:                            ;   in Loop: Header=BB6_11644 Depth=2
	s_delay_alu instid0(SALU_CYCLE_1) | instskip(SKIP_3) | instid1(VALU_DEP_2)
	s_or_b32 exec_lo, exec_lo, s45
	v_dual_cndmask_b32 v24, v4, v7, s13 :: v_dual_cndmask_b32 v33, v1, v14, s13
	s_mov_b32 s45, 0
	v_max_num_f32_e32 v15, v15, v15
	v_lshl_add_u32 v24, v24, 23, v5
	s_delay_alu instid0(VALU_DEP_1) | instskip(NEXT) | instid1(VALU_DEP_1)
	v_lshl_or_b32 v24, v33, 21, v24
	v_cndmask_b32_e64 v24, v24, v6, s12
	s_delay_alu instid0(VALU_DEP_1) | instskip(NEXT) | instid1(VALU_DEP_1)
	v_cndmask_b32_e64 v24, v24, 0x80000000, s11
	v_cndmask_b32_e64 v24, v24, 0, s10
	s_delay_alu instid0(VALU_DEP_1) | instskip(NEXT) | instid1(VALU_DEP_1)
	v_max_num_f32_e32 v24, v24, v24
	v_max_num_f32_e32 v15, v15, v24
.LBB6_12036:                            ;   in Loop: Header=BB6_11644 Depth=2
	s_and_b32 vcc_lo, exec_lo, s45
	s_cbranch_vccz .LBB6_12048
; %bb.12037:                            ;   in Loop: Header=BB6_11644 Depth=2
	v_mov_b32_e32 v15, 0
	s_and_saveexec_b32 s45, s14
	s_cbranch_execz .LBB6_12047
; %bb.12038:                            ;   in Loop: Header=BB6_11644 Depth=2
	v_bfrev_b32_e32 v15, 1
	s_mov_b32 s14, exec_lo
	v_cmpx_ne_u32_e32 0x80, v0
	s_cbranch_execz .LBB6_12046
; %bb.12039:                            ;   in Loop: Header=BB6_11644 Depth=2
	v_and_b32_e32 v15, 0x7c000000, v11
	v_bfe_u32 v24, v11, 24, 2
	s_delay_alu instid0(VALU_DEP_2) | instskip(SKIP_1) | instid1(SALU_CYCLE_1)
	v_cmp_ne_u32_e32 vcc_lo, 0x7c000000, v15
                                        ; implicit-def: $vgpr15
	s_and_saveexec_b32 s46, vcc_lo
	s_xor_b32 s46, exec_lo, s46
	s_cbranch_execz .LBB6_12043
; %bb.12040:                            ;   in Loop: Header=BB6_11644 Depth=2
	v_bfe_u32 v15, v11, 26, 5
	s_mov_b32 s47, exec_lo
	s_delay_alu instid0(VALU_DEP_1)
	v_cmpx_eq_u32_e32 0, v15
; %bb.12041:                            ;   in Loop: Header=BB6_11644 Depth=2
	v_clz_i32_u32_e32 v15, v24
	s_delay_alu instid0(VALU_DEP_1) | instskip(NEXT) | instid1(VALU_DEP_1)
	v_min_u32_e32 v15, 32, v15
	v_subrev_nc_u32_e32 v24, 29, v15
	s_delay_alu instid0(VALU_DEP_1) | instskip(NEXT) | instid1(VALU_DEP_1)
	v_lshlrev_b64_e32 v[34:35], v24, v[0:1]
	v_dual_sub_nc_u32 v15, 30, v15 :: v_dual_bitop2_b32 v24, 3, v34 bitop3:0x40
; %bb.12042:                            ;   in Loop: Header=BB6_11644 Depth=2
	s_or_b32 exec_lo, exec_lo, s47
	v_and_b32_e32 v0, 0x80000000, v11
	s_delay_alu instid0(VALU_DEP_1) | instskip(NEXT) | instid1(VALU_DEP_1)
	v_lshl_add_u32 v0, v15, 23, v0
	v_lshl_or_b32 v0, v24, 21, v0
                                        ; implicit-def: $vgpr24
	s_delay_alu instid0(VALU_DEP_1)
	v_add_nc_u32_e32 v15, 0x38000000, v0
.LBB6_12043:                            ;   in Loop: Header=BB6_11644 Depth=2
	s_and_not1_saveexec_b32 s46, s46
; %bb.12044:                            ;   in Loop: Header=BB6_11644 Depth=2
	v_cmp_lt_i64_e32 vcc_lo, -1, v[10:11]
	v_cndmask_b32_e32 v0, 0xff800000, v51, vcc_lo
	v_cmp_eq_u32_e32 vcc_lo, 0, v24
	s_delay_alu instid0(VALU_DEP_2)
	v_cndmask_b32_e32 v15, 0x7f800001, v0, vcc_lo
; %bb.12045:                            ;   in Loop: Header=BB6_11644 Depth=2
	s_or_b32 exec_lo, exec_lo, s46
.LBB6_12046:                            ;   in Loop: Header=BB6_11644 Depth=2
	s_delay_alu instid0(SALU_CYCLE_1)
	s_or_b32 exec_lo, exec_lo, s14
.LBB6_12047:                            ;   in Loop: Header=BB6_11644 Depth=2
	s_delay_alu instid0(SALU_CYCLE_1) | instskip(SKIP_1) | instid1(VALU_DEP_1)
	s_or_b32 exec_lo, exec_lo, s45
	v_dual_cndmask_b32 v0, v4, v7, s13 :: v_dual_cndmask_b32 v1, v1, v14, s13
	v_lshl_add_u32 v0, v0, 23, v5
	s_delay_alu instid0(VALU_DEP_1) | instskip(NEXT) | instid1(VALU_DEP_1)
	v_lshl_or_b32 v0, v1, 21, v0
	v_dual_max_num_f32 v1, v15, v15 :: v_dual_cndmask_b32 v0, v0, v6, s12
	s_delay_alu instid0(VALU_DEP_1) | instskip(NEXT) | instid1(VALU_DEP_1)
	v_cndmask_b32_e64 v0, v0, 0x80000000, s11
	v_cndmask_b32_e64 v0, v0, 0, s10
	s_delay_alu instid0(VALU_DEP_1) | instskip(NEXT) | instid1(VALU_DEP_1)
	v_max_num_f32_e32 v0, v0, v0
	v_min_num_f32_e32 v15, v1, v0
.LBB6_12048:                            ;   in Loop: Header=BB6_11644 Depth=2
	s_delay_alu instid0(VALU_DEP_1) | instskip(SKIP_2) | instid1(VALU_DEP_2)
	v_and_b32_e32 v0, 0x7f800000, v15
	v_mov_b32_e32 v1, v25
	v_and_b32_e32 v24, 0x7fffff, v15
                                        ; implicit-def: $vgpr10
	v_cmp_ne_u64_e32 vcc_lo, 0x7f800000, v[0:1]
	v_lshrrev_b32_e32 v0, 24, v15
	s_and_saveexec_b32 s10, vcc_lo
	s_delay_alu instid0(SALU_CYCLE_1)
	s_xor_b32 s11, exec_lo, s10
	s_cbranch_execz .LBB6_12062
; %bb.12049:                            ;   in Loop: Header=BB6_11644 Depth=2
	v_and_b32_e32 v4, 0x7fffffff, v15
	v_mov_b32_e32 v5, v25
	v_and_b32_e32 v6, 0x80, v0
                                        ; implicit-def: $vgpr10
	s_mov_b32 s10, exec_lo
	s_delay_alu instid0(VALU_DEP_2)
	v_cmpx_gt_u64_e32 0x47600001, v[4:5]
	s_xor_b32 s12, exec_lo, s10
	s_cbranch_execz .LBB6_12059
; %bb.12050:                            ;   in Loop: Header=BB6_11644 Depth=2
	v_mov_b32_e32 v10, 0
	s_mov_b32 s13, exec_lo
	v_cmpx_ne_u32_e32 0, v15
	s_cbranch_execz .LBB6_12058
; %bb.12051:                            ;   in Loop: Header=BB6_11644 Depth=2
	v_bfe_u32 v7, v15, 23, 8
	v_or_b32_e32 v4, 0x800000, v24
	s_delay_alu instid0(VALU_DEP_2) | instskip(SKIP_1) | instid1(VALU_DEP_2)
	v_sub_nc_u32_e32 v0, 0x71, v7
	v_cmp_gt_u32_e32 vcc_lo, 0x72, v7
	v_cndmask_b32_e32 v0, 0, v0, vcc_lo
	v_cmp_eq_u32_e32 vcc_lo, 0, v7
	s_delay_alu instid0(VALU_DEP_2) | instskip(NEXT) | instid1(VALU_DEP_1)
	v_cndmask_b32_e64 v10, v0, 0x70, vcc_lo
	v_dual_cndmask_b32 v24, v4, v24, vcc_lo :: v_dual_add_nc_u32 v0, 21, v10
	v_add_nc_u32_e32 v5, 20, v10
	s_delay_alu instid0(VALU_DEP_2) | instskip(NEXT) | instid1(VALU_DEP_2)
	v_lshlrev_b64_e64 v[0:1], v0, -1
	v_lshlrev_b64_e64 v[4:5], v5, 1
	s_delay_alu instid0(VALU_DEP_2) | instskip(NEXT) | instid1(VALU_DEP_3)
	v_bfi_b32 v15, v1, 0, 0
	v_bfi_b32 v14, v0, 0, v24
	v_lshrrev_b64 v[0:1], v10, v[24:25]
	s_delay_alu instid0(VALU_DEP_2) | instskip(NEXT) | instid1(VALU_DEP_2)
	v_cmp_eq_u64_e64 s10, v[14:15], v[4:5]
	v_mov_b64_e32 v[4:5], v[0:1]
	s_and_saveexec_b32 s14, s10
; %bb.12052:                            ;   in Loop: Header=BB6_11644 Depth=2
	v_bfe_u32 v24, v0, 21, 1
	s_delay_alu instid0(VALU_DEP_1) | instskip(NEXT) | instid1(VALU_DEP_1)
	v_add_nc_u64_e32 v[4:5], v[0:1], v[24:25]
	v_add_nc_u64_e32 v[4:5], -1, v[4:5]
; %bb.12053:                            ;   in Loop: Header=BB6_11644 Depth=2
	s_or_b32 exec_lo, exec_lo, s14
	v_add_nc_u32_e32 v1, 0xffffff81, v7
	v_lshrrev_b32_e32 v5, 23, v0
	s_mov_b32 s10, exec_lo
	s_delay_alu instid0(VALU_DEP_2) | instskip(NEXT) | instid1(VALU_DEP_1)
	v_cndmask_b32_e64 v1, v1, 0xffffff82, vcc_lo
	v_add3_u32 v5, v10, v1, v5
	v_and_b32_e32 v1, 0x1fffff, v4
                                        ; implicit-def: $vgpr4
	s_delay_alu instid0(VALU_DEP_1) | instskip(NEXT) | instid1(VALU_DEP_1)
	v_dual_add_nc_u32 v7, 14, v5 :: v_dual_add_nc_u32 v24, v1, v0
                                        ; implicit-def: $vgpr0_vgpr1
	v_cmpx_ne_u32_e32 0, v7
	s_xor_b32 s10, exec_lo, s10
; %bb.12054:                            ;   in Loop: Header=BB6_11644 Depth=2
	s_delay_alu instid0(VALU_DEP_2) | instskip(SKIP_1) | instid1(VALU_DEP_1)
	v_cmp_lt_u64_e32 vcc_lo, 0xffffff, v[24:25]
	v_add_nc_u32_e32 v0, 15, v5
	v_cndmask_b32_e32 v4, v7, v0, vcc_lo
	v_cndmask_b32_e64 v0, 0, 1, vcc_lo
	s_delay_alu instid0(VALU_DEP_1)
	v_lshrrev_b64 v[0:1], v0, v[24:25]
; %bb.12055:                            ;   in Loop: Header=BB6_11644 Depth=2
	s_and_not1_saveexec_b32 s10, s10
; %bb.12056:                            ;   in Loop: Header=BB6_11644 Depth=2
	v_mov_b64_e32 v[0:1], v[24:25]
	v_bfe_u32 v4, v24, 23, 1
; %bb.12057:                            ;   in Loop: Header=BB6_11644 Depth=2
	s_or_b32 exec_lo, exec_lo, s10
	s_delay_alu instid0(VALU_DEP_2) | instskip(NEXT) | instid1(VALU_DEP_2)
	v_lshrrev_b64 v[0:1], 21, v[0:1]
	v_cmp_gt_i32_e32 vcc_lo, 32, v4
	v_min_i32_e32 v5, 31, v4
	v_cmp_eq_u32_e64 s10, 0, v4
	s_delay_alu instid0(VALU_DEP_4) | instskip(NEXT) | instid1(VALU_DEP_3)
	v_cndmask_b32_e32 v1, 0, v1, vcc_lo
	v_dual_cndmask_b32 v0, 3, v0 :: v_dual_lshlrev_b32 v5, 2, v5
	s_delay_alu instid0(VALU_DEP_1) | instskip(NEXT) | instid1(VALU_DEP_2)
	v_and_b32_e32 v5, 0xfc, v5
	v_cmp_eq_u64_e32 vcc_lo, 0, v[0:1]
	s_delay_alu instid0(VALU_DEP_2)
	v_and_or_b32 v0, v0, 3, v5
	s_and_b32 s10, s10, vcc_lo
	s_delay_alu instid0(VALU_DEP_1) | instid1(SALU_CYCLE_1)
	v_cndmask_b32_e64 v0, v0, 0, s10
	s_delay_alu instid0(VALU_DEP_1)
	v_or_b32_e32 v10, v0, v6
.LBB6_12058:                            ;   in Loop: Header=BB6_11644 Depth=2
	s_or_b32 exec_lo, exec_lo, s13
                                        ; implicit-def: $vgpr6
.LBB6_12059:                            ;   in Loop: Header=BB6_11644 Depth=2
	s_and_not1_saveexec_b32 s10, s12
; %bb.12060:                            ;   in Loop: Header=BB6_11644 Depth=2
	v_or_b32_e32 v10, 0x7b, v6
; %bb.12061:                            ;   in Loop: Header=BB6_11644 Depth=2
	s_or_b32 exec_lo, exec_lo, s10
                                        ; implicit-def: $vgpr15
                                        ; implicit-def: $vgpr0
.LBB6_12062:                            ;   in Loop: Header=BB6_11644 Depth=2
	s_and_not1_saveexec_b32 s10, s11
	s_cbranch_execz .LBB6_12068
; %bb.12063:                            ;   in Loop: Header=BB6_11644 Depth=2
	s_mov_b32 s11, exec_lo
                                        ; implicit-def: $vgpr10
	v_cmpx_ne_u64_e32 0, v[24:25]
	s_xor_b32 s11, exec_lo, s11
; %bb.12064:                            ;   in Loop: Header=BB6_11644 Depth=2
	v_or_b32_e32 v10, 0x7f, v0
                                        ; implicit-def: $vgpr15
; %bb.12065:                            ;   in Loop: Header=BB6_11644 Depth=2
	s_and_not1_saveexec_b32 s11, s11
; %bb.12066:                            ;   in Loop: Header=BB6_11644 Depth=2
	v_cmp_lt_i32_e32 vcc_lo, -1, v15
	v_cndmask_b32_e32 v10, 0xfc, v41, vcc_lo
; %bb.12067:                            ;   in Loop: Header=BB6_11644 Depth=2
	s_or_b32 exec_lo, exec_lo, s11
.LBB6_12068:                            ;   in Loop: Header=BB6_11644 Depth=2
	s_delay_alu instid0(SALU_CYCLE_1) | instskip(SKIP_4) | instid1(VALU_DEP_4)
	s_or_b32 exec_lo, exec_lo, s10
	v_dual_lshlrev_b32 v5, 24, v16 :: v_dual_bitop2_b32 v0, 3, v16 bitop3:0x40
	v_bfe_i32 v11, v16, 0, 8
	v_and_b32_e32 v4, 0x7c, v16
	v_and_b32_e32 v7, 0xff, v12
	v_clz_i32_u32_e32 v1, v0
	v_bfe_i32 v14, v12, 0, 8
	v_cmp_lt_i16_e32 vcc_lo, -1, v11
	v_cmp_eq_u32_e64 s10, 0x7c, v4
	v_and_or_b32 v4, 0x80000000, v5, s27
	v_min_u32_e32 v6, 32, v1
	v_bfe_u32 v1, v16, 2, 5
	v_cndmask_b32_e32 v24, 0xff800000, v51, vcc_lo
	v_cmp_eq_u32_e32 vcc_lo, 0, v0
	v_cmp_ne_u16_e64 s12, 0, v7
	v_subrev_nc_u32_e32 v15, 29, v6
	v_cmp_eq_u32_e64 s11, 0, v1
	v_dual_cndmask_b32 v5, 0x7f800001, v24 :: v_dual_sub_nc_u32 v6, 30, v6
	s_and_b32 vcc_lo, exec_lo, s44
	v_lshlrev_b64_e32 v[34:35], v15, v[16:17]
	s_mov_b32 s13, -1
                                        ; implicit-def: $vgpr15
	s_delay_alu instid0(VALU_DEP_1)
	v_and_b32_e32 v7, 3, v34
	s_cbranch_vccz .LBB6_12086
; %bb.12069:                            ;   in Loop: Header=BB6_11644 Depth=2
	v_mov_b32_e32 v15, 0
	s_and_saveexec_b32 s13, s12
	s_cbranch_execz .LBB6_12079
; %bb.12070:                            ;   in Loop: Header=BB6_11644 Depth=2
	v_bfrev_b32_e32 v15, 1
	s_mov_b32 s14, exec_lo
	v_cmpx_ne_u16_e32 0xff80, v14
	s_cbranch_execz .LBB6_12078
; %bb.12071:                            ;   in Loop: Header=BB6_11644 Depth=2
	v_and_b32_e32 v15, 0x7c, v12
	v_and_b32_e32 v24, 3, v12
	s_delay_alu instid0(VALU_DEP_2) | instskip(SKIP_1) | instid1(SALU_CYCLE_1)
	v_cmp_ne_u32_e32 vcc_lo, 0x7c, v15
                                        ; implicit-def: $vgpr15
	s_and_saveexec_b32 s45, vcc_lo
	s_xor_b32 s45, exec_lo, s45
	s_cbranch_execz .LBB6_12075
; %bb.12072:                            ;   in Loop: Header=BB6_11644 Depth=2
	v_bfe_u32 v15, v12, 2, 5
	s_mov_b32 s46, exec_lo
	s_delay_alu instid0(VALU_DEP_1)
	v_cmpx_eq_u32_e32 0, v15
; %bb.12073:                            ;   in Loop: Header=BB6_11644 Depth=2
	v_clz_i32_u32_e32 v15, v24
	s_delay_alu instid0(VALU_DEP_1) | instskip(NEXT) | instid1(VALU_DEP_1)
	v_min_u32_e32 v15, 32, v15
	v_subrev_nc_u32_e32 v24, 29, v15
	s_delay_alu instid0(VALU_DEP_1) | instskip(NEXT) | instid1(VALU_DEP_1)
	v_lshlrev_b64_e32 v[34:35], v24, v[12:13]
	v_dual_sub_nc_u32 v15, 30, v15 :: v_dual_bitop2_b32 v24, 3, v34 bitop3:0x40
; %bb.12074:                            ;   in Loop: Header=BB6_11644 Depth=2
	s_or_b32 exec_lo, exec_lo, s46
	v_lshlrev_b32_e32 v33, 24, v12
	s_delay_alu instid0(VALU_DEP_1) | instskip(NEXT) | instid1(VALU_DEP_1)
	v_and_b32_e32 v33, 0x80000000, v33
	v_lshl_add_u32 v15, v15, 23, v33
	s_delay_alu instid0(VALU_DEP_1) | instskip(NEXT) | instid1(VALU_DEP_1)
	v_lshl_or_b32 v15, v24, 21, v15
                                        ; implicit-def: $vgpr24
	v_add_nc_u32_e32 v15, 0x38000000, v15
.LBB6_12075:                            ;   in Loop: Header=BB6_11644 Depth=2
	s_and_not1_saveexec_b32 s45, s45
; %bb.12076:                            ;   in Loop: Header=BB6_11644 Depth=2
	v_cmp_lt_i16_e32 vcc_lo, -1, v14
	v_cndmask_b32_e32 v15, 0xff800000, v51, vcc_lo
	v_cmp_eq_u32_e32 vcc_lo, 0, v24
	s_delay_alu instid0(VALU_DEP_2)
	v_cndmask_b32_e32 v15, 0x7f800001, v15, vcc_lo
; %bb.12077:                            ;   in Loop: Header=BB6_11644 Depth=2
	s_or_b32 exec_lo, exec_lo, s45
.LBB6_12078:                            ;   in Loop: Header=BB6_11644 Depth=2
	s_delay_alu instid0(SALU_CYCLE_1)
	s_or_b32 exec_lo, exec_lo, s14
.LBB6_12079:                            ;   in Loop: Header=BB6_11644 Depth=2
	s_delay_alu instid0(SALU_CYCLE_1) | instskip(SKIP_3) | instid1(VALU_DEP_1)
	s_or_b32 exec_lo, exec_lo, s13
	v_and_b32_e32 v33, 0xff, v11
	s_mov_b32 s13, 0
	s_mov_b32 s14, exec_lo
	v_cmpx_lt_i16_e32 0x7f, v33
	s_xor_b32 s14, exec_lo, s14
	s_cbranch_execz .LBB6_12515
; %bb.12080:                            ;   in Loop: Header=BB6_11644 Depth=2
	s_mov_b32 s13, -1
	s_mov_b32 s45, exec_lo
	v_cmpx_eq_u16_e32 0x80, v33
; %bb.12081:                            ;   in Loop: Header=BB6_11644 Depth=2
	s_xor_b32 s13, exec_lo, -1
; %bb.12082:                            ;   in Loop: Header=BB6_11644 Depth=2
	s_or_b32 exec_lo, exec_lo, s45
	s_delay_alu instid0(SALU_CYCLE_1)
	s_and_b32 s13, s13, exec_lo
                                        ; implicit-def: $vgpr33
	s_or_saveexec_b32 s14, s14
	v_bfrev_b32_e32 v24, 1
	s_xor_b32 exec_lo, exec_lo, s14
	s_cbranch_execnz .LBB6_12516
.LBB6_12083:                            ;   in Loop: Header=BB6_11644 Depth=2
	s_or_b32 exec_lo, exec_lo, s14
	s_and_saveexec_b32 s14, s13
.LBB6_12084:                            ;   in Loop: Header=BB6_11644 Depth=2
	v_dual_cndmask_b32 v24, v1, v6, s11 :: v_dual_cndmask_b32 v33, v0, v7, s11
	s_delay_alu instid0(VALU_DEP_1) | instskip(NEXT) | instid1(VALU_DEP_1)
	v_lshl_add_u32 v24, v24, 23, v4
	v_lshl_or_b32 v24, v33, 21, v24
	s_delay_alu instid0(VALU_DEP_1)
	v_cndmask_b32_e64 v24, v24, v5, s10
.LBB6_12085:                            ;   in Loop: Header=BB6_11644 Depth=2
	s_or_b32 exec_lo, exec_lo, s14
	s_delay_alu instid0(VALU_DEP_1) | instskip(SKIP_1) | instid1(VALU_DEP_1)
	v_dual_max_num_f32 v24, v24, v24 :: v_dual_max_num_f32 v15, v15, v15
	s_mov_b32 s13, 0
	v_max_num_f32_e32 v15, v15, v24
.LBB6_12086:                            ;   in Loop: Header=BB6_11644 Depth=2
	s_and_b32 vcc_lo, exec_lo, s13
	s_cbranch_vccz .LBB6_12104
; %bb.12087:                            ;   in Loop: Header=BB6_11644 Depth=2
	v_mov_b32_e32 v15, 0
	s_and_saveexec_b32 s13, s12
	s_cbranch_execz .LBB6_12097
; %bb.12088:                            ;   in Loop: Header=BB6_11644 Depth=2
	v_bfrev_b32_e32 v15, 1
	s_mov_b32 s12, exec_lo
	v_cmpx_ne_u16_e32 0xff80, v14
	s_cbranch_execz .LBB6_12096
; %bb.12089:                            ;   in Loop: Header=BB6_11644 Depth=2
	v_and_b32_e32 v15, 0x7c, v12
	v_and_b32_e32 v24, 3, v12
	s_delay_alu instid0(VALU_DEP_2) | instskip(SKIP_1) | instid1(SALU_CYCLE_1)
	v_cmp_ne_u32_e32 vcc_lo, 0x7c, v15
                                        ; implicit-def: $vgpr15
	s_and_saveexec_b32 s14, vcc_lo
	s_xor_b32 s14, exec_lo, s14
	s_cbranch_execz .LBB6_12093
; %bb.12090:                            ;   in Loop: Header=BB6_11644 Depth=2
	v_bfe_u32 v14, v12, 2, 5
	s_mov_b32 s45, exec_lo
	s_delay_alu instid0(VALU_DEP_1)
	v_cmpx_eq_u32_e32 0, v14
; %bb.12091:                            ;   in Loop: Header=BB6_11644 Depth=2
	v_clz_i32_u32_e32 v14, v24
	s_delay_alu instid0(VALU_DEP_1) | instskip(NEXT) | instid1(VALU_DEP_1)
	v_min_u32_e32 v14, 32, v14
	v_subrev_nc_u32_e32 v15, 29, v14
	v_sub_nc_u32_e32 v14, 30, v14
	s_delay_alu instid0(VALU_DEP_2) | instskip(NEXT) | instid1(VALU_DEP_1)
	v_lshlrev_b64_e32 v[34:35], v15, v[12:13]
	v_and_b32_e32 v24, 3, v34
; %bb.12092:                            ;   in Loop: Header=BB6_11644 Depth=2
	s_or_b32 exec_lo, exec_lo, s45
	v_lshlrev_b32_e32 v15, 24, v12
	s_delay_alu instid0(VALU_DEP_1) | instskip(NEXT) | instid1(VALU_DEP_1)
	v_and_b32_e32 v15, 0x80000000, v15
	v_lshl_add_u32 v14, v14, 23, v15
	s_delay_alu instid0(VALU_DEP_1) | instskip(NEXT) | instid1(VALU_DEP_1)
	v_lshl_or_b32 v14, v24, 21, v14
                                        ; implicit-def: $vgpr24
	v_add_nc_u32_e32 v15, 0x38000000, v14
                                        ; implicit-def: $vgpr14
.LBB6_12093:                            ;   in Loop: Header=BB6_11644 Depth=2
	s_and_not1_saveexec_b32 s14, s14
; %bb.12094:                            ;   in Loop: Header=BB6_11644 Depth=2
	v_cmp_lt_i16_e32 vcc_lo, -1, v14
	v_cndmask_b32_e32 v14, 0xff800000, v51, vcc_lo
	v_cmp_eq_u32_e32 vcc_lo, 0, v24
	s_delay_alu instid0(VALU_DEP_2)
	v_cndmask_b32_e32 v15, 0x7f800001, v14, vcc_lo
; %bb.12095:                            ;   in Loop: Header=BB6_11644 Depth=2
	s_or_b32 exec_lo, exec_lo, s14
.LBB6_12096:                            ;   in Loop: Header=BB6_11644 Depth=2
	s_delay_alu instid0(SALU_CYCLE_1)
	s_or_b32 exec_lo, exec_lo, s12
.LBB6_12097:                            ;   in Loop: Header=BB6_11644 Depth=2
	s_delay_alu instid0(SALU_CYCLE_1) | instskip(SKIP_3) | instid1(VALU_DEP_1)
	s_or_b32 exec_lo, exec_lo, s13
	v_and_b32_e32 v14, 0xff, v11
	s_mov_b32 s12, 0
	s_mov_b32 s13, exec_lo
	v_cmpx_lt_i16_e32 0x7f, v14
	s_xor_b32 s13, exec_lo, s13
	s_cbranch_execz .LBB6_12517
; %bb.12098:                            ;   in Loop: Header=BB6_11644 Depth=2
	s_mov_b32 s12, -1
	s_mov_b32 s14, exec_lo
	v_cmpx_eq_u16_e32 0x80, v14
; %bb.12099:                            ;   in Loop: Header=BB6_11644 Depth=2
	s_xor_b32 s12, exec_lo, -1
; %bb.12100:                            ;   in Loop: Header=BB6_11644 Depth=2
	s_or_b32 exec_lo, exec_lo, s14
	s_delay_alu instid0(SALU_CYCLE_1)
	s_and_b32 s12, s12, exec_lo
                                        ; implicit-def: $vgpr14
	s_or_saveexec_b32 s13, s13
	v_bfrev_b32_e32 v11, 1
	s_xor_b32 exec_lo, exec_lo, s13
	s_cbranch_execnz .LBB6_12518
.LBB6_12101:                            ;   in Loop: Header=BB6_11644 Depth=2
	s_or_b32 exec_lo, exec_lo, s13
	s_and_saveexec_b32 s13, s12
.LBB6_12102:                            ;   in Loop: Header=BB6_11644 Depth=2
	v_dual_cndmask_b32 v1, v1, v6, s11 :: v_dual_cndmask_b32 v0, v0, v7, s11
	s_delay_alu instid0(VALU_DEP_1) | instskip(NEXT) | instid1(VALU_DEP_1)
	v_lshl_add_u32 v1, v1, 23, v4
	v_lshl_or_b32 v0, v0, 21, v1
	s_delay_alu instid0(VALU_DEP_1)
	v_cndmask_b32_e64 v11, v0, v5, s10
.LBB6_12103:                            ;   in Loop: Header=BB6_11644 Depth=2
	s_or_b32 exec_lo, exec_lo, s13
	s_delay_alu instid0(VALU_DEP_1) | instskip(SKIP_1) | instid1(VALU_DEP_1)
	v_max_num_f32_e32 v0, v11, v11
	v_max_num_f32_e32 v1, v15, v15
	v_min_num_f32_e32 v15, v1, v0
.LBB6_12104:                            ;   in Loop: Header=BB6_11644 Depth=2
	s_delay_alu instid0(VALU_DEP_1) | instskip(SKIP_2) | instid1(VALU_DEP_2)
	v_and_b32_e32 v0, 0x7f800000, v15
	v_mov_b32_e32 v1, v25
	v_and_b32_e32 v24, 0x7fffff, v15
                                        ; implicit-def: $vgpr11
	v_cmp_ne_u64_e32 vcc_lo, 0x7f800000, v[0:1]
	v_lshrrev_b32_e32 v0, 24, v15
	s_and_saveexec_b32 s10, vcc_lo
	s_delay_alu instid0(SALU_CYCLE_1)
	s_xor_b32 s11, exec_lo, s10
	s_cbranch_execz .LBB6_12118
; %bb.12105:                            ;   in Loop: Header=BB6_11644 Depth=2
	v_and_b32_e32 v4, 0x7fffffff, v15
	v_mov_b32_e32 v5, v25
	v_and_b32_e32 v6, 0x80, v0
                                        ; implicit-def: $vgpr11
	s_mov_b32 s10, exec_lo
	s_delay_alu instid0(VALU_DEP_2)
	v_cmpx_gt_u64_e32 0x47600001, v[4:5]
	s_xor_b32 s12, exec_lo, s10
	s_cbranch_execz .LBB6_12115
; %bb.12106:                            ;   in Loop: Header=BB6_11644 Depth=2
	v_mov_b32_e32 v11, 0
	s_mov_b32 s13, exec_lo
	v_cmpx_ne_u32_e32 0, v15
	s_cbranch_execz .LBB6_12114
; %bb.12107:                            ;   in Loop: Header=BB6_11644 Depth=2
	v_bfe_u32 v7, v15, 23, 8
	v_or_b32_e32 v4, 0x800000, v24
	s_delay_alu instid0(VALU_DEP_2) | instskip(SKIP_1) | instid1(VALU_DEP_2)
	v_sub_nc_u32_e32 v0, 0x71, v7
	v_cmp_gt_u32_e32 vcc_lo, 0x72, v7
	v_cndmask_b32_e32 v0, 0, v0, vcc_lo
	v_cmp_eq_u32_e32 vcc_lo, 0, v7
	s_delay_alu instid0(VALU_DEP_2) | instskip(NEXT) | instid1(VALU_DEP_1)
	v_cndmask_b32_e64 v11, v0, 0x70, vcc_lo
	v_dual_cndmask_b32 v24, v4, v24, vcc_lo :: v_dual_add_nc_u32 v0, 21, v11
	v_add_nc_u32_e32 v5, 20, v11
	s_delay_alu instid0(VALU_DEP_2) | instskip(NEXT) | instid1(VALU_DEP_2)
	v_lshlrev_b64_e64 v[0:1], v0, -1
	v_lshlrev_b64_e64 v[4:5], v5, 1
	s_delay_alu instid0(VALU_DEP_2) | instskip(NEXT) | instid1(VALU_DEP_3)
	v_bfi_b32 v15, v1, 0, 0
	v_bfi_b32 v14, v0, 0, v24
	v_lshrrev_b64 v[0:1], v11, v[24:25]
	s_delay_alu instid0(VALU_DEP_2) | instskip(NEXT) | instid1(VALU_DEP_2)
	v_cmp_eq_u64_e64 s10, v[14:15], v[4:5]
	v_mov_b64_e32 v[4:5], v[0:1]
	s_and_saveexec_b32 s14, s10
; %bb.12108:                            ;   in Loop: Header=BB6_11644 Depth=2
	v_bfe_u32 v24, v0, 21, 1
	s_delay_alu instid0(VALU_DEP_1) | instskip(NEXT) | instid1(VALU_DEP_1)
	v_add_nc_u64_e32 v[4:5], v[0:1], v[24:25]
	v_add_nc_u64_e32 v[4:5], -1, v[4:5]
; %bb.12109:                            ;   in Loop: Header=BB6_11644 Depth=2
	s_or_b32 exec_lo, exec_lo, s14
	v_add_nc_u32_e32 v1, 0xffffff81, v7
	v_lshrrev_b32_e32 v5, 23, v0
	s_mov_b32 s10, exec_lo
	s_delay_alu instid0(VALU_DEP_2) | instskip(NEXT) | instid1(VALU_DEP_1)
	v_cndmask_b32_e64 v1, v1, 0xffffff82, vcc_lo
	v_add3_u32 v5, v11, v1, v5
	v_and_b32_e32 v1, 0x1fffff, v4
                                        ; implicit-def: $vgpr4
	s_delay_alu instid0(VALU_DEP_1) | instskip(NEXT) | instid1(VALU_DEP_1)
	v_dual_add_nc_u32 v7, 14, v5 :: v_dual_add_nc_u32 v24, v1, v0
                                        ; implicit-def: $vgpr0_vgpr1
	v_cmpx_ne_u32_e32 0, v7
	s_xor_b32 s10, exec_lo, s10
; %bb.12110:                            ;   in Loop: Header=BB6_11644 Depth=2
	s_delay_alu instid0(VALU_DEP_2) | instskip(SKIP_1) | instid1(VALU_DEP_1)
	v_cmp_lt_u64_e32 vcc_lo, 0xffffff, v[24:25]
	v_add_nc_u32_e32 v0, 15, v5
	v_cndmask_b32_e32 v4, v7, v0, vcc_lo
	v_cndmask_b32_e64 v0, 0, 1, vcc_lo
	s_delay_alu instid0(VALU_DEP_1)
	v_lshrrev_b64 v[0:1], v0, v[24:25]
; %bb.12111:                            ;   in Loop: Header=BB6_11644 Depth=2
	s_and_not1_saveexec_b32 s10, s10
; %bb.12112:                            ;   in Loop: Header=BB6_11644 Depth=2
	v_mov_b64_e32 v[0:1], v[24:25]
	v_bfe_u32 v4, v24, 23, 1
; %bb.12113:                            ;   in Loop: Header=BB6_11644 Depth=2
	s_or_b32 exec_lo, exec_lo, s10
	s_delay_alu instid0(VALU_DEP_2) | instskip(NEXT) | instid1(VALU_DEP_2)
	v_lshrrev_b64 v[0:1], 21, v[0:1]
	v_cmp_gt_i32_e32 vcc_lo, 32, v4
	v_min_i32_e32 v5, 31, v4
	v_cmp_eq_u32_e64 s10, 0, v4
	s_delay_alu instid0(VALU_DEP_4) | instskip(NEXT) | instid1(VALU_DEP_3)
	v_cndmask_b32_e32 v1, 0, v1, vcc_lo
	v_dual_cndmask_b32 v0, 3, v0 :: v_dual_lshlrev_b32 v5, 2, v5
	s_delay_alu instid0(VALU_DEP_1) | instskip(NEXT) | instid1(VALU_DEP_2)
	v_and_b32_e32 v5, 0xfc, v5
	v_cmp_eq_u64_e32 vcc_lo, 0, v[0:1]
	s_delay_alu instid0(VALU_DEP_2)
	v_and_or_b32 v0, v0, 3, v5
	s_and_b32 s10, s10, vcc_lo
	s_delay_alu instid0(VALU_DEP_1) | instid1(SALU_CYCLE_1)
	v_cndmask_b32_e64 v0, v0, 0, s10
	s_delay_alu instid0(VALU_DEP_1)
	v_or_b32_e32 v11, v0, v6
.LBB6_12114:                            ;   in Loop: Header=BB6_11644 Depth=2
	s_or_b32 exec_lo, exec_lo, s13
                                        ; implicit-def: $vgpr6
.LBB6_12115:                            ;   in Loop: Header=BB6_11644 Depth=2
	s_and_not1_saveexec_b32 s10, s12
; %bb.12116:                            ;   in Loop: Header=BB6_11644 Depth=2
	v_or_b32_e32 v11, 0x7b, v6
; %bb.12117:                            ;   in Loop: Header=BB6_11644 Depth=2
	s_or_b32 exec_lo, exec_lo, s10
                                        ; implicit-def: $vgpr15
                                        ; implicit-def: $vgpr0
.LBB6_12118:                            ;   in Loop: Header=BB6_11644 Depth=2
	s_and_not1_saveexec_b32 s10, s11
	s_cbranch_execz .LBB6_12124
; %bb.12119:                            ;   in Loop: Header=BB6_11644 Depth=2
	s_mov_b32 s11, exec_lo
                                        ; implicit-def: $vgpr11
	v_cmpx_ne_u64_e32 0, v[24:25]
	s_xor_b32 s11, exec_lo, s11
; %bb.12120:                            ;   in Loop: Header=BB6_11644 Depth=2
	v_or_b32_e32 v11, 0x7f, v0
                                        ; implicit-def: $vgpr15
; %bb.12121:                            ;   in Loop: Header=BB6_11644 Depth=2
	s_and_not1_saveexec_b32 s11, s11
; %bb.12122:                            ;   in Loop: Header=BB6_11644 Depth=2
	v_cmp_lt_i32_e32 vcc_lo, -1, v15
	v_cndmask_b32_e32 v11, 0xfc, v41, vcc_lo
; %bb.12123:                            ;   in Loop: Header=BB6_11644 Depth=2
	s_or_b32 exec_lo, exec_lo, s11
.LBB6_12124:                            ;   in Loop: Header=BB6_11644 Depth=2
	s_delay_alu instid0(SALU_CYCLE_1) | instskip(SKIP_3) | instid1(VALU_DEP_2)
	s_or_b32 exec_lo, exec_lo, s10
	v_lshrrev_b16 v24, 8, v16
	v_cmp_lt_i16_e32 vcc_lo, -1, v16
	s_mov_b32 s13, -1
	v_and_b32_e32 v1, 0xffff, v24
	s_delay_alu instid0(VALU_DEP_1) | instskip(SKIP_2) | instid1(VALU_DEP_3)
	v_dual_lshlrev_b32 v6, 24, v24 :: v_dual_bitop2_b32 v4, 3, v1 bitop3:0x40
	v_and_b32_e32 v36, 0x7c, v1
	v_bfe_u32 v5, v1, 2, 5
                                        ; implicit-def: $vgpr1
	v_and_or_b32 v6, 0x80000000, v6, s27
	s_delay_alu instid0(VALU_DEP_4) | instskip(NEXT) | instid1(VALU_DEP_4)
	v_clz_i32_u32_e32 v0, v4
	v_cmp_eq_u32_e64 s10, 0x7c, v36
	s_delay_alu instid0(VALU_DEP_4) | instskip(NEXT) | instid1(VALU_DEP_3)
	v_cmp_eq_u32_e64 s11, 0, v5
	v_min_u32_e32 v14, 32, v0
	v_lshrrev_b16 v0, 8, v12
	v_cndmask_b32_e32 v7, 0xff800000, v51, vcc_lo
	v_cmp_eq_u32_e32 vcc_lo, 0, v4
	s_delay_alu instid0(VALU_DEP_4) | instskip(NEXT) | instid1(VALU_DEP_4)
	v_subrev_nc_u32_e32 v15, 29, v14
	v_and_b32_e32 v33, 0xffff, v0
	v_cmp_ne_u16_e64 s12, 0, v0
	v_dual_cndmask_b32 v7, 0x7f800001, v7 :: v_dual_sub_nc_u32 v14, 30, v14
	s_delay_alu instid0(VALU_DEP_4) | instskip(SKIP_1) | instid1(VALU_DEP_1)
	v_lshlrev_b64_e32 v[34:35], v15, v[24:25]
	s_and_b32 vcc_lo, exec_lo, s44
	v_and_b32_e32 v15, 3, v34
	s_cbranch_vccz .LBB6_12142
; %bb.12125:                            ;   in Loop: Header=BB6_11644 Depth=2
	v_mov_b32_e32 v1, 0
	s_and_saveexec_b32 s13, s12
	s_cbranch_execz .LBB6_12135
; %bb.12126:                            ;   in Loop: Header=BB6_11644 Depth=2
	v_bfrev_b32_e32 v1, 1
	s_mov_b32 s14, exec_lo
	v_cmpx_ne_u16_e32 0x80, v0
	s_cbranch_execz .LBB6_12134
; %bb.12127:                            ;   in Loop: Header=BB6_11644 Depth=2
	v_and_b32_e32 v1, 0x7c, v33
	v_and_b32_e32 v34, 3, v33
	s_delay_alu instid0(VALU_DEP_2) | instskip(SKIP_1) | instid1(SALU_CYCLE_1)
	v_cmp_ne_u32_e32 vcc_lo, 0x7c, v1
                                        ; implicit-def: $vgpr1
	s_and_saveexec_b32 s45, vcc_lo
	s_xor_b32 s45, exec_lo, s45
	s_cbranch_execz .LBB6_12131
; %bb.12128:                            ;   in Loop: Header=BB6_11644 Depth=2
	v_bfe_u32 v1, v33, 2, 5
	s_mov_b32 s46, exec_lo
	s_delay_alu instid0(VALU_DEP_1)
	v_cmpx_eq_u32_e32 0, v1
; %bb.12129:                            ;   in Loop: Header=BB6_11644 Depth=2
	v_clz_i32_u32_e32 v1, v34
	s_delay_alu instid0(VALU_DEP_1) | instskip(SKIP_1) | instid1(VALU_DEP_2)
	v_min_u32_e32 v36, 32, v1
	v_mov_b32_e32 v1, v25
	v_subrev_nc_u32_e32 v34, 29, v36
	s_delay_alu instid0(VALU_DEP_1) | instskip(NEXT) | instid1(VALU_DEP_1)
	v_lshlrev_b64_e32 v[34:35], v34, v[0:1]
	v_dual_sub_nc_u32 v1, 30, v36 :: v_dual_bitop2_b32 v34, 3, v34 bitop3:0x40
; %bb.12130:                            ;   in Loop: Header=BB6_11644 Depth=2
	s_or_b32 exec_lo, exec_lo, s46
	v_lshlrev_b32_e32 v35, 16, v12
	s_delay_alu instid0(VALU_DEP_1) | instskip(NEXT) | instid1(VALU_DEP_1)
	v_and_b32_e32 v35, 0x80000000, v35
	v_lshl_add_u32 v1, v1, 23, v35
	s_delay_alu instid0(VALU_DEP_1) | instskip(NEXT) | instid1(VALU_DEP_1)
	v_lshl_or_b32 v1, v34, 21, v1
                                        ; implicit-def: $vgpr34
	v_add_nc_u32_e32 v1, 0x38000000, v1
.LBB6_12131:                            ;   in Loop: Header=BB6_11644 Depth=2
	s_and_not1_saveexec_b32 s45, s45
; %bb.12132:                            ;   in Loop: Header=BB6_11644 Depth=2
	v_cmp_lt_i16_e32 vcc_lo, -1, v12
	v_cndmask_b32_e32 v1, 0xff800000, v51, vcc_lo
	v_cmp_eq_u32_e32 vcc_lo, 0, v34
	s_delay_alu instid0(VALU_DEP_2)
	v_cndmask_b32_e32 v1, 0x7f800001, v1, vcc_lo
; %bb.12133:                            ;   in Loop: Header=BB6_11644 Depth=2
	s_or_b32 exec_lo, exec_lo, s45
.LBB6_12134:                            ;   in Loop: Header=BB6_11644 Depth=2
	s_delay_alu instid0(SALU_CYCLE_1)
	s_or_b32 exec_lo, exec_lo, s14
.LBB6_12135:                            ;   in Loop: Header=BB6_11644 Depth=2
	s_delay_alu instid0(SALU_CYCLE_1)
	s_or_b32 exec_lo, exec_lo, s13
	s_mov_b32 s13, 0
	s_mov_b32 s14, exec_lo
	v_cmpx_lt_i16_e32 0x7f, v24
	s_xor_b32 s14, exec_lo, s14
	s_cbranch_execz .LBB6_12519
; %bb.12136:                            ;   in Loop: Header=BB6_11644 Depth=2
	s_mov_b32 s13, -1
	s_mov_b32 s45, exec_lo
	v_cmpx_eq_u16_e32 0x80, v24
; %bb.12137:                            ;   in Loop: Header=BB6_11644 Depth=2
	s_xor_b32 s13, exec_lo, -1
; %bb.12138:                            ;   in Loop: Header=BB6_11644 Depth=2
	s_or_b32 exec_lo, exec_lo, s45
	s_delay_alu instid0(SALU_CYCLE_1)
	s_and_b32 s13, s13, exec_lo
	s_or_saveexec_b32 s14, s14
	v_bfrev_b32_e32 v34, 1
	s_xor_b32 exec_lo, exec_lo, s14
	s_cbranch_execnz .LBB6_12520
.LBB6_12139:                            ;   in Loop: Header=BB6_11644 Depth=2
	s_or_b32 exec_lo, exec_lo, s14
	s_and_saveexec_b32 s14, s13
.LBB6_12140:                            ;   in Loop: Header=BB6_11644 Depth=2
	v_dual_cndmask_b32 v34, v5, v14, s11 :: v_dual_cndmask_b32 v35, v4, v15, s11
	s_delay_alu instid0(VALU_DEP_1) | instskip(NEXT) | instid1(VALU_DEP_1)
	v_lshl_add_u32 v34, v34, 23, v6
	v_lshl_or_b32 v34, v35, 21, v34
	s_delay_alu instid0(VALU_DEP_1)
	v_cndmask_b32_e64 v34, v34, v7, s10
.LBB6_12141:                            ;   in Loop: Header=BB6_11644 Depth=2
	s_or_b32 exec_lo, exec_lo, s14
	s_delay_alu instid0(VALU_DEP_1) | instskip(SKIP_1) | instid1(VALU_DEP_1)
	v_dual_max_num_f32 v34, v34, v34 :: v_dual_max_num_f32 v1, v1, v1
	s_mov_b32 s13, 0
	v_max_num_f32_e32 v1, v1, v34
.LBB6_12142:                            ;   in Loop: Header=BB6_11644 Depth=2
	s_and_b32 vcc_lo, exec_lo, s13
	s_cbranch_vccz .LBB6_12160
; %bb.12143:                            ;   in Loop: Header=BB6_11644 Depth=2
	v_mov_b32_e32 v1, 0
	s_and_saveexec_b32 s13, s12
	s_cbranch_execz .LBB6_12153
; %bb.12144:                            ;   in Loop: Header=BB6_11644 Depth=2
	v_bfrev_b32_e32 v1, 1
	s_mov_b32 s12, exec_lo
	v_cmpx_ne_u16_e32 0x80, v0
	s_cbranch_execz .LBB6_12152
; %bb.12145:                            ;   in Loop: Header=BB6_11644 Depth=2
	v_and_b32_e32 v1, 0x7c, v33
	v_and_b32_e32 v34, 3, v33
	s_delay_alu instid0(VALU_DEP_2) | instskip(SKIP_1) | instid1(SALU_CYCLE_1)
	v_cmp_ne_u32_e32 vcc_lo, 0x7c, v1
                                        ; implicit-def: $vgpr1
	s_and_saveexec_b32 s14, vcc_lo
	s_xor_b32 s14, exec_lo, s14
	s_cbranch_execz .LBB6_12149
; %bb.12146:                            ;   in Loop: Header=BB6_11644 Depth=2
	v_bfe_u32 v1, v33, 2, 5
	s_mov_b32 s45, exec_lo
	s_delay_alu instid0(VALU_DEP_1)
	v_cmpx_eq_u32_e32 0, v1
; %bb.12147:                            ;   in Loop: Header=BB6_11644 Depth=2
	v_clz_i32_u32_e32 v1, v34
	s_delay_alu instid0(VALU_DEP_1) | instskip(SKIP_1) | instid1(VALU_DEP_2)
	v_min_u32_e32 v33, 32, v1
	v_mov_b32_e32 v1, v25
	v_subrev_nc_u32_e32 v34, 29, v33
	s_delay_alu instid0(VALU_DEP_1) | instskip(NEXT) | instid1(VALU_DEP_1)
	v_lshlrev_b64_e32 v[0:1], v34, v[0:1]
	v_dual_sub_nc_u32 v1, 30, v33 :: v_dual_bitop2_b32 v34, 3, v0 bitop3:0x40
; %bb.12148:                            ;   in Loop: Header=BB6_11644 Depth=2
	s_or_b32 exec_lo, exec_lo, s45
	v_lshlrev_b32_e32 v0, 16, v12
	s_delay_alu instid0(VALU_DEP_1) | instskip(NEXT) | instid1(VALU_DEP_1)
	v_and_b32_e32 v0, 0x80000000, v0
	v_lshl_add_u32 v0, v1, 23, v0
	s_delay_alu instid0(VALU_DEP_1) | instskip(NEXT) | instid1(VALU_DEP_1)
	v_lshl_or_b32 v0, v34, 21, v0
                                        ; implicit-def: $vgpr34
	v_add_nc_u32_e32 v1, 0x38000000, v0
.LBB6_12149:                            ;   in Loop: Header=BB6_11644 Depth=2
	s_and_not1_saveexec_b32 s14, s14
; %bb.12150:                            ;   in Loop: Header=BB6_11644 Depth=2
	v_cmp_lt_i16_e32 vcc_lo, -1, v12
	v_cndmask_b32_e32 v0, 0xff800000, v51, vcc_lo
	v_cmp_eq_u32_e32 vcc_lo, 0, v34
	s_delay_alu instid0(VALU_DEP_2)
	v_cndmask_b32_e32 v1, 0x7f800001, v0, vcc_lo
; %bb.12151:                            ;   in Loop: Header=BB6_11644 Depth=2
	s_or_b32 exec_lo, exec_lo, s14
.LBB6_12152:                            ;   in Loop: Header=BB6_11644 Depth=2
	s_delay_alu instid0(SALU_CYCLE_1)
	s_or_b32 exec_lo, exec_lo, s12
.LBB6_12153:                            ;   in Loop: Header=BB6_11644 Depth=2
	s_delay_alu instid0(SALU_CYCLE_1)
	s_or_b32 exec_lo, exec_lo, s13
	s_mov_b32 s12, 0
	s_mov_b32 s13, exec_lo
	v_cmpx_lt_i16_e32 0x7f, v24
	s_xor_b32 s13, exec_lo, s13
	s_cbranch_execz .LBB6_12521
; %bb.12154:                            ;   in Loop: Header=BB6_11644 Depth=2
	s_mov_b32 s12, -1
	s_mov_b32 s14, exec_lo
	v_cmpx_eq_u16_e32 0x80, v24
; %bb.12155:                            ;   in Loop: Header=BB6_11644 Depth=2
	s_xor_b32 s12, exec_lo, -1
; %bb.12156:                            ;   in Loop: Header=BB6_11644 Depth=2
	s_or_b32 exec_lo, exec_lo, s14
	s_delay_alu instid0(SALU_CYCLE_1)
	s_and_b32 s12, s12, exec_lo
	s_or_saveexec_b32 s13, s13
	v_bfrev_b32_e32 v0, 1
	s_xor_b32 exec_lo, exec_lo, s13
	s_cbranch_execnz .LBB6_12522
.LBB6_12157:                            ;   in Loop: Header=BB6_11644 Depth=2
	s_or_b32 exec_lo, exec_lo, s13
	s_and_saveexec_b32 s13, s12
.LBB6_12158:                            ;   in Loop: Header=BB6_11644 Depth=2
	v_dual_cndmask_b32 v0, v5, v14, s11 :: v_dual_cndmask_b32 v4, v4, v15, s11
	s_delay_alu instid0(VALU_DEP_1) | instskip(NEXT) | instid1(VALU_DEP_1)
	v_lshl_add_u32 v0, v0, 23, v6
	v_lshl_or_b32 v0, v4, 21, v0
	s_delay_alu instid0(VALU_DEP_1)
	v_cndmask_b32_e64 v0, v0, v7, s10
.LBB6_12159:                            ;   in Loop: Header=BB6_11644 Depth=2
	s_or_b32 exec_lo, exec_lo, s13
	s_delay_alu instid0(VALU_DEP_1) | instskip(NEXT) | instid1(VALU_DEP_1)
	v_dual_max_num_f32 v0, v0, v0 :: v_dual_max_num_f32 v1, v1, v1
	v_min_num_f32_e32 v1, v1, v0
.LBB6_12160:                            ;   in Loop: Header=BB6_11644 Depth=2
	s_delay_alu instid0(VALU_DEP_1) | instskip(SKIP_3) | instid1(VALU_DEP_2)
	v_and_b32_e32 v4, 0x7f800000, v1
	v_dual_mov_b32 v5, v25 :: v_dual_lshrrev_b32 v0, 24, v1
	v_and_b32_e32 v24, 0x7fffff, v1
                                        ; implicit-def: $vgpr14
	s_mov_b32 s10, exec_lo
	v_cmpx_ne_u64_e32 0x7f800000, v[4:5]
	s_xor_b32 s11, exec_lo, s10
	s_cbranch_execz .LBB6_12174
; %bb.12161:                            ;   in Loop: Header=BB6_11644 Depth=2
	v_and_b32_e32 v4, 0x7fffffff, v1
	v_mov_b32_e32 v5, v25
	v_and_b32_e32 v6, 0x80, v0
                                        ; implicit-def: $vgpr14
	s_mov_b32 s10, exec_lo
	s_delay_alu instid0(VALU_DEP_2)
	v_cmpx_gt_u64_e32 0x47600001, v[4:5]
	s_xor_b32 s12, exec_lo, s10
	s_cbranch_execz .LBB6_12171
; %bb.12162:                            ;   in Loop: Header=BB6_11644 Depth=2
	v_mov_b32_e32 v14, 0
	s_mov_b32 s13, exec_lo
	v_cmpx_ne_u32_e32 0, v1
	s_cbranch_execz .LBB6_12170
; %bb.12163:                            ;   in Loop: Header=BB6_11644 Depth=2
	v_bfe_u32 v7, v1, 23, 8
	v_or_b32_e32 v4, 0x800000, v24
	s_delay_alu instid0(VALU_DEP_2) | instskip(SKIP_1) | instid1(VALU_DEP_2)
	v_sub_nc_u32_e32 v0, 0x71, v7
	v_cmp_gt_u32_e32 vcc_lo, 0x72, v7
	v_cndmask_b32_e32 v0, 0, v0, vcc_lo
	v_cmp_eq_u32_e32 vcc_lo, 0, v7
	s_delay_alu instid0(VALU_DEP_2) | instskip(NEXT) | instid1(VALU_DEP_1)
	v_cndmask_b32_e64 v14, v0, 0x70, vcc_lo
	v_dual_cndmask_b32 v24, v4, v24, vcc_lo :: v_dual_add_nc_u32 v0, 21, v14
	v_add_nc_u32_e32 v5, 20, v14
	s_delay_alu instid0(VALU_DEP_2) | instskip(NEXT) | instid1(VALU_DEP_2)
	v_lshlrev_b64_e64 v[0:1], v0, -1
	v_lshlrev_b64_e64 v[4:5], v5, 1
	s_delay_alu instid0(VALU_DEP_2) | instskip(NEXT) | instid1(VALU_DEP_3)
	v_bfi_b32 v35, v1, 0, 0
	v_bfi_b32 v34, v0, 0, v24
	v_lshrrev_b64 v[0:1], v14, v[24:25]
	s_delay_alu instid0(VALU_DEP_2) | instskip(NEXT) | instid1(VALU_DEP_2)
	v_cmp_eq_u64_e64 s10, v[34:35], v[4:5]
	v_mov_b64_e32 v[4:5], v[0:1]
	s_and_saveexec_b32 s14, s10
; %bb.12164:                            ;   in Loop: Header=BB6_11644 Depth=2
	v_bfe_u32 v24, v0, 21, 1
	s_delay_alu instid0(VALU_DEP_1) | instskip(NEXT) | instid1(VALU_DEP_1)
	v_add_nc_u64_e32 v[4:5], v[0:1], v[24:25]
	v_add_nc_u64_e32 v[4:5], -1, v[4:5]
; %bb.12165:                            ;   in Loop: Header=BB6_11644 Depth=2
	s_or_b32 exec_lo, exec_lo, s14
	v_add_nc_u32_e32 v1, 0xffffff81, v7
	v_lshrrev_b32_e32 v5, 23, v0
	s_mov_b32 s10, exec_lo
	s_delay_alu instid0(VALU_DEP_2) | instskip(NEXT) | instid1(VALU_DEP_1)
	v_cndmask_b32_e64 v1, v1, 0xffffff82, vcc_lo
	v_add3_u32 v5, v14, v1, v5
	v_and_b32_e32 v1, 0x1fffff, v4
                                        ; implicit-def: $vgpr4
	s_delay_alu instid0(VALU_DEP_1) | instskip(NEXT) | instid1(VALU_DEP_1)
	v_dual_add_nc_u32 v7, 14, v5 :: v_dual_add_nc_u32 v24, v1, v0
                                        ; implicit-def: $vgpr0_vgpr1
	v_cmpx_ne_u32_e32 0, v7
	s_xor_b32 s10, exec_lo, s10
; %bb.12166:                            ;   in Loop: Header=BB6_11644 Depth=2
	s_delay_alu instid0(VALU_DEP_2) | instskip(SKIP_1) | instid1(VALU_DEP_1)
	v_cmp_lt_u64_e32 vcc_lo, 0xffffff, v[24:25]
	v_add_nc_u32_e32 v0, 15, v5
	v_cndmask_b32_e32 v4, v7, v0, vcc_lo
	v_cndmask_b32_e64 v0, 0, 1, vcc_lo
	s_delay_alu instid0(VALU_DEP_1)
	v_lshrrev_b64 v[0:1], v0, v[24:25]
; %bb.12167:                            ;   in Loop: Header=BB6_11644 Depth=2
	s_and_not1_saveexec_b32 s10, s10
; %bb.12168:                            ;   in Loop: Header=BB6_11644 Depth=2
	v_mov_b64_e32 v[0:1], v[24:25]
	v_bfe_u32 v4, v24, 23, 1
; %bb.12169:                            ;   in Loop: Header=BB6_11644 Depth=2
	s_or_b32 exec_lo, exec_lo, s10
	s_delay_alu instid0(VALU_DEP_2) | instskip(NEXT) | instid1(VALU_DEP_2)
	v_lshrrev_b64 v[0:1], 21, v[0:1]
	v_cmp_gt_i32_e32 vcc_lo, 32, v4
	v_min_i32_e32 v5, 31, v4
	v_cmp_eq_u32_e64 s10, 0, v4
	s_delay_alu instid0(VALU_DEP_4) | instskip(NEXT) | instid1(VALU_DEP_3)
	v_cndmask_b32_e32 v1, 0, v1, vcc_lo
	v_dual_cndmask_b32 v0, 3, v0 :: v_dual_lshlrev_b32 v5, 2, v5
	s_delay_alu instid0(VALU_DEP_1) | instskip(NEXT) | instid1(VALU_DEP_2)
	v_and_b32_e32 v5, 0xfc, v5
	v_cmp_eq_u64_e32 vcc_lo, 0, v[0:1]
	s_delay_alu instid0(VALU_DEP_2)
	v_and_or_b32 v0, v0, 3, v5
	s_and_b32 s10, s10, vcc_lo
	s_delay_alu instid0(VALU_DEP_1) | instid1(SALU_CYCLE_1)
	v_cndmask_b32_e64 v0, v0, 0, s10
	s_delay_alu instid0(VALU_DEP_1)
	v_or_b32_e32 v14, v0, v6
.LBB6_12170:                            ;   in Loop: Header=BB6_11644 Depth=2
	s_or_b32 exec_lo, exec_lo, s13
                                        ; implicit-def: $vgpr6
.LBB6_12171:                            ;   in Loop: Header=BB6_11644 Depth=2
	s_and_not1_saveexec_b32 s10, s12
; %bb.12172:                            ;   in Loop: Header=BB6_11644 Depth=2
	v_or_b32_e32 v14, 0x7b, v6
; %bb.12173:                            ;   in Loop: Header=BB6_11644 Depth=2
	s_or_b32 exec_lo, exec_lo, s10
                                        ; implicit-def: $vgpr1
                                        ; implicit-def: $vgpr0
.LBB6_12174:                            ;   in Loop: Header=BB6_11644 Depth=2
	s_and_not1_saveexec_b32 s10, s11
	s_cbranch_execz .LBB6_12180
; %bb.12175:                            ;   in Loop: Header=BB6_11644 Depth=2
	s_mov_b32 s11, exec_lo
                                        ; implicit-def: $vgpr14
	v_cmpx_ne_u64_e32 0, v[24:25]
	s_xor_b32 s11, exec_lo, s11
; %bb.12176:                            ;   in Loop: Header=BB6_11644 Depth=2
	v_or_b32_e32 v14, 0x7f, v0
                                        ; implicit-def: $vgpr1
; %bb.12177:                            ;   in Loop: Header=BB6_11644 Depth=2
	s_and_not1_saveexec_b32 s11, s11
; %bb.12178:                            ;   in Loop: Header=BB6_11644 Depth=2
	v_cmp_lt_i32_e32 vcc_lo, -1, v1
	v_cndmask_b32_e32 v14, 0xfc, v41, vcc_lo
; %bb.12179:                            ;   in Loop: Header=BB6_11644 Depth=2
	s_or_b32 exec_lo, exec_lo, s11
.LBB6_12180:                            ;   in Loop: Header=BB6_11644 Depth=2
	s_delay_alu instid0(SALU_CYCLE_1) | instskip(SKIP_4) | instid1(VALU_DEP_3)
	s_or_b32 exec_lo, exec_lo, s10
	v_bfe_u32 v1, v16, 16, 2
	v_dual_lshrrev_b32 v6, 16, v16 :: v_dual_lshlrev_b32 v15, 8, v16
	v_and_b32_e32 v5, 0x7c0000, v16
	s_mov_b32 s13, -1
	v_clz_i32_u32_e32 v4, v1
	s_delay_alu instid0(VALU_DEP_3) | instskip(NEXT) | instid1(VALU_DEP_3)
	v_bfe_i32 v24, v6, 0, 8
	v_cmp_eq_u32_e64 s10, 0x7c0000, v5
	v_and_or_b32 v5, 0x80000000, v15, s27
	s_delay_alu instid0(VALU_DEP_4) | instskip(SKIP_3) | instid1(VALU_DEP_4)
	v_min_u32_e32 v7, 32, v4
	v_lshrrev_b32_e32 v0, 16, v12
	v_cmp_lt_i16_e32 vcc_lo, -1, v24
	v_bfe_u32 v4, v16, 18, 5
	v_subrev_nc_u32_e32 v34, 29, v7
	s_delay_alu instid0(VALU_DEP_2) | instskip(NEXT) | instid1(VALU_DEP_2)
	v_cmp_eq_u32_e64 s11, 0, v4
	v_lshlrev_b64_e32 v[34:35], v34, v[6:7]
	v_cndmask_b32_e32 v6, 0xff800000, v51, vcc_lo
	v_sub_nc_u32_e32 v7, 30, v7
	v_and_b32_e32 v33, 0xff, v0
	v_cmp_eq_u32_e32 vcc_lo, 0, v1
	v_and_b32_e32 v15, 3, v34
	s_delay_alu instid0(VALU_DEP_3)
	v_cmp_ne_u16_e64 s12, 0, v33
	v_cndmask_b32_e32 v6, 0x7f800001, v6, vcc_lo
	s_and_b32 vcc_lo, exec_lo, s44
                                        ; implicit-def: $vgpr34
	s_cbranch_vccz .LBB6_12198
; %bb.12181:                            ;   in Loop: Header=BB6_11644 Depth=2
	v_mov_b32_e32 v34, 0
	s_and_saveexec_b32 s13, s12
	s_cbranch_execz .LBB6_12191
; %bb.12182:                            ;   in Loop: Header=BB6_11644 Depth=2
	v_bfrev_b32_e32 v34, 1
	s_mov_b32 s14, exec_lo
	v_cmpx_ne_u16_e32 0x80, v33
	s_cbranch_execz .LBB6_12190
; %bb.12183:                            ;   in Loop: Header=BB6_11644 Depth=2
	v_and_b32_e32 v34, 0x7c0000, v12
	v_bfe_u32 v35, v12, 16, 2
	s_delay_alu instid0(VALU_DEP_2) | instskip(SKIP_1) | instid1(SALU_CYCLE_1)
	v_cmp_ne_u32_e32 vcc_lo, 0x7c0000, v34
                                        ; implicit-def: $vgpr34
	s_and_saveexec_b32 s45, vcc_lo
	s_xor_b32 s45, exec_lo, s45
	s_cbranch_execz .LBB6_12187
; %bb.12184:                            ;   in Loop: Header=BB6_11644 Depth=2
	v_bfe_u32 v34, v12, 18, 5
	s_mov_b32 s46, exec_lo
	s_delay_alu instid0(VALU_DEP_1)
	v_cmpx_eq_u32_e32 0, v34
; %bb.12185:                            ;   in Loop: Header=BB6_11644 Depth=2
	v_clz_i32_u32_e32 v34, v35
	s_delay_alu instid0(VALU_DEP_1) | instskip(NEXT) | instid1(VALU_DEP_1)
	v_min_u32_e32 v34, 32, v34
	v_subrev_nc_u32_e32 v35, 29, v34
	s_delay_alu instid0(VALU_DEP_1) | instskip(NEXT) | instid1(VALU_DEP_1)
	v_lshlrev_b64_e32 v[36:37], v35, v[0:1]
	v_dual_sub_nc_u32 v34, 30, v34 :: v_dual_bitop2_b32 v35, 3, v36 bitop3:0x40
; %bb.12186:                            ;   in Loop: Header=BB6_11644 Depth=2
	s_or_b32 exec_lo, exec_lo, s46
	v_lshlrev_b32_e32 v36, 24, v0
	s_delay_alu instid0(VALU_DEP_1) | instskip(NEXT) | instid1(VALU_DEP_1)
	v_and_b32_e32 v36, 0x80000000, v36
	v_lshl_add_u32 v34, v34, 23, v36
	s_delay_alu instid0(VALU_DEP_1) | instskip(NEXT) | instid1(VALU_DEP_1)
	v_lshl_or_b32 v34, v35, 21, v34
                                        ; implicit-def: $vgpr35
	v_add_nc_u32_e32 v34, 0x38000000, v34
.LBB6_12187:                            ;   in Loop: Header=BB6_11644 Depth=2
	s_and_not1_saveexec_b32 s45, s45
; %bb.12188:                            ;   in Loop: Header=BB6_11644 Depth=2
	v_bfe_i32 v34, v0, 0, 8
	s_delay_alu instid0(VALU_DEP_1) | instskip(SKIP_2) | instid1(VALU_DEP_2)
	v_cmp_lt_i16_e32 vcc_lo, -1, v34
	v_cndmask_b32_e32 v34, 0xff800000, v51, vcc_lo
	v_cmp_eq_u32_e32 vcc_lo, 0, v35
	v_cndmask_b32_e32 v34, 0x7f800001, v34, vcc_lo
; %bb.12189:                            ;   in Loop: Header=BB6_11644 Depth=2
	s_or_b32 exec_lo, exec_lo, s45
.LBB6_12190:                            ;   in Loop: Header=BB6_11644 Depth=2
	s_delay_alu instid0(SALU_CYCLE_1)
	s_or_b32 exec_lo, exec_lo, s14
.LBB6_12191:                            ;   in Loop: Header=BB6_11644 Depth=2
	s_delay_alu instid0(SALU_CYCLE_1) | instskip(SKIP_3) | instid1(VALU_DEP_1)
	s_or_b32 exec_lo, exec_lo, s13
	v_and_b32_e32 v36, 0xff, v24
	s_mov_b32 s13, 0
	s_mov_b32 s14, exec_lo
	v_cmpx_lt_i16_e32 0x7f, v36
	s_xor_b32 s14, exec_lo, s14
	s_cbranch_execz .LBB6_12523
; %bb.12192:                            ;   in Loop: Header=BB6_11644 Depth=2
	s_mov_b32 s13, -1
	s_mov_b32 s45, exec_lo
	v_cmpx_eq_u16_e32 0x80, v36
; %bb.12193:                            ;   in Loop: Header=BB6_11644 Depth=2
	s_xor_b32 s13, exec_lo, -1
; %bb.12194:                            ;   in Loop: Header=BB6_11644 Depth=2
	s_or_b32 exec_lo, exec_lo, s45
	s_delay_alu instid0(SALU_CYCLE_1)
	s_and_b32 s13, s13, exec_lo
                                        ; implicit-def: $vgpr36
	s_or_saveexec_b32 s14, s14
	v_bfrev_b32_e32 v35, 1
	s_xor_b32 exec_lo, exec_lo, s14
	s_cbranch_execnz .LBB6_12524
.LBB6_12195:                            ;   in Loop: Header=BB6_11644 Depth=2
	s_or_b32 exec_lo, exec_lo, s14
	s_and_saveexec_b32 s14, s13
.LBB6_12196:                            ;   in Loop: Header=BB6_11644 Depth=2
	v_cndmask_b32_e64 v35, v4, v7, s11
	v_cndmask_b32_e64 v36, v1, v15, s11
	s_delay_alu instid0(VALU_DEP_2) | instskip(NEXT) | instid1(VALU_DEP_1)
	v_lshl_add_u32 v35, v35, 23, v5
	v_lshl_or_b32 v35, v36, 21, v35
	s_delay_alu instid0(VALU_DEP_1)
	v_cndmask_b32_e64 v35, v35, v6, s10
.LBB6_12197:                            ;   in Loop: Header=BB6_11644 Depth=2
	s_or_b32 exec_lo, exec_lo, s14
	s_delay_alu instid0(VALU_DEP_1) | instskip(SKIP_1) | instid1(VALU_DEP_1)
	v_dual_max_num_f32 v35, v35, v35 :: v_dual_max_num_f32 v34, v34, v34
	s_mov_b32 s13, 0
	v_max_num_f32_e32 v34, v34, v35
.LBB6_12198:                            ;   in Loop: Header=BB6_11644 Depth=2
	s_and_b32 vcc_lo, exec_lo, s13
	s_cbranch_vccz .LBB6_12216
; %bb.12199:                            ;   in Loop: Header=BB6_11644 Depth=2
	v_mov_b32_e32 v34, 0
	s_and_saveexec_b32 s13, s12
	s_cbranch_execz .LBB6_12209
; %bb.12200:                            ;   in Loop: Header=BB6_11644 Depth=2
	v_bfrev_b32_e32 v34, 1
	s_mov_b32 s12, exec_lo
	v_cmpx_ne_u16_e32 0x80, v33
	s_cbranch_execz .LBB6_12208
; %bb.12201:                            ;   in Loop: Header=BB6_11644 Depth=2
	v_and_b32_e32 v34, 0x7c0000, v12
	v_bfe_u32 v33, v12, 16, 2
	s_delay_alu instid0(VALU_DEP_2) | instskip(SKIP_1) | instid1(SALU_CYCLE_1)
	v_cmp_ne_u32_e32 vcc_lo, 0x7c0000, v34
                                        ; implicit-def: $vgpr34
	s_and_saveexec_b32 s14, vcc_lo
	s_xor_b32 s14, exec_lo, s14
	s_cbranch_execz .LBB6_12205
; %bb.12202:                            ;   in Loop: Header=BB6_11644 Depth=2
	v_bfe_u32 v34, v12, 18, 5
	s_mov_b32 s45, exec_lo
	s_delay_alu instid0(VALU_DEP_1)
	v_cmpx_eq_u32_e32 0, v34
; %bb.12203:                            ;   in Loop: Header=BB6_11644 Depth=2
	v_clz_i32_u32_e32 v33, v33
	s_delay_alu instid0(VALU_DEP_1) | instskip(NEXT) | instid1(VALU_DEP_1)
	v_min_u32_e32 v33, 32, v33
	v_subrev_nc_u32_e32 v34, 29, v33
	s_delay_alu instid0(VALU_DEP_1) | instskip(NEXT) | instid1(VALU_DEP_1)
	v_lshlrev_b64_e32 v[36:37], v34, v[0:1]
	v_dual_sub_nc_u32 v34, 30, v33 :: v_dual_bitop2_b32 v33, 3, v36 bitop3:0x40
; %bb.12204:                            ;   in Loop: Header=BB6_11644 Depth=2
	s_or_b32 exec_lo, exec_lo, s45
	v_lshlrev_b32_e32 v0, 24, v0
	s_delay_alu instid0(VALU_DEP_1) | instskip(NEXT) | instid1(VALU_DEP_1)
	v_and_b32_e32 v0, 0x80000000, v0
	v_lshl_add_u32 v0, v34, 23, v0
	s_delay_alu instid0(VALU_DEP_1) | instskip(NEXT) | instid1(VALU_DEP_1)
	v_lshl_or_b32 v0, v33, 21, v0
                                        ; implicit-def: $vgpr33
	v_add_nc_u32_e32 v34, 0x38000000, v0
                                        ; implicit-def: $vgpr0
.LBB6_12205:                            ;   in Loop: Header=BB6_11644 Depth=2
	s_and_not1_saveexec_b32 s14, s14
; %bb.12206:                            ;   in Loop: Header=BB6_11644 Depth=2
	v_bfe_i32 v0, v0, 0, 8
	s_delay_alu instid0(VALU_DEP_1) | instskip(SKIP_2) | instid1(VALU_DEP_2)
	v_cmp_lt_i16_e32 vcc_lo, -1, v0
	v_cndmask_b32_e32 v0, 0xff800000, v51, vcc_lo
	v_cmp_eq_u32_e32 vcc_lo, 0, v33
	v_cndmask_b32_e32 v34, 0x7f800001, v0, vcc_lo
; %bb.12207:                            ;   in Loop: Header=BB6_11644 Depth=2
	s_or_b32 exec_lo, exec_lo, s14
.LBB6_12208:                            ;   in Loop: Header=BB6_11644 Depth=2
	s_delay_alu instid0(SALU_CYCLE_1)
	s_or_b32 exec_lo, exec_lo, s12
.LBB6_12209:                            ;   in Loop: Header=BB6_11644 Depth=2
	s_delay_alu instid0(SALU_CYCLE_1) | instskip(SKIP_3) | instid1(VALU_DEP_1)
	s_or_b32 exec_lo, exec_lo, s13
	v_and_b32_e32 v24, 0xff, v24
	s_mov_b32 s12, 0
	s_mov_b32 s13, exec_lo
	v_cmpx_lt_i16_e32 0x7f, v24
	s_xor_b32 s13, exec_lo, s13
	s_cbranch_execz .LBB6_12525
; %bb.12210:                            ;   in Loop: Header=BB6_11644 Depth=2
	s_mov_b32 s12, -1
	s_mov_b32 s14, exec_lo
	v_cmpx_eq_u16_e32 0x80, v24
; %bb.12211:                            ;   in Loop: Header=BB6_11644 Depth=2
	s_xor_b32 s12, exec_lo, -1
; %bb.12212:                            ;   in Loop: Header=BB6_11644 Depth=2
	s_or_b32 exec_lo, exec_lo, s14
	s_delay_alu instid0(SALU_CYCLE_1)
	s_and_b32 s12, s12, exec_lo
                                        ; implicit-def: $vgpr24
	s_or_saveexec_b32 s13, s13
	v_bfrev_b32_e32 v0, 1
	s_xor_b32 exec_lo, exec_lo, s13
	s_cbranch_execnz .LBB6_12526
.LBB6_12213:                            ;   in Loop: Header=BB6_11644 Depth=2
	s_or_b32 exec_lo, exec_lo, s13
	s_and_saveexec_b32 s13, s12
.LBB6_12214:                            ;   in Loop: Header=BB6_11644 Depth=2
	v_cndmask_b32_e64 v0, v4, v7, s11
	v_cndmask_b32_e64 v1, v1, v15, s11
	s_delay_alu instid0(VALU_DEP_2) | instskip(NEXT) | instid1(VALU_DEP_1)
	v_lshl_add_u32 v0, v0, 23, v5
	v_lshl_or_b32 v0, v1, 21, v0
	s_delay_alu instid0(VALU_DEP_1)
	v_cndmask_b32_e64 v0, v0, v6, s10
.LBB6_12215:                            ;   in Loop: Header=BB6_11644 Depth=2
	s_or_b32 exec_lo, exec_lo, s13
	s_delay_alu instid0(VALU_DEP_1) | instskip(NEXT) | instid1(VALU_DEP_1)
	v_dual_max_num_f32 v0, v0, v0 :: v_dual_max_num_f32 v1, v34, v34
	v_min_num_f32_e32 v34, v1, v0
.LBB6_12216:                            ;   in Loop: Header=BB6_11644 Depth=2
	s_delay_alu instid0(VALU_DEP_1) | instskip(SKIP_2) | instid1(VALU_DEP_2)
	v_and_b32_e32 v0, 0x7f800000, v34
	v_mov_b32_e32 v1, v25
	v_and_b32_e32 v24, 0x7fffff, v34
                                        ; implicit-def: $vgpr15
	v_cmp_ne_u64_e32 vcc_lo, 0x7f800000, v[0:1]
	v_lshrrev_b32_e32 v0, 24, v34
	s_and_saveexec_b32 s10, vcc_lo
	s_delay_alu instid0(SALU_CYCLE_1)
	s_xor_b32 s11, exec_lo, s10
	s_cbranch_execz .LBB6_12230
; %bb.12217:                            ;   in Loop: Header=BB6_11644 Depth=2
	v_and_b32_e32 v4, 0x7fffffff, v34
	v_mov_b32_e32 v5, v25
	v_and_b32_e32 v6, 0x80, v0
                                        ; implicit-def: $vgpr15
	s_mov_b32 s10, exec_lo
	s_delay_alu instid0(VALU_DEP_2)
	v_cmpx_gt_u64_e32 0x47600001, v[4:5]
	s_xor_b32 s12, exec_lo, s10
	s_cbranch_execz .LBB6_12227
; %bb.12218:                            ;   in Loop: Header=BB6_11644 Depth=2
	v_mov_b32_e32 v15, 0
	s_mov_b32 s13, exec_lo
	v_cmpx_ne_u32_e32 0, v34
	s_cbranch_execz .LBB6_12226
; %bb.12219:                            ;   in Loop: Header=BB6_11644 Depth=2
	v_bfe_u32 v7, v34, 23, 8
	v_or_b32_e32 v4, 0x800000, v24
	s_delay_alu instid0(VALU_DEP_2) | instskip(SKIP_1) | instid1(VALU_DEP_2)
	v_sub_nc_u32_e32 v0, 0x71, v7
	v_cmp_gt_u32_e32 vcc_lo, 0x72, v7
	v_cndmask_b32_e32 v0, 0, v0, vcc_lo
	v_cmp_eq_u32_e32 vcc_lo, 0, v7
	s_delay_alu instid0(VALU_DEP_2) | instskip(NEXT) | instid1(VALU_DEP_1)
	v_cndmask_b32_e64 v15, v0, 0x70, vcc_lo
	v_dual_cndmask_b32 v24, v4, v24, vcc_lo :: v_dual_add_nc_u32 v0, 21, v15
	v_add_nc_u32_e32 v5, 20, v15
	s_delay_alu instid0(VALU_DEP_2) | instskip(NEXT) | instid1(VALU_DEP_2)
	v_lshlrev_b64_e64 v[0:1], v0, -1
	v_lshlrev_b64_e64 v[4:5], v5, 1
	s_delay_alu instid0(VALU_DEP_2) | instskip(NEXT) | instid1(VALU_DEP_3)
	v_bfi_b32 v35, v1, 0, 0
	v_bfi_b32 v34, v0, 0, v24
	v_lshrrev_b64 v[0:1], v15, v[24:25]
	s_delay_alu instid0(VALU_DEP_2) | instskip(NEXT) | instid1(VALU_DEP_2)
	v_cmp_eq_u64_e64 s10, v[34:35], v[4:5]
	v_mov_b64_e32 v[4:5], v[0:1]
	s_and_saveexec_b32 s14, s10
; %bb.12220:                            ;   in Loop: Header=BB6_11644 Depth=2
	v_bfe_u32 v24, v0, 21, 1
	s_delay_alu instid0(VALU_DEP_1) | instskip(NEXT) | instid1(VALU_DEP_1)
	v_add_nc_u64_e32 v[4:5], v[0:1], v[24:25]
	v_add_nc_u64_e32 v[4:5], -1, v[4:5]
; %bb.12221:                            ;   in Loop: Header=BB6_11644 Depth=2
	s_or_b32 exec_lo, exec_lo, s14
	v_add_nc_u32_e32 v1, 0xffffff81, v7
	v_lshrrev_b32_e32 v5, 23, v0
	s_mov_b32 s10, exec_lo
	s_delay_alu instid0(VALU_DEP_2) | instskip(NEXT) | instid1(VALU_DEP_1)
	v_cndmask_b32_e64 v1, v1, 0xffffff82, vcc_lo
	v_add3_u32 v5, v15, v1, v5
	v_and_b32_e32 v1, 0x1fffff, v4
                                        ; implicit-def: $vgpr4
	s_delay_alu instid0(VALU_DEP_1) | instskip(NEXT) | instid1(VALU_DEP_1)
	v_dual_add_nc_u32 v7, 14, v5 :: v_dual_add_nc_u32 v24, v1, v0
                                        ; implicit-def: $vgpr0_vgpr1
	v_cmpx_ne_u32_e32 0, v7
	s_xor_b32 s10, exec_lo, s10
; %bb.12222:                            ;   in Loop: Header=BB6_11644 Depth=2
	s_delay_alu instid0(VALU_DEP_2) | instskip(SKIP_1) | instid1(VALU_DEP_1)
	v_cmp_lt_u64_e32 vcc_lo, 0xffffff, v[24:25]
	v_add_nc_u32_e32 v0, 15, v5
	v_cndmask_b32_e32 v4, v7, v0, vcc_lo
	v_cndmask_b32_e64 v0, 0, 1, vcc_lo
	s_delay_alu instid0(VALU_DEP_1)
	v_lshrrev_b64 v[0:1], v0, v[24:25]
; %bb.12223:                            ;   in Loop: Header=BB6_11644 Depth=2
	s_and_not1_saveexec_b32 s10, s10
; %bb.12224:                            ;   in Loop: Header=BB6_11644 Depth=2
	v_mov_b64_e32 v[0:1], v[24:25]
	v_bfe_u32 v4, v24, 23, 1
; %bb.12225:                            ;   in Loop: Header=BB6_11644 Depth=2
	s_or_b32 exec_lo, exec_lo, s10
	s_delay_alu instid0(VALU_DEP_2) | instskip(NEXT) | instid1(VALU_DEP_2)
	v_lshrrev_b64 v[0:1], 21, v[0:1]
	v_cmp_gt_i32_e32 vcc_lo, 32, v4
	v_min_i32_e32 v5, 31, v4
	v_cmp_eq_u32_e64 s10, 0, v4
	s_delay_alu instid0(VALU_DEP_4) | instskip(NEXT) | instid1(VALU_DEP_3)
	v_cndmask_b32_e32 v1, 0, v1, vcc_lo
	v_dual_cndmask_b32 v0, 3, v0 :: v_dual_lshlrev_b32 v5, 2, v5
	s_delay_alu instid0(VALU_DEP_1) | instskip(NEXT) | instid1(VALU_DEP_2)
	v_and_b32_e32 v5, 0xfc, v5
	v_cmp_eq_u64_e32 vcc_lo, 0, v[0:1]
	s_delay_alu instid0(VALU_DEP_2)
	v_and_or_b32 v0, v0, 3, v5
	s_and_b32 s10, s10, vcc_lo
	s_delay_alu instid0(VALU_DEP_1) | instid1(SALU_CYCLE_1)
	v_cndmask_b32_e64 v0, v0, 0, s10
	s_delay_alu instid0(VALU_DEP_1)
	v_or_b32_e32 v15, v0, v6
.LBB6_12226:                            ;   in Loop: Header=BB6_11644 Depth=2
	s_or_b32 exec_lo, exec_lo, s13
                                        ; implicit-def: $vgpr6
.LBB6_12227:                            ;   in Loop: Header=BB6_11644 Depth=2
	s_and_not1_saveexec_b32 s10, s12
; %bb.12228:                            ;   in Loop: Header=BB6_11644 Depth=2
	v_or_b32_e32 v15, 0x7b, v6
; %bb.12229:                            ;   in Loop: Header=BB6_11644 Depth=2
	s_or_b32 exec_lo, exec_lo, s10
                                        ; implicit-def: $vgpr34
                                        ; implicit-def: $vgpr0
.LBB6_12230:                            ;   in Loop: Header=BB6_11644 Depth=2
	s_and_not1_saveexec_b32 s10, s11
	s_cbranch_execz .LBB6_12236
; %bb.12231:                            ;   in Loop: Header=BB6_11644 Depth=2
	s_mov_b32 s11, exec_lo
                                        ; implicit-def: $vgpr15
	v_cmpx_ne_u64_e32 0, v[24:25]
	s_xor_b32 s11, exec_lo, s11
; %bb.12232:                            ;   in Loop: Header=BB6_11644 Depth=2
	v_or_b32_e32 v15, 0x7f, v0
                                        ; implicit-def: $vgpr34
; %bb.12233:                            ;   in Loop: Header=BB6_11644 Depth=2
	s_and_not1_saveexec_b32 s11, s11
; %bb.12234:                            ;   in Loop: Header=BB6_11644 Depth=2
	v_cmp_lt_i32_e32 vcc_lo, -1, v34
	v_cndmask_b32_e32 v15, 0xfc, v41, vcc_lo
; %bb.12235:                            ;   in Loop: Header=BB6_11644 Depth=2
	s_or_b32 exec_lo, exec_lo, s11
.LBB6_12236:                            ;   in Loop: Header=BB6_11644 Depth=2
	s_delay_alu instid0(SALU_CYCLE_1)
	s_or_b32 exec_lo, exec_lo, s10
	v_bfe_u32 v1, v16, 24, 2
	v_lshrrev_b32_e32 v6, 24, v16
	v_cmp_lt_i32_e32 vcc_lo, -1, v16
	v_and_b32_e32 v24, 0x7c000000, v16
	v_cmp_gt_u32_e64 s10, 0x1000000, v16
	v_clz_i32_u32_e32 v4, v1
	v_and_or_b32 v5, 0x80000000, v16, s27
	v_cndmask_b32_e32 v36, 0xff800000, v51, vcc_lo
	v_cmp_eq_u32_e32 vcc_lo, 0, v1
	v_cmp_lt_u32_e64 s14, 0xffffff, v12
	v_min_u32_e32 v7, 32, v4
	v_bfe_u32 v4, v16, 26, 5
	v_lshrrev_b32_e32 v0, 24, v12
	v_cmp_eq_u32_e64 s12, 0x7c000000, v24
	s_mov_b32 s45, -1
	v_subrev_nc_u32_e32 v33, 29, v7
	v_cmp_eq_u32_e64 s13, 0, v4
	s_delay_alu instid0(VALU_DEP_2) | instskip(NEXT) | instid1(VALU_DEP_1)
	v_lshlrev_b64_e32 v[34:35], v33, v[6:7]
	v_dual_sub_nc_u32 v7, 30, v7 :: v_dual_bitop2_b32 v24, 3, v34 bitop3:0x40
	v_cmp_eq_u32_e64 s11, 0x80, v6
	v_cndmask_b32_e32 v6, 0x7f800001, v36, vcc_lo
	s_and_b32 vcc_lo, exec_lo, s44
                                        ; implicit-def: $vgpr34
	s_cbranch_vccz .LBB6_12248
; %bb.12237:                            ;   in Loop: Header=BB6_11644 Depth=2
	v_mov_b32_e32 v33, 0
	s_and_saveexec_b32 s45, s14
	s_cbranch_execz .LBB6_12247
; %bb.12238:                            ;   in Loop: Header=BB6_11644 Depth=2
	v_bfrev_b32_e32 v33, 1
	s_mov_b32 s46, exec_lo
	v_cmpx_ne_u32_e32 0x80, v0
	s_cbranch_execz .LBB6_12246
; %bb.12239:                            ;   in Loop: Header=BB6_11644 Depth=2
	v_and_b32_e32 v33, 0x7c000000, v12
	v_bfe_u32 v34, v12, 24, 2
	s_delay_alu instid0(VALU_DEP_2) | instskip(SKIP_1) | instid1(SALU_CYCLE_1)
	v_cmp_ne_u32_e32 vcc_lo, 0x7c000000, v33
                                        ; implicit-def: $vgpr33
	s_and_saveexec_b32 s47, vcc_lo
	s_xor_b32 s47, exec_lo, s47
	s_cbranch_execz .LBB6_12243
; %bb.12240:                            ;   in Loop: Header=BB6_11644 Depth=2
	v_bfe_u32 v33, v12, 26, 5
	s_mov_b32 s56, exec_lo
	s_delay_alu instid0(VALU_DEP_1)
	v_cmpx_eq_u32_e32 0, v33
; %bb.12241:                            ;   in Loop: Header=BB6_11644 Depth=2
	v_clz_i32_u32_e32 v33, v34
	s_delay_alu instid0(VALU_DEP_1) | instskip(NEXT) | instid1(VALU_DEP_1)
	v_min_u32_e32 v33, 32, v33
	v_subrev_nc_u32_e32 v34, 29, v33
	s_delay_alu instid0(VALU_DEP_1) | instskip(NEXT) | instid1(VALU_DEP_1)
	v_lshlrev_b64_e32 v[34:35], v34, v[0:1]
	v_dual_sub_nc_u32 v33, 30, v33 :: v_dual_bitop2_b32 v34, 3, v34 bitop3:0x40
; %bb.12242:                            ;   in Loop: Header=BB6_11644 Depth=2
	s_or_b32 exec_lo, exec_lo, s56
	v_and_b32_e32 v35, 0x80000000, v12
	s_delay_alu instid0(VALU_DEP_1) | instskip(NEXT) | instid1(VALU_DEP_1)
	v_lshl_add_u32 v33, v33, 23, v35
	v_lshl_or_b32 v33, v34, 21, v33
                                        ; implicit-def: $vgpr34
	s_delay_alu instid0(VALU_DEP_1)
	v_add_nc_u32_e32 v33, 0x38000000, v33
.LBB6_12243:                            ;   in Loop: Header=BB6_11644 Depth=2
	s_and_not1_saveexec_b32 s47, s47
; %bb.12244:                            ;   in Loop: Header=BB6_11644 Depth=2
	v_cmp_lt_i32_e32 vcc_lo, -1, v12
	v_cndmask_b32_e32 v33, 0xff800000, v51, vcc_lo
	v_cmp_eq_u32_e32 vcc_lo, 0, v34
	s_delay_alu instid0(VALU_DEP_2)
	v_cndmask_b32_e32 v33, 0x7f800001, v33, vcc_lo
; %bb.12245:                            ;   in Loop: Header=BB6_11644 Depth=2
	s_or_b32 exec_lo, exec_lo, s47
.LBB6_12246:                            ;   in Loop: Header=BB6_11644 Depth=2
	s_delay_alu instid0(SALU_CYCLE_1)
	s_or_b32 exec_lo, exec_lo, s46
.LBB6_12247:                            ;   in Loop: Header=BB6_11644 Depth=2
	s_delay_alu instid0(SALU_CYCLE_1) | instskip(SKIP_3) | instid1(VALU_DEP_2)
	s_or_b32 exec_lo, exec_lo, s45
	v_dual_cndmask_b32 v34, v4, v7, s13 :: v_dual_cndmask_b32 v35, v1, v24, s13
	s_mov_b32 s45, 0
	v_max_num_f32_e32 v33, v33, v33
	v_lshl_add_u32 v34, v34, 23, v5
	s_delay_alu instid0(VALU_DEP_1) | instskip(NEXT) | instid1(VALU_DEP_1)
	v_lshl_or_b32 v34, v35, 21, v34
	v_cndmask_b32_e64 v34, v34, v6, s12
	s_delay_alu instid0(VALU_DEP_1) | instskip(NEXT) | instid1(VALU_DEP_1)
	v_cndmask_b32_e64 v34, v34, 0x80000000, s11
	v_cndmask_b32_e64 v34, v34, 0, s10
	s_delay_alu instid0(VALU_DEP_1) | instskip(NEXT) | instid1(VALU_DEP_1)
	v_max_num_f32_e32 v34, v34, v34
	v_max_num_f32_e32 v34, v33, v34
.LBB6_12248:                            ;   in Loop: Header=BB6_11644 Depth=2
	s_and_b32 vcc_lo, exec_lo, s45
	s_cbranch_vccz .LBB6_12260
; %bb.12249:                            ;   in Loop: Header=BB6_11644 Depth=2
	v_mov_b32_e32 v33, 0
	s_and_saveexec_b32 s45, s14
	s_cbranch_execz .LBB6_12259
; %bb.12250:                            ;   in Loop: Header=BB6_11644 Depth=2
	v_bfrev_b32_e32 v33, 1
	s_mov_b32 s14, exec_lo
	v_cmpx_ne_u32_e32 0x80, v0
	s_cbranch_execz .LBB6_12258
; %bb.12251:                            ;   in Loop: Header=BB6_11644 Depth=2
	v_and_b32_e32 v33, 0x7c000000, v12
	v_bfe_u32 v34, v12, 24, 2
	s_delay_alu instid0(VALU_DEP_2) | instskip(SKIP_1) | instid1(SALU_CYCLE_1)
	v_cmp_ne_u32_e32 vcc_lo, 0x7c000000, v33
                                        ; implicit-def: $vgpr33
	s_and_saveexec_b32 s46, vcc_lo
	s_xor_b32 s46, exec_lo, s46
	s_cbranch_execz .LBB6_12255
; %bb.12252:                            ;   in Loop: Header=BB6_11644 Depth=2
	v_bfe_u32 v33, v12, 26, 5
	s_mov_b32 s47, exec_lo
	s_delay_alu instid0(VALU_DEP_1)
	v_cmpx_eq_u32_e32 0, v33
; %bb.12253:                            ;   in Loop: Header=BB6_11644 Depth=2
	v_clz_i32_u32_e32 v33, v34
	s_delay_alu instid0(VALU_DEP_1) | instskip(NEXT) | instid1(VALU_DEP_1)
	v_min_u32_e32 v33, 32, v33
	v_subrev_nc_u32_e32 v34, 29, v33
	s_delay_alu instid0(VALU_DEP_1) | instskip(NEXT) | instid1(VALU_DEP_1)
	v_lshlrev_b64_e32 v[34:35], v34, v[0:1]
	v_dual_sub_nc_u32 v33, 30, v33 :: v_dual_bitop2_b32 v34, 3, v34 bitop3:0x40
; %bb.12254:                            ;   in Loop: Header=BB6_11644 Depth=2
	s_or_b32 exec_lo, exec_lo, s47
	v_and_b32_e32 v0, 0x80000000, v12
	s_delay_alu instid0(VALU_DEP_1) | instskip(NEXT) | instid1(VALU_DEP_1)
	v_lshl_add_u32 v0, v33, 23, v0
	v_lshl_or_b32 v0, v34, 21, v0
                                        ; implicit-def: $vgpr34
	s_delay_alu instid0(VALU_DEP_1)
	v_add_nc_u32_e32 v33, 0x38000000, v0
.LBB6_12255:                            ;   in Loop: Header=BB6_11644 Depth=2
	s_and_not1_saveexec_b32 s46, s46
; %bb.12256:                            ;   in Loop: Header=BB6_11644 Depth=2
	v_cmp_lt_i32_e32 vcc_lo, -1, v12
	v_cndmask_b32_e32 v0, 0xff800000, v51, vcc_lo
	v_cmp_eq_u32_e32 vcc_lo, 0, v34
	s_delay_alu instid0(VALU_DEP_2)
	v_cndmask_b32_e32 v33, 0x7f800001, v0, vcc_lo
; %bb.12257:                            ;   in Loop: Header=BB6_11644 Depth=2
	s_or_b32 exec_lo, exec_lo, s46
.LBB6_12258:                            ;   in Loop: Header=BB6_11644 Depth=2
	s_delay_alu instid0(SALU_CYCLE_1)
	s_or_b32 exec_lo, exec_lo, s14
.LBB6_12259:                            ;   in Loop: Header=BB6_11644 Depth=2
	s_delay_alu instid0(SALU_CYCLE_1) | instskip(SKIP_1) | instid1(VALU_DEP_1)
	s_or_b32 exec_lo, exec_lo, s45
	v_dual_cndmask_b32 v0, v4, v7, s13 :: v_dual_cndmask_b32 v1, v1, v24, s13
	v_lshl_add_u32 v0, v0, 23, v5
	s_delay_alu instid0(VALU_DEP_1) | instskip(NEXT) | instid1(VALU_DEP_1)
	v_lshl_or_b32 v0, v1, 21, v0
	v_dual_max_num_f32 v1, v33, v33 :: v_dual_cndmask_b32 v0, v0, v6, s12
	s_delay_alu instid0(VALU_DEP_1) | instskip(NEXT) | instid1(VALU_DEP_1)
	v_cndmask_b32_e64 v0, v0, 0x80000000, s11
	v_cndmask_b32_e64 v0, v0, 0, s10
	s_delay_alu instid0(VALU_DEP_1) | instskip(NEXT) | instid1(VALU_DEP_1)
	v_max_num_f32_e32 v0, v0, v0
	v_min_num_f32_e32 v34, v1, v0
.LBB6_12260:                            ;   in Loop: Header=BB6_11644 Depth=2
	s_delay_alu instid0(VALU_DEP_1) | instskip(SKIP_2) | instid1(VALU_DEP_2)
	v_and_b32_e32 v0, 0x7f800000, v34
	v_mov_b32_e32 v1, v25
	v_and_b32_e32 v24, 0x7fffff, v34
                                        ; implicit-def: $vgpr33
	v_cmp_ne_u64_e32 vcc_lo, 0x7f800000, v[0:1]
	v_lshrrev_b32_e32 v0, 24, v34
	s_and_saveexec_b32 s10, vcc_lo
	s_delay_alu instid0(SALU_CYCLE_1)
	s_xor_b32 s11, exec_lo, s10
	s_cbranch_execz .LBB6_12274
; %bb.12261:                            ;   in Loop: Header=BB6_11644 Depth=2
	v_and_b32_e32 v4, 0x7fffffff, v34
	v_mov_b32_e32 v5, v25
	v_and_b32_e32 v6, 0x80, v0
                                        ; implicit-def: $vgpr33
	s_mov_b32 s10, exec_lo
	s_delay_alu instid0(VALU_DEP_2)
	v_cmpx_gt_u64_e32 0x47600001, v[4:5]
	s_xor_b32 s12, exec_lo, s10
	s_cbranch_execz .LBB6_12271
; %bb.12262:                            ;   in Loop: Header=BB6_11644 Depth=2
	v_mov_b32_e32 v33, 0
	s_mov_b32 s13, exec_lo
	v_cmpx_ne_u32_e32 0, v34
	s_cbranch_execz .LBB6_12270
; %bb.12263:                            ;   in Loop: Header=BB6_11644 Depth=2
	v_bfe_u32 v7, v34, 23, 8
	v_or_b32_e32 v4, 0x800000, v24
	s_delay_alu instid0(VALU_DEP_2) | instskip(SKIP_1) | instid1(VALU_DEP_2)
	v_sub_nc_u32_e32 v0, 0x71, v7
	v_cmp_gt_u32_e32 vcc_lo, 0x72, v7
	v_cndmask_b32_e32 v0, 0, v0, vcc_lo
	v_cmp_eq_u32_e32 vcc_lo, 0, v7
	s_delay_alu instid0(VALU_DEP_2) | instskip(NEXT) | instid1(VALU_DEP_1)
	v_cndmask_b32_e64 v33, v0, 0x70, vcc_lo
	v_dual_cndmask_b32 v24, v4, v24, vcc_lo :: v_dual_add_nc_u32 v0, 21, v33
	v_add_nc_u32_e32 v5, 20, v33
	s_delay_alu instid0(VALU_DEP_2) | instskip(NEXT) | instid1(VALU_DEP_2)
	v_lshlrev_b64_e64 v[0:1], v0, -1
	v_lshlrev_b64_e64 v[4:5], v5, 1
	s_delay_alu instid0(VALU_DEP_2) | instskip(NEXT) | instid1(VALU_DEP_3)
	v_bfi_b32 v35, v1, 0, 0
	v_bfi_b32 v34, v0, 0, v24
	v_lshrrev_b64 v[0:1], v33, v[24:25]
	s_delay_alu instid0(VALU_DEP_2) | instskip(NEXT) | instid1(VALU_DEP_2)
	v_cmp_eq_u64_e64 s10, v[34:35], v[4:5]
	v_mov_b64_e32 v[4:5], v[0:1]
	s_and_saveexec_b32 s14, s10
; %bb.12264:                            ;   in Loop: Header=BB6_11644 Depth=2
	v_bfe_u32 v24, v0, 21, 1
	s_delay_alu instid0(VALU_DEP_1) | instskip(NEXT) | instid1(VALU_DEP_1)
	v_add_nc_u64_e32 v[4:5], v[0:1], v[24:25]
	v_add_nc_u64_e32 v[4:5], -1, v[4:5]
; %bb.12265:                            ;   in Loop: Header=BB6_11644 Depth=2
	s_or_b32 exec_lo, exec_lo, s14
	v_add_nc_u32_e32 v1, 0xffffff81, v7
	v_lshrrev_b32_e32 v5, 23, v0
	s_mov_b32 s10, exec_lo
	s_delay_alu instid0(VALU_DEP_2) | instskip(NEXT) | instid1(VALU_DEP_1)
	v_cndmask_b32_e64 v1, v1, 0xffffff82, vcc_lo
	v_add3_u32 v5, v33, v1, v5
	v_and_b32_e32 v1, 0x1fffff, v4
                                        ; implicit-def: $vgpr4
	s_delay_alu instid0(VALU_DEP_1) | instskip(NEXT) | instid1(VALU_DEP_1)
	v_dual_add_nc_u32 v7, 14, v5 :: v_dual_add_nc_u32 v24, v1, v0
                                        ; implicit-def: $vgpr0_vgpr1
	v_cmpx_ne_u32_e32 0, v7
	s_xor_b32 s10, exec_lo, s10
; %bb.12266:                            ;   in Loop: Header=BB6_11644 Depth=2
	s_delay_alu instid0(VALU_DEP_2) | instskip(SKIP_1) | instid1(VALU_DEP_1)
	v_cmp_lt_u64_e32 vcc_lo, 0xffffff, v[24:25]
	v_add_nc_u32_e32 v0, 15, v5
	v_cndmask_b32_e32 v4, v7, v0, vcc_lo
	v_cndmask_b32_e64 v0, 0, 1, vcc_lo
	s_delay_alu instid0(VALU_DEP_1)
	v_lshrrev_b64 v[0:1], v0, v[24:25]
; %bb.12267:                            ;   in Loop: Header=BB6_11644 Depth=2
	s_and_not1_saveexec_b32 s10, s10
; %bb.12268:                            ;   in Loop: Header=BB6_11644 Depth=2
	v_mov_b64_e32 v[0:1], v[24:25]
	v_bfe_u32 v4, v24, 23, 1
; %bb.12269:                            ;   in Loop: Header=BB6_11644 Depth=2
	s_or_b32 exec_lo, exec_lo, s10
	s_delay_alu instid0(VALU_DEP_2) | instskip(NEXT) | instid1(VALU_DEP_2)
	v_lshrrev_b64 v[0:1], 21, v[0:1]
	v_cmp_gt_i32_e32 vcc_lo, 32, v4
	v_min_i32_e32 v5, 31, v4
	v_cmp_eq_u32_e64 s10, 0, v4
	s_delay_alu instid0(VALU_DEP_4) | instskip(NEXT) | instid1(VALU_DEP_3)
	v_cndmask_b32_e32 v1, 0, v1, vcc_lo
	v_dual_cndmask_b32 v0, 3, v0 :: v_dual_lshlrev_b32 v5, 2, v5
	s_delay_alu instid0(VALU_DEP_1) | instskip(NEXT) | instid1(VALU_DEP_2)
	v_and_b32_e32 v5, 0xfc, v5
	v_cmp_eq_u64_e32 vcc_lo, 0, v[0:1]
	s_delay_alu instid0(VALU_DEP_2)
	v_and_or_b32 v0, v0, 3, v5
	s_and_b32 s10, s10, vcc_lo
	s_delay_alu instid0(VALU_DEP_1) | instid1(SALU_CYCLE_1)
	v_cndmask_b32_e64 v0, v0, 0, s10
	s_delay_alu instid0(VALU_DEP_1)
	v_or_b32_e32 v33, v0, v6
.LBB6_12270:                            ;   in Loop: Header=BB6_11644 Depth=2
	s_or_b32 exec_lo, exec_lo, s13
                                        ; implicit-def: $vgpr6
.LBB6_12271:                            ;   in Loop: Header=BB6_11644 Depth=2
	s_and_not1_saveexec_b32 s10, s12
; %bb.12272:                            ;   in Loop: Header=BB6_11644 Depth=2
	v_or_b32_e32 v33, 0x7b, v6
; %bb.12273:                            ;   in Loop: Header=BB6_11644 Depth=2
	s_or_b32 exec_lo, exec_lo, s10
                                        ; implicit-def: $vgpr34
                                        ; implicit-def: $vgpr0
.LBB6_12274:                            ;   in Loop: Header=BB6_11644 Depth=2
	s_and_not1_saveexec_b32 s10, s11
	s_cbranch_execz .LBB6_12280
; %bb.12275:                            ;   in Loop: Header=BB6_11644 Depth=2
	s_mov_b32 s11, exec_lo
                                        ; implicit-def: $vgpr33
	v_cmpx_ne_u64_e32 0, v[24:25]
	s_xor_b32 s11, exec_lo, s11
; %bb.12276:                            ;   in Loop: Header=BB6_11644 Depth=2
	v_or_b32_e32 v33, 0x7f, v0
                                        ; implicit-def: $vgpr34
; %bb.12277:                            ;   in Loop: Header=BB6_11644 Depth=2
	s_and_not1_saveexec_b32 s11, s11
; %bb.12278:                            ;   in Loop: Header=BB6_11644 Depth=2
	v_cmp_lt_i32_e32 vcc_lo, -1, v34
	v_cndmask_b32_e32 v33, 0xfc, v41, vcc_lo
; %bb.12279:                            ;   in Loop: Header=BB6_11644 Depth=2
	s_or_b32 exec_lo, exec_lo, s11
.LBB6_12280:                            ;   in Loop: Header=BB6_11644 Depth=2
	s_delay_alu instid0(SALU_CYCLE_1) | instskip(SKIP_3) | instid1(VALU_DEP_3)
	s_or_b32 exec_lo, exec_lo, s10
	v_dual_mov_b32 v24, v13 :: v_dual_bitop2_b32 v4, 3, v17 bitop3:0x40
	v_bfe_i32 v35, v17, 0, 8
	v_dual_mov_b32 v0, v17 :: v_dual_mov_b32 v1, v25
	v_clz_i32_u32_e32 v5, v4
	v_and_b32_e32 v6, 0x7c, v17
	s_delay_alu instid0(VALU_DEP_4)
	v_cmp_lt_i16_e32 vcc_lo, -1, v35
	v_and_b32_e32 v36, 0xff, v13
	s_mov_b32 s13, -1
	v_min_u32_e32 v7, 32, v5
	v_bfe_u32 v5, v17, 2, 5
	v_lshlrev_b32_e32 v34, 24, v17
	v_cmp_eq_u32_e64 s10, 0x7c, v6
	v_cndmask_b32_e32 v6, 0xff800000, v51, vcc_lo
	v_subrev_nc_u32_e32 v37, 29, v7
	v_cmp_eq_u32_e32 vcc_lo, 0, v4
	v_cmp_eq_u32_e64 s11, 0, v5
	v_cmp_ne_u16_e64 s12, 0, v36
	v_sub_nc_u32_e32 v7, 30, v7
	v_lshlrev_b64_e32 v[38:39], v37, v[0:1]
	v_and_or_b32 v1, 0x80000000, v34, s27
	v_cndmask_b32_e32 v6, 0x7f800001, v6, vcc_lo
	s_and_b32 vcc_lo, exec_lo, s44
                                        ; implicit-def: $vgpr37
	s_delay_alu instid0(VALU_DEP_3)
	v_and_b32_e32 v34, 3, v38
	s_cbranch_vccz .LBB6_12298
; %bb.12281:                            ;   in Loop: Header=BB6_11644 Depth=2
	v_mov_b32_e32 v37, 0
	s_and_saveexec_b32 s13, s12
	s_cbranch_execz .LBB6_12291
; %bb.12282:                            ;   in Loop: Header=BB6_11644 Depth=2
	v_bfrev_b32_e32 v37, 1
	s_mov_b32 s14, exec_lo
	v_cmpx_ne_u16_e32 0x80, v36
	s_cbranch_execz .LBB6_12290
; %bb.12283:                            ;   in Loop: Header=BB6_11644 Depth=2
	v_and_b32_e32 v37, 0x7c, v13
	v_and_b32_e32 v38, 3, v13
	s_delay_alu instid0(VALU_DEP_2) | instskip(SKIP_1) | instid1(SALU_CYCLE_1)
	v_cmp_ne_u32_e32 vcc_lo, 0x7c, v37
                                        ; implicit-def: $vgpr37
	s_and_saveexec_b32 s45, vcc_lo
	s_xor_b32 s45, exec_lo, s45
	s_cbranch_execz .LBB6_12287
; %bb.12284:                            ;   in Loop: Header=BB6_11644 Depth=2
	v_bfe_u32 v37, v13, 2, 5
	s_mov_b32 s46, exec_lo
	s_delay_alu instid0(VALU_DEP_1)
	v_cmpx_eq_u32_e32 0, v37
; %bb.12285:                            ;   in Loop: Header=BB6_11644 Depth=2
	v_clz_i32_u32_e32 v37, v38
	s_delay_alu instid0(VALU_DEP_1) | instskip(NEXT) | instid1(VALU_DEP_1)
	v_min_u32_e32 v37, 32, v37
	v_subrev_nc_u32_e32 v38, 29, v37
	s_delay_alu instid0(VALU_DEP_1) | instskip(NEXT) | instid1(VALU_DEP_1)
	v_lshlrev_b64_e32 v[38:39], v38, v[24:25]
	v_dual_sub_nc_u32 v37, 30, v37 :: v_dual_bitop2_b32 v38, 3, v38 bitop3:0x40
; %bb.12286:                            ;   in Loop: Header=BB6_11644 Depth=2
	s_or_b32 exec_lo, exec_lo, s46
	v_lshlrev_b32_e32 v39, 24, v13
	s_delay_alu instid0(VALU_DEP_1) | instskip(NEXT) | instid1(VALU_DEP_1)
	v_and_b32_e32 v39, 0x80000000, v39
	v_lshl_add_u32 v37, v37, 23, v39
	s_delay_alu instid0(VALU_DEP_1) | instskip(NEXT) | instid1(VALU_DEP_1)
	v_lshl_or_b32 v37, v38, 21, v37
                                        ; implicit-def: $vgpr38
	v_add_nc_u32_e32 v37, 0x38000000, v37
.LBB6_12287:                            ;   in Loop: Header=BB6_11644 Depth=2
	s_and_not1_saveexec_b32 s45, s45
; %bb.12288:                            ;   in Loop: Header=BB6_11644 Depth=2
	v_bfe_i32 v37, v13, 0, 8
	s_delay_alu instid0(VALU_DEP_1) | instskip(SKIP_2) | instid1(VALU_DEP_2)
	v_cmp_lt_i16_e32 vcc_lo, -1, v37
	v_cndmask_b32_e32 v37, 0xff800000, v51, vcc_lo
	v_cmp_eq_u32_e32 vcc_lo, 0, v38
	v_cndmask_b32_e32 v37, 0x7f800001, v37, vcc_lo
; %bb.12289:                            ;   in Loop: Header=BB6_11644 Depth=2
	s_or_b32 exec_lo, exec_lo, s45
.LBB6_12290:                            ;   in Loop: Header=BB6_11644 Depth=2
	s_delay_alu instid0(SALU_CYCLE_1)
	s_or_b32 exec_lo, exec_lo, s14
.LBB6_12291:                            ;   in Loop: Header=BB6_11644 Depth=2
	s_delay_alu instid0(SALU_CYCLE_1) | instskip(SKIP_3) | instid1(VALU_DEP_1)
	s_or_b32 exec_lo, exec_lo, s13
	v_and_b32_e32 v39, 0xff, v35
	s_mov_b32 s13, 0
	s_mov_b32 s14, exec_lo
	v_cmpx_lt_i16_e32 0x7f, v39
	s_xor_b32 s14, exec_lo, s14
	s_cbranch_execz .LBB6_12527
; %bb.12292:                            ;   in Loop: Header=BB6_11644 Depth=2
	s_mov_b32 s13, -1
	s_mov_b32 s45, exec_lo
	v_cmpx_eq_u16_e32 0x80, v39
; %bb.12293:                            ;   in Loop: Header=BB6_11644 Depth=2
	s_xor_b32 s13, exec_lo, -1
; %bb.12294:                            ;   in Loop: Header=BB6_11644 Depth=2
	s_or_b32 exec_lo, exec_lo, s45
	s_delay_alu instid0(SALU_CYCLE_1)
	s_and_b32 s13, s13, exec_lo
                                        ; implicit-def: $vgpr39
	s_or_saveexec_b32 s14, s14
	v_bfrev_b32_e32 v38, 1
	s_xor_b32 exec_lo, exec_lo, s14
	s_cbranch_execnz .LBB6_12528
.LBB6_12295:                            ;   in Loop: Header=BB6_11644 Depth=2
	s_or_b32 exec_lo, exec_lo, s14
	s_and_saveexec_b32 s14, s13
.LBB6_12296:                            ;   in Loop: Header=BB6_11644 Depth=2
	v_dual_cndmask_b32 v38, v5, v7, s11 :: v_dual_cndmask_b32 v39, v4, v34, s11
	s_delay_alu instid0(VALU_DEP_1) | instskip(NEXT) | instid1(VALU_DEP_1)
	v_lshl_add_u32 v38, v38, 23, v1
	v_lshl_or_b32 v38, v39, 21, v38
	s_delay_alu instid0(VALU_DEP_1)
	v_cndmask_b32_e64 v38, v38, v6, s10
.LBB6_12297:                            ;   in Loop: Header=BB6_11644 Depth=2
	s_or_b32 exec_lo, exec_lo, s14
	s_delay_alu instid0(VALU_DEP_1) | instskip(SKIP_1) | instid1(VALU_DEP_1)
	v_dual_max_num_f32 v38, v38, v38 :: v_dual_max_num_f32 v37, v37, v37
	s_mov_b32 s13, 0
	v_max_num_f32_e32 v37, v37, v38
.LBB6_12298:                            ;   in Loop: Header=BB6_11644 Depth=2
	s_and_b32 vcc_lo, exec_lo, s13
	s_cbranch_vccz .LBB6_12316
; %bb.12299:                            ;   in Loop: Header=BB6_11644 Depth=2
	v_mov_b32_e32 v37, 0
	s_and_saveexec_b32 s13, s12
	s_cbranch_execz .LBB6_12309
; %bb.12300:                            ;   in Loop: Header=BB6_11644 Depth=2
	v_bfrev_b32_e32 v37, 1
	s_mov_b32 s12, exec_lo
	v_cmpx_ne_u16_e32 0x80, v36
	s_cbranch_execz .LBB6_12308
; %bb.12301:                            ;   in Loop: Header=BB6_11644 Depth=2
	v_and_b32_e32 v37, 0x7c, v13
	v_and_b32_e32 v36, 3, v13
	s_delay_alu instid0(VALU_DEP_2) | instskip(SKIP_1) | instid1(SALU_CYCLE_1)
	v_cmp_ne_u32_e32 vcc_lo, 0x7c, v37
                                        ; implicit-def: $vgpr37
	s_and_saveexec_b32 s14, vcc_lo
	s_xor_b32 s14, exec_lo, s14
	s_cbranch_execz .LBB6_12305
; %bb.12302:                            ;   in Loop: Header=BB6_11644 Depth=2
	v_bfe_u32 v37, v13, 2, 5
	s_mov_b32 s45, exec_lo
	s_delay_alu instid0(VALU_DEP_1)
	v_cmpx_eq_u32_e32 0, v37
; %bb.12303:                            ;   in Loop: Header=BB6_11644 Depth=2
	v_clz_i32_u32_e32 v36, v36
	s_delay_alu instid0(VALU_DEP_1) | instskip(NEXT) | instid1(VALU_DEP_1)
	v_min_u32_e32 v38, 32, v36
	v_subrev_nc_u32_e32 v36, 29, v38
	s_delay_alu instid0(VALU_DEP_1) | instskip(NEXT) | instid1(VALU_DEP_1)
	v_lshlrev_b64_e32 v[36:37], v36, v[24:25]
	v_dual_sub_nc_u32 v37, 30, v38 :: v_dual_bitop2_b32 v36, 3, v36 bitop3:0x40
; %bb.12304:                            ;   in Loop: Header=BB6_11644 Depth=2
	s_or_b32 exec_lo, exec_lo, s45
	v_lshlrev_b32_e32 v38, 24, v13
	s_delay_alu instid0(VALU_DEP_1) | instskip(NEXT) | instid1(VALU_DEP_1)
	v_and_b32_e32 v38, 0x80000000, v38
	v_lshl_add_u32 v37, v37, 23, v38
	s_delay_alu instid0(VALU_DEP_1) | instskip(NEXT) | instid1(VALU_DEP_1)
	v_lshl_or_b32 v36, v36, 21, v37
	v_add_nc_u32_e32 v37, 0x38000000, v36
                                        ; implicit-def: $vgpr36
.LBB6_12305:                            ;   in Loop: Header=BB6_11644 Depth=2
	s_and_not1_saveexec_b32 s14, s14
; %bb.12306:                            ;   in Loop: Header=BB6_11644 Depth=2
	v_bfe_i32 v37, v13, 0, 8
	s_delay_alu instid0(VALU_DEP_1) | instskip(SKIP_2) | instid1(VALU_DEP_2)
	v_cmp_lt_i16_e32 vcc_lo, -1, v37
	v_cndmask_b32_e32 v37, 0xff800000, v51, vcc_lo
	v_cmp_eq_u32_e32 vcc_lo, 0, v36
	v_cndmask_b32_e32 v37, 0x7f800001, v37, vcc_lo
; %bb.12307:                            ;   in Loop: Header=BB6_11644 Depth=2
	s_or_b32 exec_lo, exec_lo, s14
.LBB6_12308:                            ;   in Loop: Header=BB6_11644 Depth=2
	s_delay_alu instid0(SALU_CYCLE_1)
	s_or_b32 exec_lo, exec_lo, s12
.LBB6_12309:                            ;   in Loop: Header=BB6_11644 Depth=2
	s_delay_alu instid0(SALU_CYCLE_1) | instskip(SKIP_3) | instid1(VALU_DEP_1)
	s_or_b32 exec_lo, exec_lo, s13
	v_and_b32_e32 v36, 0xff, v35
	s_mov_b32 s12, 0
	s_mov_b32 s13, exec_lo
	v_cmpx_lt_i16_e32 0x7f, v36
	s_xor_b32 s13, exec_lo, s13
	s_cbranch_execz .LBB6_12529
; %bb.12310:                            ;   in Loop: Header=BB6_11644 Depth=2
	s_mov_b32 s12, -1
	s_mov_b32 s14, exec_lo
	v_cmpx_eq_u16_e32 0x80, v36
; %bb.12311:                            ;   in Loop: Header=BB6_11644 Depth=2
	s_xor_b32 s12, exec_lo, -1
; %bb.12312:                            ;   in Loop: Header=BB6_11644 Depth=2
	s_or_b32 exec_lo, exec_lo, s14
	s_delay_alu instid0(SALU_CYCLE_1)
	s_and_b32 s12, s12, exec_lo
                                        ; implicit-def: $vgpr36
	s_or_saveexec_b32 s13, s13
	v_bfrev_b32_e32 v35, 1
	s_xor_b32 exec_lo, exec_lo, s13
	s_cbranch_execnz .LBB6_12530
.LBB6_12313:                            ;   in Loop: Header=BB6_11644 Depth=2
	s_or_b32 exec_lo, exec_lo, s13
	s_and_saveexec_b32 s13, s12
.LBB6_12314:                            ;   in Loop: Header=BB6_11644 Depth=2
	v_dual_cndmask_b32 v5, v5, v7, s11 :: v_dual_cndmask_b32 v4, v4, v34, s11
	s_delay_alu instid0(VALU_DEP_1) | instskip(NEXT) | instid1(VALU_DEP_1)
	v_lshl_add_u32 v1, v5, 23, v1
	v_lshl_or_b32 v1, v4, 21, v1
	s_delay_alu instid0(VALU_DEP_1)
	v_cndmask_b32_e64 v35, v1, v6, s10
.LBB6_12315:                            ;   in Loop: Header=BB6_11644 Depth=2
	s_or_b32 exec_lo, exec_lo, s13
	s_delay_alu instid0(VALU_DEP_1) | instskip(NEXT) | instid1(VALU_DEP_1)
	v_dual_max_num_f32 v1, v35, v35 :: v_dual_max_num_f32 v4, v37, v37
	v_min_num_f32_e32 v37, v4, v1
.LBB6_12316:                            ;   in Loop: Header=BB6_11644 Depth=2
	s_delay_alu instid0(VALU_DEP_1) | instskip(SKIP_4) | instid1(VALU_DEP_3)
	v_and_b32_e32 v6, 0x7f800000, v37
	v_dual_mov_b32 v7, v25 :: v_dual_mov_b32 v5, v25
	v_and_b32_e32 v4, 0x7fffff, v37
	v_lshrrev_b32_e32 v1, 24, v37
                                        ; implicit-def: $vgpr34
	s_mov_b32 s10, exec_lo
	v_cmpx_ne_u64_e32 0x7f800000, v[6:7]
	s_xor_b32 s11, exec_lo, s10
	s_cbranch_execz .LBB6_12330
; %bb.12317:                            ;   in Loop: Header=BB6_11644 Depth=2
	v_and_b32_e32 v6, 0x7fffffff, v37
	v_mov_b32_e32 v7, v25
	v_and_b32_e32 v1, 0x80, v1
                                        ; implicit-def: $vgpr34
	s_mov_b32 s10, exec_lo
	s_delay_alu instid0(VALU_DEP_2)
	v_cmpx_gt_u64_e32 0x47600001, v[6:7]
	s_xor_b32 s12, exec_lo, s10
	s_cbranch_execz .LBB6_12327
; %bb.12318:                            ;   in Loop: Header=BB6_11644 Depth=2
	v_mov_b32_e32 v34, 0
	s_mov_b32 s13, exec_lo
	v_cmpx_ne_u32_e32 0, v37
	s_cbranch_execz .LBB6_12326
; %bb.12319:                            ;   in Loop: Header=BB6_11644 Depth=2
	v_bfe_u32 v34, v37, 23, 8
	v_or_b32_e32 v36, 0x800000, v4
	s_delay_alu instid0(VALU_DEP_2) | instskip(SKIP_1) | instid1(VALU_DEP_2)
	v_sub_nc_u32_e32 v6, 0x71, v34
	v_cmp_gt_u32_e32 vcc_lo, 0x72, v34
	v_cndmask_b32_e32 v6, 0, v6, vcc_lo
	v_cmp_eq_u32_e32 vcc_lo, 0, v34
	s_delay_alu instid0(VALU_DEP_2) | instskip(NEXT) | instid1(VALU_DEP_1)
	v_cndmask_b32_e64 v35, v6, 0x70, vcc_lo
	v_dual_cndmask_b32 v4, v36, v4, vcc_lo :: v_dual_add_nc_u32 v6, 21, v35
	v_add_nc_u32_e32 v37, 20, v35
	s_delay_alu instid0(VALU_DEP_2) | instskip(NEXT) | instid1(VALU_DEP_2)
	v_lshlrev_b64_e64 v[6:7], v6, -1
	v_lshlrev_b64_e64 v[36:37], v37, 1
	s_delay_alu instid0(VALU_DEP_2) | instskip(SKIP_1) | instid1(VALU_DEP_4)
	v_bfi_b32 v6, v6, 0, v4
	v_lshrrev_b64 v[4:5], v35, v[4:5]
	v_bfi_b32 v7, v7, 0, 0
	s_delay_alu instid0(VALU_DEP_1) | instskip(NEXT) | instid1(VALU_DEP_3)
	v_cmp_eq_u64_e64 s10, v[6:7], v[36:37]
	v_mov_b64_e32 v[6:7], v[4:5]
	s_and_saveexec_b32 s14, s10
; %bb.12320:                            ;   in Loop: Header=BB6_11644 Depth=2
	v_bfe_u32 v6, v4, 21, 1
	v_mov_b32_e32 v7, v25
	s_delay_alu instid0(VALU_DEP_1) | instskip(NEXT) | instid1(VALU_DEP_1)
	v_add_nc_u64_e32 v[6:7], v[4:5], v[6:7]
	v_add_nc_u64_e32 v[6:7], -1, v[6:7]
; %bb.12321:                            ;   in Loop: Header=BB6_11644 Depth=2
	s_or_b32 exec_lo, exec_lo, s14
	v_add_nc_u32_e32 v5, 0xffffff81, v34
	v_lshrrev_b32_e32 v7, 23, v4
	s_mov_b32 s10, exec_lo
	s_delay_alu instid0(VALU_DEP_2) | instskip(NEXT) | instid1(VALU_DEP_1)
	v_cndmask_b32_e64 v5, v5, 0xffffff82, vcc_lo
	v_add3_u32 v7, v35, v5, v7
	v_and_b32_e32 v5, 0x1fffff, v6
                                        ; implicit-def: $vgpr6
	s_delay_alu instid0(VALU_DEP_1) | instskip(SKIP_1) | instid1(VALU_DEP_2)
	v_dual_add_nc_u32 v34, 14, v7 :: v_dual_add_nc_u32 v4, v5, v4
	v_mov_b32_e32 v5, v25
	v_cmpx_ne_u32_e32 0, v34
	s_xor_b32 s10, exec_lo, s10
; %bb.12322:                            ;   in Loop: Header=BB6_11644 Depth=2
	s_delay_alu instid0(VALU_DEP_2) | instskip(SKIP_2) | instid1(VALU_DEP_2)
	v_cmp_lt_u64_e32 vcc_lo, 0xffffff, v[4:5]
	v_add_nc_u32_e32 v6, 15, v7
	v_cndmask_b32_e64 v7, 0, 1, vcc_lo
	v_cndmask_b32_e32 v6, v34, v6, vcc_lo
	s_delay_alu instid0(VALU_DEP_2)
	v_lshrrev_b64 v[4:5], v7, v[4:5]
; %bb.12323:                            ;   in Loop: Header=BB6_11644 Depth=2
	s_and_not1_saveexec_b32 s10, s10
; %bb.12324:                            ;   in Loop: Header=BB6_11644 Depth=2
	s_delay_alu instid0(VALU_DEP_1)
	v_bfe_u32 v6, v4, 23, 1
; %bb.12325:                            ;   in Loop: Header=BB6_11644 Depth=2
	s_or_b32 exec_lo, exec_lo, s10
	s_delay_alu instid0(VALU_DEP_2) | instskip(NEXT) | instid1(VALU_DEP_2)
	v_lshrrev_b64 v[4:5], 21, v[4:5]
	v_cmp_gt_i32_e32 vcc_lo, 32, v6
	v_min_i32_e32 v7, 31, v6
	v_cmp_eq_u32_e64 s10, 0, v6
	s_delay_alu instid0(VALU_DEP_2) | instskip(SKIP_1) | instid1(VALU_DEP_2)
	v_dual_cndmask_b32 v5, 0, v5, vcc_lo :: v_dual_lshlrev_b32 v7, 2, v7
	v_cndmask_b32_e32 v4, 3, v4, vcc_lo
	v_and_b32_e32 v7, 0xfc, v7
	s_delay_alu instid0(VALU_DEP_2) | instskip(NEXT) | instid1(VALU_DEP_2)
	v_cmp_eq_u64_e32 vcc_lo, 0, v[4:5]
	v_and_or_b32 v4, v4, 3, v7
	s_and_b32 s10, s10, vcc_lo
	s_delay_alu instid0(VALU_DEP_1) | instid1(SALU_CYCLE_1)
	v_cndmask_b32_e64 v4, v4, 0, s10
	s_delay_alu instid0(VALU_DEP_1)
	v_or_b32_e32 v34, v4, v1
.LBB6_12326:                            ;   in Loop: Header=BB6_11644 Depth=2
	s_or_b32 exec_lo, exec_lo, s13
                                        ; implicit-def: $vgpr1
.LBB6_12327:                            ;   in Loop: Header=BB6_11644 Depth=2
	s_and_not1_saveexec_b32 s10, s12
; %bb.12328:                            ;   in Loop: Header=BB6_11644 Depth=2
	v_or_b32_e32 v34, 0x7b, v1
; %bb.12329:                            ;   in Loop: Header=BB6_11644 Depth=2
	s_or_b32 exec_lo, exec_lo, s10
                                        ; implicit-def: $vgpr37
                                        ; implicit-def: $vgpr4_vgpr5
                                        ; implicit-def: $vgpr1
.LBB6_12330:                            ;   in Loop: Header=BB6_11644 Depth=2
	s_and_not1_saveexec_b32 s10, s11
	s_cbranch_execz .LBB6_12336
; %bb.12331:                            ;   in Loop: Header=BB6_11644 Depth=2
	s_mov_b32 s11, exec_lo
                                        ; implicit-def: $vgpr34
	v_cmpx_ne_u64_e32 0, v[4:5]
	s_xor_b32 s11, exec_lo, s11
; %bb.12332:                            ;   in Loop: Header=BB6_11644 Depth=2
	v_or_b32_e32 v34, 0x7f, v1
                                        ; implicit-def: $vgpr37
; %bb.12333:                            ;   in Loop: Header=BB6_11644 Depth=2
	s_and_not1_saveexec_b32 s11, s11
; %bb.12334:                            ;   in Loop: Header=BB6_11644 Depth=2
	v_cmp_lt_i32_e32 vcc_lo, -1, v37
	v_cndmask_b32_e32 v34, 0xfc, v41, vcc_lo
; %bb.12335:                            ;   in Loop: Header=BB6_11644 Depth=2
	s_or_b32 exec_lo, exec_lo, s11
.LBB6_12336:                            ;   in Loop: Header=BB6_11644 Depth=2
	s_delay_alu instid0(SALU_CYCLE_1) | instskip(SKIP_4) | instid1(VALU_DEP_3)
	s_or_b32 exec_lo, exec_lo, s10
	v_lshrrev_b16 v4, 8, v0
	v_cmp_lt_i16_e32 vcc_lo, -1, v0
	v_lshrrev_b16 v6, 8, v24
	s_mov_b32 s13, -1
	v_and_b32_e32 v7, 0xffff, v4
	v_lshlrev_b32_e32 v37, 24, v4
	s_delay_alu instid0(VALU_DEP_3) | instskip(SKIP_1) | instid1(VALU_DEP_4)
	v_and_b32_e32 v38, 0xffff, v6
	v_cmp_ne_u16_e64 s12, 0, v6
	v_and_b32_e32 v1, 3, v7
	v_and_b32_e32 v50, 0x7c, v7
	v_bfe_u32 v0, v7, 2, 5
	s_delay_alu instid0(VALU_DEP_3) | instskip(NEXT) | instid1(VALU_DEP_3)
	v_clz_i32_u32_e32 v5, v1
	v_cmp_eq_u32_e64 s10, 0x7c, v50
	s_delay_alu instid0(VALU_DEP_3) | instskip(NEXT) | instid1(VALU_DEP_3)
	v_cmp_eq_u32_e64 s11, 0, v0
	v_min_u32_e32 v36, 32, v5
	v_mov_b32_e32 v5, v25
	v_cndmask_b32_e32 v35, 0xff800000, v51, vcc_lo
	v_cmp_eq_u32_e32 vcc_lo, 0, v1
	s_delay_alu instid0(VALU_DEP_4) | instskip(NEXT) | instid1(VALU_DEP_3)
	v_subrev_nc_u32_e32 v39, 29, v36
	v_dual_cndmask_b32 v35, 0x7f800001, v35 :: v_dual_sub_nc_u32 v36, 30, v36
	s_and_b32 vcc_lo, exec_lo, s44
	s_delay_alu instid0(VALU_DEP_2) | instskip(SKIP_1) | instid1(VALU_DEP_2)
	v_lshlrev_b64_e32 v[48:49], v39, v[4:5]
	v_and_or_b32 v5, 0x80000000, v37, s27
                                        ; implicit-def: $vgpr39
	v_and_b32_e32 v37, 3, v48
	s_cbranch_vccz .LBB6_12354
; %bb.12337:                            ;   in Loop: Header=BB6_11644 Depth=2
	v_mov_b32_e32 v7, 0
	s_and_saveexec_b32 s13, s12
	s_cbranch_execz .LBB6_12347
; %bb.12338:                            ;   in Loop: Header=BB6_11644 Depth=2
	v_bfrev_b32_e32 v7, 1
	s_mov_b32 s14, exec_lo
	v_cmpx_ne_u16_e32 0x80, v6
	s_cbranch_execz .LBB6_12346
; %bb.12339:                            ;   in Loop: Header=BB6_11644 Depth=2
	v_and_b32_e32 v7, 0x7c, v38
	v_and_b32_e32 v39, 3, v38
	s_delay_alu instid0(VALU_DEP_2) | instskip(SKIP_1) | instid1(SALU_CYCLE_1)
	v_cmp_ne_u32_e32 vcc_lo, 0x7c, v7
                                        ; implicit-def: $vgpr7
	s_and_saveexec_b32 s45, vcc_lo
	s_xor_b32 s45, exec_lo, s45
	s_cbranch_execz .LBB6_12343
; %bb.12340:                            ;   in Loop: Header=BB6_11644 Depth=2
	v_bfe_u32 v7, v38, 2, 5
	s_mov_b32 s46, exec_lo
	s_delay_alu instid0(VALU_DEP_1)
	v_cmpx_eq_u32_e32 0, v7
; %bb.12341:                            ;   in Loop: Header=BB6_11644 Depth=2
	v_clz_i32_u32_e32 v7, v39
	s_delay_alu instid0(VALU_DEP_1) | instskip(SKIP_1) | instid1(VALU_DEP_2)
	v_min_u32_e32 v39, 32, v7
	v_mov_b32_e32 v7, v25
	v_subrev_nc_u32_e32 v48, 29, v39
	s_delay_alu instid0(VALU_DEP_1) | instskip(NEXT) | instid1(VALU_DEP_1)
	v_lshlrev_b64_e32 v[48:49], v48, v[6:7]
	v_dual_sub_nc_u32 v7, 30, v39 :: v_dual_bitop2_b32 v39, 3, v48 bitop3:0x40
; %bb.12342:                            ;   in Loop: Header=BB6_11644 Depth=2
	s_or_b32 exec_lo, exec_lo, s46
	v_lshlrev_b32_e32 v48, 16, v24
	s_delay_alu instid0(VALU_DEP_1) | instskip(NEXT) | instid1(VALU_DEP_1)
	v_and_b32_e32 v48, 0x80000000, v48
	v_lshl_add_u32 v7, v7, 23, v48
	s_delay_alu instid0(VALU_DEP_1) | instskip(NEXT) | instid1(VALU_DEP_1)
	v_lshl_or_b32 v7, v39, 21, v7
                                        ; implicit-def: $vgpr39
	v_add_nc_u32_e32 v7, 0x38000000, v7
.LBB6_12343:                            ;   in Loop: Header=BB6_11644 Depth=2
	s_and_not1_saveexec_b32 s45, s45
; %bb.12344:                            ;   in Loop: Header=BB6_11644 Depth=2
	v_cmp_lt_i16_e32 vcc_lo, -1, v24
	v_cndmask_b32_e32 v7, 0xff800000, v51, vcc_lo
	v_cmp_eq_u32_e32 vcc_lo, 0, v39
	s_delay_alu instid0(VALU_DEP_2)
	v_cndmask_b32_e32 v7, 0x7f800001, v7, vcc_lo
; %bb.12345:                            ;   in Loop: Header=BB6_11644 Depth=2
	s_or_b32 exec_lo, exec_lo, s45
.LBB6_12346:                            ;   in Loop: Header=BB6_11644 Depth=2
	s_delay_alu instid0(SALU_CYCLE_1)
	s_or_b32 exec_lo, exec_lo, s14
.LBB6_12347:                            ;   in Loop: Header=BB6_11644 Depth=2
	s_delay_alu instid0(SALU_CYCLE_1)
	s_or_b32 exec_lo, exec_lo, s13
	s_mov_b32 s13, 0
	s_mov_b32 s14, exec_lo
	v_cmpx_lt_i16_e32 0x7f, v4
	s_xor_b32 s14, exec_lo, s14
	s_cbranch_execz .LBB6_12531
; %bb.12348:                            ;   in Loop: Header=BB6_11644 Depth=2
	s_mov_b32 s13, -1
	s_mov_b32 s45, exec_lo
	v_cmpx_eq_u16_e32 0x80, v4
; %bb.12349:                            ;   in Loop: Header=BB6_11644 Depth=2
	s_xor_b32 s13, exec_lo, -1
; %bb.12350:                            ;   in Loop: Header=BB6_11644 Depth=2
	s_or_b32 exec_lo, exec_lo, s45
	s_delay_alu instid0(SALU_CYCLE_1)
	s_and_b32 s13, s13, exec_lo
	s_or_saveexec_b32 s14, s14
	v_bfrev_b32_e32 v39, 1
	s_xor_b32 exec_lo, exec_lo, s14
	s_cbranch_execnz .LBB6_12532
.LBB6_12351:                            ;   in Loop: Header=BB6_11644 Depth=2
	s_or_b32 exec_lo, exec_lo, s14
	s_and_saveexec_b32 s14, s13
.LBB6_12352:                            ;   in Loop: Header=BB6_11644 Depth=2
	v_dual_cndmask_b32 v39, v0, v36, s11 :: v_dual_cndmask_b32 v48, v1, v37, s11
	s_delay_alu instid0(VALU_DEP_1) | instskip(NEXT) | instid1(VALU_DEP_1)
	v_lshl_add_u32 v39, v39, 23, v5
	v_lshl_or_b32 v39, v48, 21, v39
	s_delay_alu instid0(VALU_DEP_1)
	v_cndmask_b32_e64 v39, v39, v35, s10
.LBB6_12353:                            ;   in Loop: Header=BB6_11644 Depth=2
	s_or_b32 exec_lo, exec_lo, s14
	s_delay_alu instid0(VALU_DEP_1) | instskip(SKIP_2) | instid1(VALU_DEP_1)
	v_max_num_f32_e32 v39, v39, v39
	v_max_num_f32_e32 v7, v7, v7
	s_mov_b32 s13, 0
	v_max_num_f32_e32 v39, v7, v39
.LBB6_12354:                            ;   in Loop: Header=BB6_11644 Depth=2
	s_and_b32 vcc_lo, exec_lo, s13
	s_cbranch_vccz .LBB6_12372
; %bb.12355:                            ;   in Loop: Header=BB6_11644 Depth=2
	v_mov_b32_e32 v7, 0
	s_and_saveexec_b32 s13, s12
	s_cbranch_execz .LBB6_12365
; %bb.12356:                            ;   in Loop: Header=BB6_11644 Depth=2
	v_bfrev_b32_e32 v7, 1
	s_mov_b32 s12, exec_lo
	v_cmpx_ne_u16_e32 0x80, v6
	s_cbranch_execz .LBB6_12364
; %bb.12357:                            ;   in Loop: Header=BB6_11644 Depth=2
	v_and_b32_e32 v7, 0x7c, v38
	v_and_b32_e32 v39, 3, v38
	s_delay_alu instid0(VALU_DEP_2) | instskip(SKIP_1) | instid1(SALU_CYCLE_1)
	v_cmp_ne_u32_e32 vcc_lo, 0x7c, v7
                                        ; implicit-def: $vgpr7
	s_and_saveexec_b32 s14, vcc_lo
	s_xor_b32 s14, exec_lo, s14
	s_cbranch_execz .LBB6_12361
; %bb.12358:                            ;   in Loop: Header=BB6_11644 Depth=2
	v_bfe_u32 v7, v38, 2, 5
	s_mov_b32 s45, exec_lo
	s_delay_alu instid0(VALU_DEP_1)
	v_cmpx_eq_u32_e32 0, v7
	s_cbranch_execz .LBB6_12360
; %bb.12359:                            ;   in Loop: Header=BB6_11644 Depth=2
	v_clz_i32_u32_e32 v7, v39
	s_delay_alu instid0(VALU_DEP_1) | instskip(SKIP_1) | instid1(VALU_DEP_2)
	v_min_u32_e32 v38, 32, v7
	v_mov_b32_e32 v7, v25
	v_subrev_nc_u32_e32 v39, 29, v38
	s_delay_alu instid0(VALU_DEP_1) | instskip(SKIP_1) | instid1(VALU_DEP_2)
	v_lshlrev_b64_e32 v[6:7], v39, v[6:7]
	v_sub_nc_u32_e32 v7, 30, v38
	v_and_b32_e32 v39, 3, v6
.LBB6_12360:                            ;   in Loop: Header=BB6_11644 Depth=2
	s_or_b32 exec_lo, exec_lo, s45
	v_lshlrev_b32_e32 v6, 16, v24
	s_delay_alu instid0(VALU_DEP_1) | instskip(NEXT) | instid1(VALU_DEP_1)
	v_and_b32_e32 v6, 0x80000000, v6
	v_lshl_add_u32 v6, v7, 23, v6
	s_delay_alu instid0(VALU_DEP_1) | instskip(NEXT) | instid1(VALU_DEP_1)
	v_lshl_or_b32 v6, v39, 21, v6
                                        ; implicit-def: $vgpr39
	v_add_nc_u32_e32 v7, 0x38000000, v6
.LBB6_12361:                            ;   in Loop: Header=BB6_11644 Depth=2
	s_and_not1_saveexec_b32 s14, s14
; %bb.12362:                            ;   in Loop: Header=BB6_11644 Depth=2
	v_cmp_lt_i16_e32 vcc_lo, -1, v24
	v_cndmask_b32_e32 v6, 0xff800000, v51, vcc_lo
	v_cmp_eq_u32_e32 vcc_lo, 0, v39
	s_delay_alu instid0(VALU_DEP_2)
	v_cndmask_b32_e32 v7, 0x7f800001, v6, vcc_lo
; %bb.12363:                            ;   in Loop: Header=BB6_11644 Depth=2
	s_or_b32 exec_lo, exec_lo, s14
.LBB6_12364:                            ;   in Loop: Header=BB6_11644 Depth=2
	s_delay_alu instid0(SALU_CYCLE_1)
	s_or_b32 exec_lo, exec_lo, s12
.LBB6_12365:                            ;   in Loop: Header=BB6_11644 Depth=2
	s_delay_alu instid0(SALU_CYCLE_1)
	s_or_b32 exec_lo, exec_lo, s13
	s_mov_b32 s12, 0
	s_mov_b32 s13, exec_lo
	v_cmpx_lt_i16_e32 0x7f, v4
	s_xor_b32 s13, exec_lo, s13
	s_cbranch_execz .LBB6_12533
; %bb.12366:                            ;   in Loop: Header=BB6_11644 Depth=2
	s_mov_b32 s12, -1
	s_mov_b32 s14, exec_lo
	v_cmpx_eq_u16_e32 0x80, v4
; %bb.12367:                            ;   in Loop: Header=BB6_11644 Depth=2
	s_xor_b32 s12, exec_lo, -1
; %bb.12368:                            ;   in Loop: Header=BB6_11644 Depth=2
	s_or_b32 exec_lo, exec_lo, s14
	s_delay_alu instid0(SALU_CYCLE_1)
	s_and_b32 s12, s12, exec_lo
                                        ; implicit-def: $vgpr4
	s_or_saveexec_b32 s13, s13
	v_bfrev_b32_e32 v6, 1
	s_xor_b32 exec_lo, exec_lo, s13
	s_cbranch_execnz .LBB6_12534
.LBB6_12369:                            ;   in Loop: Header=BB6_11644 Depth=2
	s_or_b32 exec_lo, exec_lo, s13
	s_and_saveexec_b32 s13, s12
.LBB6_12370:                            ;   in Loop: Header=BB6_11644 Depth=2
	v_dual_cndmask_b32 v0, v0, v36, s11 :: v_dual_cndmask_b32 v1, v1, v37, s11
	s_delay_alu instid0(VALU_DEP_1) | instskip(NEXT) | instid1(VALU_DEP_1)
	v_lshl_add_u32 v0, v0, 23, v5
	v_lshl_or_b32 v0, v1, 21, v0
	s_delay_alu instid0(VALU_DEP_1)
	v_cndmask_b32_e64 v6, v0, v35, s10
.LBB6_12371:                            ;   in Loop: Header=BB6_11644 Depth=2
	s_or_b32 exec_lo, exec_lo, s13
	s_delay_alu instid0(VALU_DEP_1) | instskip(NEXT) | instid1(VALU_DEP_1)
	v_dual_max_num_f32 v0, v6, v6 :: v_dual_max_num_f32 v1, v7, v7
	v_min_num_f32_e32 v39, v1, v0
.LBB6_12372:                            ;   in Loop: Header=BB6_11644 Depth=2
	s_delay_alu instid0(VALU_DEP_1) | instskip(SKIP_2) | instid1(VALU_DEP_2)
	v_and_b32_e32 v0, 0x7f800000, v39
	v_mov_b32_e32 v1, v25
	v_and_b32_e32 v24, 0x7fffff, v39
                                        ; implicit-def: $vgpr6
	v_cmp_ne_u64_e32 vcc_lo, 0x7f800000, v[0:1]
	v_lshrrev_b32_e32 v0, 24, v39
	s_and_saveexec_b32 s10, vcc_lo
	s_delay_alu instid0(SALU_CYCLE_1)
	s_xor_b32 s11, exec_lo, s10
	s_cbranch_execz .LBB6_12386
; %bb.12373:                            ;   in Loop: Header=BB6_11644 Depth=2
	v_and_b32_e32 v4, 0x7fffffff, v39
	v_mov_b32_e32 v5, v25
	v_and_b32_e32 v7, 0x80, v0
                                        ; implicit-def: $vgpr6
	s_mov_b32 s10, exec_lo
	s_delay_alu instid0(VALU_DEP_2)
	v_cmpx_gt_u64_e32 0x47600001, v[4:5]
	s_xor_b32 s12, exec_lo, s10
	s_cbranch_execz .LBB6_12383
; %bb.12374:                            ;   in Loop: Header=BB6_11644 Depth=2
	v_mov_b32_e32 v6, 0
	s_mov_b32 s13, exec_lo
	v_cmpx_ne_u32_e32 0, v39
	s_cbranch_execz .LBB6_12382
; %bb.12375:                            ;   in Loop: Header=BB6_11644 Depth=2
	v_bfe_u32 v6, v39, 23, 8
	v_or_b32_e32 v4, 0x800000, v24
	s_delay_alu instid0(VALU_DEP_2) | instskip(SKIP_1) | instid1(VALU_DEP_2)
	v_sub_nc_u32_e32 v0, 0x71, v6
	v_cmp_gt_u32_e32 vcc_lo, 0x72, v6
	v_cndmask_b32_e32 v0, 0, v0, vcc_lo
	v_cmp_eq_u32_e32 vcc_lo, 0, v6
	s_delay_alu instid0(VALU_DEP_2) | instskip(NEXT) | instid1(VALU_DEP_1)
	v_cndmask_b32_e64 v35, v0, 0x70, vcc_lo
	v_dual_cndmask_b32 v24, v4, v24, vcc_lo :: v_dual_add_nc_u32 v0, 21, v35
	v_add_nc_u32_e32 v5, 20, v35
	s_delay_alu instid0(VALU_DEP_2) | instskip(NEXT) | instid1(VALU_DEP_2)
	v_lshlrev_b64_e64 v[0:1], v0, -1
	v_lshlrev_b64_e64 v[4:5], v5, 1
	s_delay_alu instid0(VALU_DEP_2) | instskip(NEXT) | instid1(VALU_DEP_3)
	v_bfi_b32 v37, v1, 0, 0
	v_bfi_b32 v36, v0, 0, v24
	v_lshrrev_b64 v[0:1], v35, v[24:25]
	s_delay_alu instid0(VALU_DEP_2) | instskip(NEXT) | instid1(VALU_DEP_2)
	v_cmp_eq_u64_e64 s10, v[36:37], v[4:5]
	v_mov_b64_e32 v[4:5], v[0:1]
	s_and_saveexec_b32 s14, s10
; %bb.12376:                            ;   in Loop: Header=BB6_11644 Depth=2
	v_bfe_u32 v24, v0, 21, 1
	s_delay_alu instid0(VALU_DEP_1) | instskip(NEXT) | instid1(VALU_DEP_1)
	v_add_nc_u64_e32 v[4:5], v[0:1], v[24:25]
	v_add_nc_u64_e32 v[4:5], -1, v[4:5]
; %bb.12377:                            ;   in Loop: Header=BB6_11644 Depth=2
	s_or_b32 exec_lo, exec_lo, s14
	v_add_nc_u32_e32 v1, 0xffffff81, v6
	v_lshrrev_b32_e32 v5, 23, v0
	s_mov_b32 s10, exec_lo
	s_delay_alu instid0(VALU_DEP_2) | instskip(NEXT) | instid1(VALU_DEP_1)
	v_cndmask_b32_e64 v1, v1, 0xffffff82, vcc_lo
	v_add3_u32 v5, v35, v1, v5
	v_and_b32_e32 v1, 0x1fffff, v4
                                        ; implicit-def: $vgpr4
	s_delay_alu instid0(VALU_DEP_1) | instskip(NEXT) | instid1(VALU_DEP_1)
	v_dual_add_nc_u32 v6, 14, v5 :: v_dual_add_nc_u32 v24, v1, v0
                                        ; implicit-def: $vgpr0_vgpr1
	v_cmpx_ne_u32_e32 0, v6
	s_xor_b32 s10, exec_lo, s10
; %bb.12378:                            ;   in Loop: Header=BB6_11644 Depth=2
	s_delay_alu instid0(VALU_DEP_2) | instskip(SKIP_1) | instid1(VALU_DEP_1)
	v_cmp_lt_u64_e32 vcc_lo, 0xffffff, v[24:25]
	v_add_nc_u32_e32 v0, 15, v5
	v_cndmask_b32_e32 v4, v6, v0, vcc_lo
	v_cndmask_b32_e64 v0, 0, 1, vcc_lo
	s_delay_alu instid0(VALU_DEP_1)
	v_lshrrev_b64 v[0:1], v0, v[24:25]
; %bb.12379:                            ;   in Loop: Header=BB6_11644 Depth=2
	s_and_not1_saveexec_b32 s10, s10
; %bb.12380:                            ;   in Loop: Header=BB6_11644 Depth=2
	v_mov_b64_e32 v[0:1], v[24:25]
	v_bfe_u32 v4, v24, 23, 1
; %bb.12381:                            ;   in Loop: Header=BB6_11644 Depth=2
	s_or_b32 exec_lo, exec_lo, s10
	s_delay_alu instid0(VALU_DEP_2) | instskip(NEXT) | instid1(VALU_DEP_2)
	v_lshrrev_b64 v[0:1], 21, v[0:1]
	v_cmp_gt_i32_e32 vcc_lo, 32, v4
	v_min_i32_e32 v5, 31, v4
	v_cmp_eq_u32_e64 s10, 0, v4
	s_delay_alu instid0(VALU_DEP_4) | instskip(NEXT) | instid1(VALU_DEP_3)
	v_cndmask_b32_e32 v1, 0, v1, vcc_lo
	v_dual_cndmask_b32 v0, 3, v0 :: v_dual_lshlrev_b32 v5, 2, v5
	s_delay_alu instid0(VALU_DEP_1) | instskip(NEXT) | instid1(VALU_DEP_2)
	v_and_b32_e32 v5, 0xfc, v5
	v_cmp_eq_u64_e32 vcc_lo, 0, v[0:1]
	s_delay_alu instid0(VALU_DEP_2)
	v_and_or_b32 v0, v0, 3, v5
	s_and_b32 s10, s10, vcc_lo
	s_delay_alu instid0(VALU_DEP_1) | instid1(SALU_CYCLE_1)
	v_cndmask_b32_e64 v0, v0, 0, s10
	s_delay_alu instid0(VALU_DEP_1)
	v_or_b32_e32 v6, v0, v7
.LBB6_12382:                            ;   in Loop: Header=BB6_11644 Depth=2
	s_or_b32 exec_lo, exec_lo, s13
                                        ; implicit-def: $vgpr7
.LBB6_12383:                            ;   in Loop: Header=BB6_11644 Depth=2
	s_and_not1_saveexec_b32 s10, s12
; %bb.12384:                            ;   in Loop: Header=BB6_11644 Depth=2
	v_or_b32_e32 v6, 0x7b, v7
; %bb.12385:                            ;   in Loop: Header=BB6_11644 Depth=2
	s_or_b32 exec_lo, exec_lo, s10
                                        ; implicit-def: $vgpr39
                                        ; implicit-def: $vgpr0
.LBB6_12386:                            ;   in Loop: Header=BB6_11644 Depth=2
	s_and_not1_saveexec_b32 s10, s11
	s_cbranch_execz .LBB6_12392
; %bb.12387:                            ;   in Loop: Header=BB6_11644 Depth=2
	s_mov_b32 s11, exec_lo
                                        ; implicit-def: $vgpr6
	v_cmpx_ne_u64_e32 0, v[24:25]
	s_xor_b32 s11, exec_lo, s11
; %bb.12388:                            ;   in Loop: Header=BB6_11644 Depth=2
	v_or_b32_e32 v6, 0x7f, v0
                                        ; implicit-def: $vgpr39
; %bb.12389:                            ;   in Loop: Header=BB6_11644 Depth=2
	s_and_not1_saveexec_b32 s11, s11
; %bb.12390:                            ;   in Loop: Header=BB6_11644 Depth=2
	v_cmp_lt_i32_e32 vcc_lo, -1, v39
	v_cndmask_b32_e32 v6, 0xfc, v41, vcc_lo
; %bb.12391:                            ;   in Loop: Header=BB6_11644 Depth=2
	s_or_b32 exec_lo, exec_lo, s11
.LBB6_12392:                            ;   in Loop: Header=BB6_11644 Depth=2
	s_delay_alu instid0(SALU_CYCLE_1) | instskip(SKIP_4) | instid1(VALU_DEP_3)
	s_or_b32 exec_lo, exec_lo, s10
	v_bfe_u32 v1, v17, 16, 2
	v_dual_lshrrev_b32 v24, 16, v17 :: v_dual_lshlrev_b32 v35, 8, v17
	v_and_b32_e32 v5, 0x7c0000, v17
	s_mov_b32 s13, -1
	v_clz_i32_u32_e32 v4, v1
	s_delay_alu instid0(VALU_DEP_3) | instskip(NEXT) | instid1(VALU_DEP_3)
	v_bfe_i32 v36, v24, 0, 8
	v_cmp_eq_u32_e64 s10, 0x7c0000, v5
	v_and_or_b32 v5, 0x80000000, v35, s27
	s_delay_alu instid0(VALU_DEP_4) | instskip(NEXT) | instid1(VALU_DEP_4)
	v_min_u32_e32 v7, 32, v4
	v_cmp_lt_i16_e32 vcc_lo, -1, v36
	v_lshrrev_b32_e32 v0, 16, v13
	v_bfe_u32 v4, v17, 18, 5
	s_delay_alu instid0(VALU_DEP_4) | instskip(NEXT) | instid1(VALU_DEP_2)
	v_subrev_nc_u32_e32 v38, 29, v7
	v_cmp_eq_u32_e64 s11, 0, v4
	s_delay_alu instid0(VALU_DEP_2) | instskip(SKIP_3) | instid1(VALU_DEP_4)
	v_lshlrev_b64_e32 v[38:39], v38, v[24:25]
	v_cndmask_b32_e32 v39, 0xff800000, v51, vcc_lo
	v_and_b32_e32 v37, 0xff, v0
	v_cmp_eq_u32_e32 vcc_lo, 0, v1
	v_dual_sub_nc_u32 v24, 30, v7 :: v_dual_bitop2_b32 v35, 3, v38 bitop3:0x40
	s_delay_alu instid0(VALU_DEP_3)
	v_cmp_ne_u16_e64 s12, 0, v37
	v_cndmask_b32_e32 v7, 0x7f800001, v39, vcc_lo
	s_and_b32 vcc_lo, exec_lo, s44
                                        ; implicit-def: $vgpr38
	s_cbranch_vccz .LBB6_12410
; %bb.12393:                            ;   in Loop: Header=BB6_11644 Depth=2
	v_mov_b32_e32 v38, 0
	s_and_saveexec_b32 s13, s12
	s_cbranch_execz .LBB6_12403
; %bb.12394:                            ;   in Loop: Header=BB6_11644 Depth=2
	v_bfrev_b32_e32 v38, 1
	s_mov_b32 s14, exec_lo
	v_cmpx_ne_u16_e32 0x80, v37
	s_cbranch_execz .LBB6_12402
; %bb.12395:                            ;   in Loop: Header=BB6_11644 Depth=2
	v_and_b32_e32 v38, 0x7c0000, v13
	v_bfe_u32 v39, v13, 16, 2
	s_delay_alu instid0(VALU_DEP_2) | instskip(SKIP_1) | instid1(SALU_CYCLE_1)
	v_cmp_ne_u32_e32 vcc_lo, 0x7c0000, v38
                                        ; implicit-def: $vgpr38
	s_and_saveexec_b32 s45, vcc_lo
	s_xor_b32 s45, exec_lo, s45
	s_cbranch_execz .LBB6_12399
; %bb.12396:                            ;   in Loop: Header=BB6_11644 Depth=2
	v_bfe_u32 v38, v13, 18, 5
	s_mov_b32 s46, exec_lo
	s_delay_alu instid0(VALU_DEP_1)
	v_cmpx_eq_u32_e32 0, v38
; %bb.12397:                            ;   in Loop: Header=BB6_11644 Depth=2
	v_clz_i32_u32_e32 v38, v39
	s_delay_alu instid0(VALU_DEP_1) | instskip(NEXT) | instid1(VALU_DEP_1)
	v_min_u32_e32 v38, 32, v38
	v_subrev_nc_u32_e32 v39, 29, v38
	s_delay_alu instid0(VALU_DEP_1) | instskip(NEXT) | instid1(VALU_DEP_1)
	v_lshlrev_b64_e32 v[48:49], v39, v[0:1]
	v_dual_sub_nc_u32 v38, 30, v38 :: v_dual_bitop2_b32 v39, 3, v48 bitop3:0x40
; %bb.12398:                            ;   in Loop: Header=BB6_11644 Depth=2
	s_or_b32 exec_lo, exec_lo, s46
	v_lshlrev_b32_e32 v48, 24, v0
	s_delay_alu instid0(VALU_DEP_1) | instskip(NEXT) | instid1(VALU_DEP_1)
	v_and_b32_e32 v48, 0x80000000, v48
	v_lshl_add_u32 v38, v38, 23, v48
	s_delay_alu instid0(VALU_DEP_1) | instskip(NEXT) | instid1(VALU_DEP_1)
	v_lshl_or_b32 v38, v39, 21, v38
                                        ; implicit-def: $vgpr39
	v_add_nc_u32_e32 v38, 0x38000000, v38
.LBB6_12399:                            ;   in Loop: Header=BB6_11644 Depth=2
	s_and_not1_saveexec_b32 s45, s45
; %bb.12400:                            ;   in Loop: Header=BB6_11644 Depth=2
	v_bfe_i32 v38, v0, 0, 8
	s_delay_alu instid0(VALU_DEP_1) | instskip(SKIP_2) | instid1(VALU_DEP_2)
	v_cmp_lt_i16_e32 vcc_lo, -1, v38
	v_cndmask_b32_e32 v38, 0xff800000, v51, vcc_lo
	v_cmp_eq_u32_e32 vcc_lo, 0, v39
	v_cndmask_b32_e32 v38, 0x7f800001, v38, vcc_lo
; %bb.12401:                            ;   in Loop: Header=BB6_11644 Depth=2
	s_or_b32 exec_lo, exec_lo, s45
.LBB6_12402:                            ;   in Loop: Header=BB6_11644 Depth=2
	s_delay_alu instid0(SALU_CYCLE_1)
	s_or_b32 exec_lo, exec_lo, s14
.LBB6_12403:                            ;   in Loop: Header=BB6_11644 Depth=2
	s_delay_alu instid0(SALU_CYCLE_1) | instskip(SKIP_3) | instid1(VALU_DEP_1)
	s_or_b32 exec_lo, exec_lo, s13
	v_and_b32_e32 v48, 0xff, v36
	s_mov_b32 s13, 0
	s_mov_b32 s14, exec_lo
	v_cmpx_lt_i16_e32 0x7f, v48
	s_xor_b32 s14, exec_lo, s14
	s_cbranch_execz .LBB6_12535
; %bb.12404:                            ;   in Loop: Header=BB6_11644 Depth=2
	s_mov_b32 s13, -1
	s_mov_b32 s45, exec_lo
	v_cmpx_eq_u16_e32 0x80, v48
; %bb.12405:                            ;   in Loop: Header=BB6_11644 Depth=2
	s_xor_b32 s13, exec_lo, -1
; %bb.12406:                            ;   in Loop: Header=BB6_11644 Depth=2
	s_or_b32 exec_lo, exec_lo, s45
	s_delay_alu instid0(SALU_CYCLE_1)
	s_and_b32 s13, s13, exec_lo
                                        ; implicit-def: $vgpr48
	s_or_saveexec_b32 s14, s14
	v_bfrev_b32_e32 v39, 1
	s_xor_b32 exec_lo, exec_lo, s14
	s_cbranch_execnz .LBB6_12536
.LBB6_12407:                            ;   in Loop: Header=BB6_11644 Depth=2
	s_or_b32 exec_lo, exec_lo, s14
	s_and_saveexec_b32 s14, s13
.LBB6_12408:                            ;   in Loop: Header=BB6_11644 Depth=2
	v_dual_cndmask_b32 v39, v4, v24, s11 :: v_dual_cndmask_b32 v48, v1, v35, s11
	s_delay_alu instid0(VALU_DEP_1) | instskip(NEXT) | instid1(VALU_DEP_1)
	v_lshl_add_u32 v39, v39, 23, v5
	v_lshl_or_b32 v39, v48, 21, v39
	s_delay_alu instid0(VALU_DEP_1)
	v_cndmask_b32_e64 v39, v39, v7, s10
.LBB6_12409:                            ;   in Loop: Header=BB6_11644 Depth=2
	s_or_b32 exec_lo, exec_lo, s14
	s_delay_alu instid0(VALU_DEP_1) | instskip(SKIP_1) | instid1(VALU_DEP_1)
	v_dual_max_num_f32 v39, v39, v39 :: v_dual_max_num_f32 v38, v38, v38
	s_mov_b32 s13, 0
	v_max_num_f32_e32 v38, v38, v39
.LBB6_12410:                            ;   in Loop: Header=BB6_11644 Depth=2
	s_and_b32 vcc_lo, exec_lo, s13
	s_cbranch_vccz .LBB6_12428
; %bb.12411:                            ;   in Loop: Header=BB6_11644 Depth=2
	v_mov_b32_e32 v38, 0
	s_and_saveexec_b32 s13, s12
	s_cbranch_execz .LBB6_12421
; %bb.12412:                            ;   in Loop: Header=BB6_11644 Depth=2
	v_bfrev_b32_e32 v38, 1
	s_mov_b32 s12, exec_lo
	v_cmpx_ne_u16_e32 0x80, v37
	s_cbranch_execz .LBB6_12420
; %bb.12413:                            ;   in Loop: Header=BB6_11644 Depth=2
	v_and_b32_e32 v38, 0x7c0000, v13
	v_bfe_u32 v37, v13, 16, 2
	s_delay_alu instid0(VALU_DEP_2) | instskip(SKIP_1) | instid1(SALU_CYCLE_1)
	v_cmp_ne_u32_e32 vcc_lo, 0x7c0000, v38
                                        ; implicit-def: $vgpr38
	s_and_saveexec_b32 s14, vcc_lo
	s_xor_b32 s14, exec_lo, s14
	s_cbranch_execz .LBB6_12417
; %bb.12414:                            ;   in Loop: Header=BB6_11644 Depth=2
	v_bfe_u32 v38, v13, 18, 5
	s_mov_b32 s45, exec_lo
	s_delay_alu instid0(VALU_DEP_1)
	v_cmpx_eq_u32_e32 0, v38
; %bb.12415:                            ;   in Loop: Header=BB6_11644 Depth=2
	v_clz_i32_u32_e32 v37, v37
	s_delay_alu instid0(VALU_DEP_1) | instskip(NEXT) | instid1(VALU_DEP_1)
	v_min_u32_e32 v37, 32, v37
	v_subrev_nc_u32_e32 v38, 29, v37
	s_delay_alu instid0(VALU_DEP_1) | instskip(NEXT) | instid1(VALU_DEP_1)
	v_lshlrev_b64_e32 v[48:49], v38, v[0:1]
	v_dual_sub_nc_u32 v38, 30, v37 :: v_dual_bitop2_b32 v37, 3, v48 bitop3:0x40
; %bb.12416:                            ;   in Loop: Header=BB6_11644 Depth=2
	s_or_b32 exec_lo, exec_lo, s45
	v_lshlrev_b32_e32 v0, 24, v0
	s_delay_alu instid0(VALU_DEP_1) | instskip(NEXT) | instid1(VALU_DEP_1)
	v_and_b32_e32 v0, 0x80000000, v0
	v_lshl_add_u32 v0, v38, 23, v0
	s_delay_alu instid0(VALU_DEP_1) | instskip(NEXT) | instid1(VALU_DEP_1)
	v_lshl_or_b32 v0, v37, 21, v0
                                        ; implicit-def: $vgpr37
	v_add_nc_u32_e32 v38, 0x38000000, v0
                                        ; implicit-def: $vgpr0
.LBB6_12417:                            ;   in Loop: Header=BB6_11644 Depth=2
	s_and_not1_saveexec_b32 s14, s14
; %bb.12418:                            ;   in Loop: Header=BB6_11644 Depth=2
	v_bfe_i32 v0, v0, 0, 8
	s_delay_alu instid0(VALU_DEP_1) | instskip(SKIP_2) | instid1(VALU_DEP_2)
	v_cmp_lt_i16_e32 vcc_lo, -1, v0
	v_cndmask_b32_e32 v0, 0xff800000, v51, vcc_lo
	v_cmp_eq_u32_e32 vcc_lo, 0, v37
	v_cndmask_b32_e32 v38, 0x7f800001, v0, vcc_lo
; %bb.12419:                            ;   in Loop: Header=BB6_11644 Depth=2
	s_or_b32 exec_lo, exec_lo, s14
.LBB6_12420:                            ;   in Loop: Header=BB6_11644 Depth=2
	s_delay_alu instid0(SALU_CYCLE_1)
	s_or_b32 exec_lo, exec_lo, s12
.LBB6_12421:                            ;   in Loop: Header=BB6_11644 Depth=2
	s_delay_alu instid0(SALU_CYCLE_1) | instskip(SKIP_3) | instid1(VALU_DEP_1)
	s_or_b32 exec_lo, exec_lo, s13
	v_and_b32_e32 v36, 0xff, v36
	s_mov_b32 s12, 0
	s_mov_b32 s13, exec_lo
	v_cmpx_lt_i16_e32 0x7f, v36
	s_xor_b32 s13, exec_lo, s13
	s_cbranch_execz .LBB6_12537
; %bb.12422:                            ;   in Loop: Header=BB6_11644 Depth=2
	s_mov_b32 s12, -1
	s_mov_b32 s14, exec_lo
	v_cmpx_eq_u16_e32 0x80, v36
; %bb.12423:                            ;   in Loop: Header=BB6_11644 Depth=2
	s_xor_b32 s12, exec_lo, -1
; %bb.12424:                            ;   in Loop: Header=BB6_11644 Depth=2
	s_or_b32 exec_lo, exec_lo, s14
	s_delay_alu instid0(SALU_CYCLE_1)
	s_and_b32 s12, s12, exec_lo
                                        ; implicit-def: $vgpr36
	s_or_saveexec_b32 s13, s13
	v_bfrev_b32_e32 v0, 1
	s_xor_b32 exec_lo, exec_lo, s13
	s_cbranch_execnz .LBB6_12538
.LBB6_12425:                            ;   in Loop: Header=BB6_11644 Depth=2
	s_or_b32 exec_lo, exec_lo, s13
	s_and_saveexec_b32 s13, s12
.LBB6_12426:                            ;   in Loop: Header=BB6_11644 Depth=2
	v_dual_cndmask_b32 v0, v4, v24, s11 :: v_dual_cndmask_b32 v1, v1, v35, s11
	s_delay_alu instid0(VALU_DEP_1) | instskip(NEXT) | instid1(VALU_DEP_1)
	v_lshl_add_u32 v0, v0, 23, v5
	v_lshl_or_b32 v0, v1, 21, v0
	s_delay_alu instid0(VALU_DEP_1)
	v_cndmask_b32_e64 v0, v0, v7, s10
.LBB6_12427:                            ;   in Loop: Header=BB6_11644 Depth=2
	s_or_b32 exec_lo, exec_lo, s13
	s_delay_alu instid0(VALU_DEP_1) | instskip(NEXT) | instid1(VALU_DEP_1)
	v_dual_max_num_f32 v0, v0, v0 :: v_dual_max_num_f32 v1, v38, v38
	v_min_num_f32_e32 v38, v1, v0
.LBB6_12428:                            ;   in Loop: Header=BB6_11644 Depth=2
	s_delay_alu instid0(VALU_DEP_1) | instskip(SKIP_2) | instid1(VALU_DEP_2)
	v_and_b32_e32 v0, 0x7f800000, v38
	v_mov_b32_e32 v1, v25
	v_and_b32_e32 v24, 0x7fffff, v38
                                        ; implicit-def: $vgpr7
	v_cmp_ne_u64_e32 vcc_lo, 0x7f800000, v[0:1]
	v_lshrrev_b32_e32 v0, 24, v38
	s_and_saveexec_b32 s10, vcc_lo
	s_delay_alu instid0(SALU_CYCLE_1)
	s_xor_b32 s11, exec_lo, s10
	s_cbranch_execz .LBB6_12442
; %bb.12429:                            ;   in Loop: Header=BB6_11644 Depth=2
	v_and_b32_e32 v4, 0x7fffffff, v38
	v_mov_b32_e32 v5, v25
	v_and_b32_e32 v35, 0x80, v0
                                        ; implicit-def: $vgpr7
	s_mov_b32 s10, exec_lo
	s_delay_alu instid0(VALU_DEP_2)
	v_cmpx_gt_u64_e32 0x47600001, v[4:5]
	s_xor_b32 s12, exec_lo, s10
	s_cbranch_execz .LBB6_12439
; %bb.12430:                            ;   in Loop: Header=BB6_11644 Depth=2
	v_mov_b32_e32 v7, 0
	s_mov_b32 s13, exec_lo
	v_cmpx_ne_u32_e32 0, v38
	s_cbranch_execz .LBB6_12438
; %bb.12431:                            ;   in Loop: Header=BB6_11644 Depth=2
	v_bfe_u32 v7, v38, 23, 8
	v_or_b32_e32 v4, 0x800000, v24
	s_delay_alu instid0(VALU_DEP_2) | instskip(SKIP_1) | instid1(VALU_DEP_2)
	v_sub_nc_u32_e32 v0, 0x71, v7
	v_cmp_gt_u32_e32 vcc_lo, 0x72, v7
	v_cndmask_b32_e32 v0, 0, v0, vcc_lo
	v_cmp_eq_u32_e32 vcc_lo, 0, v7
	s_delay_alu instid0(VALU_DEP_2) | instskip(SKIP_1) | instid1(VALU_DEP_2)
	v_cndmask_b32_e64 v36, v0, 0x70, vcc_lo
	v_cndmask_b32_e32 v24, v4, v24, vcc_lo
	v_dual_add_nc_u32 v0, 21, v36 :: v_dual_add_nc_u32 v5, 20, v36
	s_delay_alu instid0(VALU_DEP_1) | instskip(NEXT) | instid1(VALU_DEP_2)
	v_lshlrev_b64_e64 v[0:1], v0, -1
	v_lshlrev_b64_e64 v[4:5], v5, 1
	s_delay_alu instid0(VALU_DEP_2) | instskip(NEXT) | instid1(VALU_DEP_3)
	v_bfi_b32 v39, v1, 0, 0
	v_bfi_b32 v38, v0, 0, v24
	v_lshrrev_b64 v[0:1], v36, v[24:25]
	s_delay_alu instid0(VALU_DEP_2) | instskip(NEXT) | instid1(VALU_DEP_2)
	v_cmp_eq_u64_e64 s10, v[38:39], v[4:5]
	v_mov_b64_e32 v[4:5], v[0:1]
	s_and_saveexec_b32 s14, s10
; %bb.12432:                            ;   in Loop: Header=BB6_11644 Depth=2
	v_bfe_u32 v24, v0, 21, 1
	s_delay_alu instid0(VALU_DEP_1) | instskip(NEXT) | instid1(VALU_DEP_1)
	v_add_nc_u64_e32 v[4:5], v[0:1], v[24:25]
	v_add_nc_u64_e32 v[4:5], -1, v[4:5]
; %bb.12433:                            ;   in Loop: Header=BB6_11644 Depth=2
	s_or_b32 exec_lo, exec_lo, s14
	v_add_nc_u32_e32 v1, 0xffffff81, v7
	v_lshrrev_b32_e32 v5, 23, v0
	s_mov_b32 s10, exec_lo
	s_delay_alu instid0(VALU_DEP_2) | instskip(NEXT) | instid1(VALU_DEP_1)
	v_cndmask_b32_e64 v1, v1, 0xffffff82, vcc_lo
	v_add3_u32 v5, v36, v1, v5
	v_and_b32_e32 v1, 0x1fffff, v4
                                        ; implicit-def: $vgpr4
	s_delay_alu instid0(VALU_DEP_1) | instskip(NEXT) | instid1(VALU_DEP_1)
	v_dual_add_nc_u32 v7, 14, v5 :: v_dual_add_nc_u32 v24, v1, v0
                                        ; implicit-def: $vgpr0_vgpr1
	v_cmpx_ne_u32_e32 0, v7
	s_xor_b32 s10, exec_lo, s10
; %bb.12434:                            ;   in Loop: Header=BB6_11644 Depth=2
	s_delay_alu instid0(VALU_DEP_2) | instskip(SKIP_1) | instid1(VALU_DEP_1)
	v_cmp_lt_u64_e32 vcc_lo, 0xffffff, v[24:25]
	v_add_nc_u32_e32 v0, 15, v5
	v_cndmask_b32_e32 v4, v7, v0, vcc_lo
	v_cndmask_b32_e64 v0, 0, 1, vcc_lo
	s_delay_alu instid0(VALU_DEP_1)
	v_lshrrev_b64 v[0:1], v0, v[24:25]
; %bb.12435:                            ;   in Loop: Header=BB6_11644 Depth=2
	s_and_not1_saveexec_b32 s10, s10
; %bb.12436:                            ;   in Loop: Header=BB6_11644 Depth=2
	v_mov_b64_e32 v[0:1], v[24:25]
	v_bfe_u32 v4, v24, 23, 1
; %bb.12437:                            ;   in Loop: Header=BB6_11644 Depth=2
	s_or_b32 exec_lo, exec_lo, s10
	s_delay_alu instid0(VALU_DEP_2) | instskip(NEXT) | instid1(VALU_DEP_2)
	v_lshrrev_b64 v[0:1], 21, v[0:1]
	v_cmp_gt_i32_e32 vcc_lo, 32, v4
	v_min_i32_e32 v5, 31, v4
	v_cmp_eq_u32_e64 s10, 0, v4
	s_delay_alu instid0(VALU_DEP_4) | instskip(NEXT) | instid1(VALU_DEP_3)
	v_cndmask_b32_e32 v1, 0, v1, vcc_lo
	v_dual_cndmask_b32 v0, 3, v0 :: v_dual_lshlrev_b32 v5, 2, v5
	s_delay_alu instid0(VALU_DEP_1) | instskip(NEXT) | instid1(VALU_DEP_2)
	v_and_b32_e32 v5, 0xfc, v5
	v_cmp_eq_u64_e32 vcc_lo, 0, v[0:1]
	s_delay_alu instid0(VALU_DEP_2)
	v_and_or_b32 v0, v0, 3, v5
	s_and_b32 s10, s10, vcc_lo
	s_delay_alu instid0(VALU_DEP_1) | instid1(SALU_CYCLE_1)
	v_cndmask_b32_e64 v0, v0, 0, s10
	s_delay_alu instid0(VALU_DEP_1)
	v_or_b32_e32 v7, v0, v35
.LBB6_12438:                            ;   in Loop: Header=BB6_11644 Depth=2
	s_or_b32 exec_lo, exec_lo, s13
                                        ; implicit-def: $vgpr35
.LBB6_12439:                            ;   in Loop: Header=BB6_11644 Depth=2
	s_and_not1_saveexec_b32 s10, s12
; %bb.12440:                            ;   in Loop: Header=BB6_11644 Depth=2
	v_or_b32_e32 v7, 0x7b, v35
; %bb.12441:                            ;   in Loop: Header=BB6_11644 Depth=2
	s_or_b32 exec_lo, exec_lo, s10
                                        ; implicit-def: $vgpr38
                                        ; implicit-def: $vgpr0
.LBB6_12442:                            ;   in Loop: Header=BB6_11644 Depth=2
	s_and_not1_saveexec_b32 s10, s11
	s_cbranch_execz .LBB6_12448
; %bb.12443:                            ;   in Loop: Header=BB6_11644 Depth=2
	s_mov_b32 s11, exec_lo
                                        ; implicit-def: $vgpr7
	v_cmpx_ne_u64_e32 0, v[24:25]
	s_xor_b32 s11, exec_lo, s11
; %bb.12444:                            ;   in Loop: Header=BB6_11644 Depth=2
	v_or_b32_e32 v7, 0x7f, v0
                                        ; implicit-def: $vgpr38
; %bb.12445:                            ;   in Loop: Header=BB6_11644 Depth=2
	s_and_not1_saveexec_b32 s11, s11
; %bb.12446:                            ;   in Loop: Header=BB6_11644 Depth=2
	v_cmp_lt_i32_e32 vcc_lo, -1, v38
	v_cndmask_b32_e32 v7, 0xfc, v41, vcc_lo
; %bb.12447:                            ;   in Loop: Header=BB6_11644 Depth=2
	s_or_b32 exec_lo, exec_lo, s11
.LBB6_12448:                            ;   in Loop: Header=BB6_11644 Depth=2
	s_delay_alu instid0(SALU_CYCLE_1)
	s_or_b32 exec_lo, exec_lo, s10
	v_bfe_u32 v1, v17, 24, 2
	v_lshrrev_b32_e32 v24, 24, v17
	v_cmp_lt_i64_e32 vcc_lo, -1, v[16:17]
	v_cmp_gt_u64_e64 s10, s[18:19], v[16:17]
	v_and_b32_e32 v38, 0x7c000000, v17
	v_clz_i32_u32_e32 v4, v1
	v_cmp_lt_u64_e64 s14, s[16:17], v[12:13]
	v_and_or_b32 v5, 0x80000000, v17, s27
	v_cmp_eq_u32_e64 s11, 0x80, v24
	v_cndmask_b32_e32 v16, 0xff800000, v51, vcc_lo
	v_min_u32_e32 v35, 32, v4
	v_bfe_u32 v4, v17, 26, 5
	v_cmp_eq_u32_e32 vcc_lo, 0, v1
	v_lshrrev_b32_e32 v0, 24, v13
	v_cmp_eq_u32_e64 s12, 0x7c000000, v38
	v_subrev_nc_u32_e32 v36, 29, v35
	v_cmp_eq_u32_e64 s13, 0, v4
	v_dual_cndmask_b32 v16, 0x7f800001, v16 :: v_dual_sub_nc_u32 v17, 30, v35
	s_and_b32 vcc_lo, exec_lo, s44
	v_lshlrev_b64_e32 v[36:37], v36, v[24:25]
	s_mov_b32 s45, -1
                                        ; implicit-def: $vgpr35
	s_delay_alu instid0(VALU_DEP_1)
	v_and_b32_e32 v24, 3, v36
	s_cbranch_vccz .LBB6_12460
; %bb.12449:                            ;   in Loop: Header=BB6_11644 Depth=2
	v_mov_b32_e32 v35, 0
	s_and_saveexec_b32 s45, s14
	s_cbranch_execz .LBB6_12459
; %bb.12450:                            ;   in Loop: Header=BB6_11644 Depth=2
	v_bfrev_b32_e32 v35, 1
	s_mov_b32 s46, exec_lo
	v_cmpx_ne_u32_e32 0x80, v0
	s_cbranch_execz .LBB6_12458
; %bb.12451:                            ;   in Loop: Header=BB6_11644 Depth=2
	v_and_b32_e32 v35, 0x7c000000, v13
	v_bfe_u32 v36, v13, 24, 2
	s_delay_alu instid0(VALU_DEP_2) | instskip(SKIP_1) | instid1(SALU_CYCLE_1)
	v_cmp_ne_u32_e32 vcc_lo, 0x7c000000, v35
                                        ; implicit-def: $vgpr35
	s_and_saveexec_b32 s47, vcc_lo
	s_xor_b32 s47, exec_lo, s47
	s_cbranch_execz .LBB6_12455
; %bb.12452:                            ;   in Loop: Header=BB6_11644 Depth=2
	v_bfe_u32 v35, v13, 26, 5
	s_mov_b32 s56, exec_lo
	s_delay_alu instid0(VALU_DEP_1)
	v_cmpx_eq_u32_e32 0, v35
; %bb.12453:                            ;   in Loop: Header=BB6_11644 Depth=2
	v_clz_i32_u32_e32 v35, v36
	s_delay_alu instid0(VALU_DEP_1) | instskip(NEXT) | instid1(VALU_DEP_1)
	v_min_u32_e32 v35, 32, v35
	v_subrev_nc_u32_e32 v36, 29, v35
	s_delay_alu instid0(VALU_DEP_1) | instskip(NEXT) | instid1(VALU_DEP_1)
	v_lshlrev_b64_e32 v[36:37], v36, v[0:1]
	v_dual_sub_nc_u32 v35, 30, v35 :: v_dual_bitop2_b32 v36, 3, v36 bitop3:0x40
; %bb.12454:                            ;   in Loop: Header=BB6_11644 Depth=2
	s_or_b32 exec_lo, exec_lo, s56
	v_and_b32_e32 v37, 0x80000000, v13
	s_delay_alu instid0(VALU_DEP_1) | instskip(NEXT) | instid1(VALU_DEP_1)
	v_lshl_add_u32 v35, v35, 23, v37
	v_lshl_or_b32 v35, v36, 21, v35
                                        ; implicit-def: $vgpr36
	s_delay_alu instid0(VALU_DEP_1)
	v_add_nc_u32_e32 v35, 0x38000000, v35
.LBB6_12455:                            ;   in Loop: Header=BB6_11644 Depth=2
	s_and_not1_saveexec_b32 s47, s47
; %bb.12456:                            ;   in Loop: Header=BB6_11644 Depth=2
	v_cmp_lt_i64_e32 vcc_lo, -1, v[12:13]
	v_cndmask_b32_e32 v35, 0xff800000, v51, vcc_lo
	v_cmp_eq_u32_e32 vcc_lo, 0, v36
	s_delay_alu instid0(VALU_DEP_2)
	v_cndmask_b32_e32 v35, 0x7f800001, v35, vcc_lo
; %bb.12457:                            ;   in Loop: Header=BB6_11644 Depth=2
	s_or_b32 exec_lo, exec_lo, s47
.LBB6_12458:                            ;   in Loop: Header=BB6_11644 Depth=2
	s_delay_alu instid0(SALU_CYCLE_1)
	s_or_b32 exec_lo, exec_lo, s46
.LBB6_12459:                            ;   in Loop: Header=BB6_11644 Depth=2
	s_delay_alu instid0(SALU_CYCLE_1) | instskip(SKIP_3) | instid1(VALU_DEP_2)
	s_or_b32 exec_lo, exec_lo, s45
	v_dual_cndmask_b32 v36, v4, v17, s13 :: v_dual_cndmask_b32 v37, v1, v24, s13
	s_mov_b32 s45, 0
	v_max_num_f32_e32 v35, v35, v35
	v_lshl_add_u32 v36, v36, 23, v5
	s_delay_alu instid0(VALU_DEP_1) | instskip(NEXT) | instid1(VALU_DEP_1)
	v_lshl_or_b32 v36, v37, 21, v36
	v_cndmask_b32_e64 v36, v36, v16, s12
	s_delay_alu instid0(VALU_DEP_1) | instskip(NEXT) | instid1(VALU_DEP_1)
	v_cndmask_b32_e64 v36, v36, 0x80000000, s11
	v_cndmask_b32_e64 v36, v36, 0, s10
	s_delay_alu instid0(VALU_DEP_1) | instskip(NEXT) | instid1(VALU_DEP_1)
	v_max_num_f32_e32 v36, v36, v36
	v_max_num_f32_e32 v35, v35, v36
.LBB6_12460:                            ;   in Loop: Header=BB6_11644 Depth=2
	s_and_b32 vcc_lo, exec_lo, s45
	s_cbranch_vccz .LBB6_12472
; %bb.12461:                            ;   in Loop: Header=BB6_11644 Depth=2
	v_mov_b32_e32 v35, 0
	s_and_saveexec_b32 s45, s14
	s_cbranch_execz .LBB6_12471
; %bb.12462:                            ;   in Loop: Header=BB6_11644 Depth=2
	v_bfrev_b32_e32 v35, 1
	s_mov_b32 s14, exec_lo
	v_cmpx_ne_u32_e32 0x80, v0
	s_cbranch_execz .LBB6_12470
; %bb.12463:                            ;   in Loop: Header=BB6_11644 Depth=2
	v_and_b32_e32 v35, 0x7c000000, v13
	v_bfe_u32 v36, v13, 24, 2
	s_delay_alu instid0(VALU_DEP_2) | instskip(SKIP_1) | instid1(SALU_CYCLE_1)
	v_cmp_ne_u32_e32 vcc_lo, 0x7c000000, v35
                                        ; implicit-def: $vgpr35
	s_and_saveexec_b32 s46, vcc_lo
	s_xor_b32 s46, exec_lo, s46
	s_cbranch_execz .LBB6_12467
; %bb.12464:                            ;   in Loop: Header=BB6_11644 Depth=2
	v_bfe_u32 v12, v13, 26, 5
	s_mov_b32 s47, exec_lo
	s_delay_alu instid0(VALU_DEP_1)
	v_cmpx_eq_u32_e32 0, v12
; %bb.12465:                            ;   in Loop: Header=BB6_11644 Depth=2
	v_clz_i32_u32_e32 v12, v36
	s_delay_alu instid0(VALU_DEP_1) | instskip(NEXT) | instid1(VALU_DEP_1)
	v_min_u32_e32 v12, 32, v12
	v_subrev_nc_u32_e32 v35, 29, v12
	v_sub_nc_u32_e32 v12, 30, v12
	s_delay_alu instid0(VALU_DEP_2) | instskip(NEXT) | instid1(VALU_DEP_1)
	v_lshlrev_b64_e32 v[36:37], v35, v[0:1]
	v_and_b32_e32 v36, 3, v36
; %bb.12466:                            ;   in Loop: Header=BB6_11644 Depth=2
	s_or_b32 exec_lo, exec_lo, s47
	v_and_b32_e32 v0, 0x80000000, v13
	s_delay_alu instid0(VALU_DEP_1) | instskip(NEXT) | instid1(VALU_DEP_1)
	v_lshl_add_u32 v0, v12, 23, v0
                                        ; implicit-def: $vgpr12_vgpr13
	v_lshl_or_b32 v0, v36, 21, v0
                                        ; implicit-def: $vgpr36
	s_delay_alu instid0(VALU_DEP_1)
	v_add_nc_u32_e32 v35, 0x38000000, v0
.LBB6_12467:                            ;   in Loop: Header=BB6_11644 Depth=2
	s_and_not1_saveexec_b32 s46, s46
; %bb.12468:                            ;   in Loop: Header=BB6_11644 Depth=2
	v_cmp_lt_i64_e32 vcc_lo, -1, v[12:13]
	v_cndmask_b32_e32 v0, 0xff800000, v51, vcc_lo
	v_cmp_eq_u32_e32 vcc_lo, 0, v36
	s_delay_alu instid0(VALU_DEP_2)
	v_cndmask_b32_e32 v35, 0x7f800001, v0, vcc_lo
; %bb.12469:                            ;   in Loop: Header=BB6_11644 Depth=2
	s_or_b32 exec_lo, exec_lo, s46
.LBB6_12470:                            ;   in Loop: Header=BB6_11644 Depth=2
	s_delay_alu instid0(SALU_CYCLE_1)
	s_or_b32 exec_lo, exec_lo, s14
.LBB6_12471:                            ;   in Loop: Header=BB6_11644 Depth=2
	s_delay_alu instid0(SALU_CYCLE_1) | instskip(SKIP_1) | instid1(VALU_DEP_1)
	s_or_b32 exec_lo, exec_lo, s45
	v_dual_cndmask_b32 v0, v4, v17, s13 :: v_dual_cndmask_b32 v1, v1, v24, s13
	v_lshl_add_u32 v0, v0, 23, v5
	s_delay_alu instid0(VALU_DEP_1) | instskip(NEXT) | instid1(VALU_DEP_1)
	v_lshl_or_b32 v0, v1, 21, v0
	v_dual_max_num_f32 v1, v35, v35 :: v_dual_cndmask_b32 v0, v0, v16, s12
	s_delay_alu instid0(VALU_DEP_1) | instskip(NEXT) | instid1(VALU_DEP_1)
	v_cndmask_b32_e64 v0, v0, 0x80000000, s11
	v_cndmask_b32_e64 v0, v0, 0, s10
	s_delay_alu instid0(VALU_DEP_1) | instskip(NEXT) | instid1(VALU_DEP_1)
	v_max_num_f32_e32 v0, v0, v0
	v_min_num_f32_e32 v35, v1, v0
.LBB6_12472:                            ;   in Loop: Header=BB6_11644 Depth=2
	s_delay_alu instid0(VALU_DEP_1) | instskip(SKIP_2) | instid1(VALU_DEP_2)
	v_and_b32_e32 v0, 0x7f800000, v35
	v_mov_b32_e32 v1, v25
	v_and_b32_e32 v24, 0x7fffff, v35
	v_cmp_ne_u64_e32 vcc_lo, 0x7f800000, v[0:1]
	v_lshrrev_b32_e32 v1, 24, v35
                                        ; implicit-def: $vgpr0
	s_and_saveexec_b32 s10, vcc_lo
	s_delay_alu instid0(SALU_CYCLE_1)
	s_xor_b32 s11, exec_lo, s10
	s_cbranch_execz .LBB6_12486
; %bb.12473:                            ;   in Loop: Header=BB6_11644 Depth=2
	v_and_b32_e32 v4, 0x7fffffff, v35
	v_mov_b32_e32 v5, v25
	v_and_b32_e32 v12, 0x80, v1
                                        ; implicit-def: $vgpr0
	s_mov_b32 s10, exec_lo
	s_delay_alu instid0(VALU_DEP_2)
	v_cmpx_gt_u64_e32 0x47600001, v[4:5]
	s_xor_b32 s12, exec_lo, s10
	s_cbranch_execz .LBB6_12483
; %bb.12474:                            ;   in Loop: Header=BB6_11644 Depth=2
	v_mov_b32_e32 v0, 0
	s_mov_b32 s13, exec_lo
	v_cmpx_ne_u32_e32 0, v35
	s_cbranch_execz .LBB6_12482
; %bb.12475:                            ;   in Loop: Header=BB6_11644 Depth=2
	v_bfe_u32 v13, v35, 23, 8
	v_or_b32_e32 v4, 0x800000, v24
	s_delay_alu instid0(VALU_DEP_2) | instskip(SKIP_1) | instid1(VALU_DEP_2)
	v_sub_nc_u32_e32 v0, 0x71, v13
	v_cmp_gt_u32_e32 vcc_lo, 0x72, v13
	v_cndmask_b32_e32 v0, 0, v0, vcc_lo
	v_cmp_eq_u32_e32 vcc_lo, 0, v13
	s_delay_alu instid0(VALU_DEP_2) | instskip(SKIP_1) | instid1(VALU_DEP_2)
	v_cndmask_b32_e64 v16, v0, 0x70, vcc_lo
	v_cndmask_b32_e32 v24, v4, v24, vcc_lo
	v_dual_add_nc_u32 v0, 21, v16 :: v_dual_add_nc_u32 v5, 20, v16
	s_delay_alu instid0(VALU_DEP_1) | instskip(NEXT) | instid1(VALU_DEP_2)
	v_lshlrev_b64_e64 v[0:1], v0, -1
	v_lshlrev_b64_e64 v[4:5], v5, 1
	s_delay_alu instid0(VALU_DEP_2) | instskip(NEXT) | instid1(VALU_DEP_3)
	v_bfi_b32 v37, v1, 0, 0
	v_bfi_b32 v36, v0, 0, v24
	v_lshrrev_b64 v[0:1], v16, v[24:25]
	s_delay_alu instid0(VALU_DEP_2) | instskip(NEXT) | instid1(VALU_DEP_2)
	v_cmp_eq_u64_e64 s10, v[36:37], v[4:5]
	v_mov_b64_e32 v[4:5], v[0:1]
	s_and_saveexec_b32 s14, s10
; %bb.12476:                            ;   in Loop: Header=BB6_11644 Depth=2
	v_bfe_u32 v24, v0, 21, 1
	s_delay_alu instid0(VALU_DEP_1) | instskip(NEXT) | instid1(VALU_DEP_1)
	v_add_nc_u64_e32 v[4:5], v[0:1], v[24:25]
	v_add_nc_u64_e32 v[4:5], -1, v[4:5]
; %bb.12477:                            ;   in Loop: Header=BB6_11644 Depth=2
	s_or_b32 exec_lo, exec_lo, s14
	v_add_nc_u32_e32 v1, 0xffffff81, v13
	v_lshrrev_b32_e32 v5, 23, v0
	s_mov_b32 s10, exec_lo
	s_delay_alu instid0(VALU_DEP_2) | instskip(NEXT) | instid1(VALU_DEP_1)
	v_cndmask_b32_e64 v1, v1, 0xffffff82, vcc_lo
	v_add3_u32 v5, v16, v1, v5
	v_and_b32_e32 v1, 0x1fffff, v4
                                        ; implicit-def: $vgpr4
	s_delay_alu instid0(VALU_DEP_1) | instskip(NEXT) | instid1(VALU_DEP_1)
	v_dual_add_nc_u32 v13, 14, v5 :: v_dual_add_nc_u32 v24, v1, v0
                                        ; implicit-def: $vgpr0_vgpr1
	v_cmpx_ne_u32_e32 0, v13
	s_xor_b32 s10, exec_lo, s10
; %bb.12478:                            ;   in Loop: Header=BB6_11644 Depth=2
	s_delay_alu instid0(VALU_DEP_2) | instskip(SKIP_1) | instid1(VALU_DEP_1)
	v_cmp_lt_u64_e32 vcc_lo, 0xffffff, v[24:25]
	v_add_nc_u32_e32 v0, 15, v5
	v_cndmask_b32_e32 v4, v13, v0, vcc_lo
	v_cndmask_b32_e64 v0, 0, 1, vcc_lo
	s_delay_alu instid0(VALU_DEP_1)
	v_lshrrev_b64 v[0:1], v0, v[24:25]
; %bb.12479:                            ;   in Loop: Header=BB6_11644 Depth=2
	s_and_not1_saveexec_b32 s10, s10
; %bb.12480:                            ;   in Loop: Header=BB6_11644 Depth=2
	v_mov_b64_e32 v[0:1], v[24:25]
	v_bfe_u32 v4, v24, 23, 1
; %bb.12481:                            ;   in Loop: Header=BB6_11644 Depth=2
	s_or_b32 exec_lo, exec_lo, s10
	s_delay_alu instid0(VALU_DEP_2) | instskip(NEXT) | instid1(VALU_DEP_2)
	v_lshrrev_b64 v[0:1], 21, v[0:1]
	v_cmp_gt_i32_e32 vcc_lo, 32, v4
	v_min_i32_e32 v5, 31, v4
	v_cmp_eq_u32_e64 s10, 0, v4
	s_delay_alu instid0(VALU_DEP_4) | instskip(NEXT) | instid1(VALU_DEP_3)
	v_cndmask_b32_e32 v1, 0, v1, vcc_lo
	v_dual_cndmask_b32 v0, 3, v0 :: v_dual_lshlrev_b32 v5, 2, v5
	s_delay_alu instid0(VALU_DEP_1) | instskip(NEXT) | instid1(VALU_DEP_2)
	v_and_b32_e32 v5, 0xfc, v5
	v_cmp_eq_u64_e32 vcc_lo, 0, v[0:1]
	s_delay_alu instid0(VALU_DEP_2)
	v_and_or_b32 v0, v0, 3, v5
	s_and_b32 s10, s10, vcc_lo
	s_delay_alu instid0(VALU_DEP_1) | instid1(SALU_CYCLE_1)
	v_cndmask_b32_e64 v0, v0, 0, s10
	s_delay_alu instid0(VALU_DEP_1)
	v_or_b32_e32 v0, v0, v12
.LBB6_12482:                            ;   in Loop: Header=BB6_11644 Depth=2
	s_or_b32 exec_lo, exec_lo, s13
                                        ; implicit-def: $vgpr12
.LBB6_12483:                            ;   in Loop: Header=BB6_11644 Depth=2
	s_and_not1_saveexec_b32 s10, s12
; %bb.12484:                            ;   in Loop: Header=BB6_11644 Depth=2
	v_or_b32_e32 v0, 0x7b, v12
; %bb.12485:                            ;   in Loop: Header=BB6_11644 Depth=2
	s_or_b32 exec_lo, exec_lo, s10
                                        ; implicit-def: $vgpr35
                                        ; implicit-def: $vgpr1
.LBB6_12486:                            ;   in Loop: Header=BB6_11644 Depth=2
	s_and_not1_saveexec_b32 s10, s11
	s_cbranch_execz .LBB6_11643
; %bb.12487:                            ;   in Loop: Header=BB6_11644 Depth=2
	s_mov_b32 s11, exec_lo
                                        ; implicit-def: $vgpr0
	v_cmpx_ne_u64_e32 0, v[24:25]
	s_xor_b32 s11, exec_lo, s11
; %bb.12488:                            ;   in Loop: Header=BB6_11644 Depth=2
	v_or_b32_e32 v0, 0x7f, v1
                                        ; implicit-def: $vgpr35
; %bb.12489:                            ;   in Loop: Header=BB6_11644 Depth=2
	s_and_not1_saveexec_b32 s11, s11
	s_cbranch_execz .LBB6_11642
; %bb.12490:                            ;   in Loop: Header=BB6_11644 Depth=2
	v_cmp_lt_i32_e32 vcc_lo, -1, v35
	v_cndmask_b32_e32 v0, 0xfc, v41, vcc_lo
	s_branch .LBB6_11642
.LBB6_12491:                            ;   in Loop: Header=BB6_11644 Depth=2
	s_or_saveexec_b32 s14, s14
	v_bfrev_b32_e32 v28, 1
	s_xor_b32 exec_lo, exec_lo, s14
	s_cbranch_execz .LBB6_11659
.LBB6_12492:                            ;   in Loop: Header=BB6_11644 Depth=2
	v_cmp_ne_u16_e32 vcc_lo, 0, v29
	v_mov_b32_e32 v28, 0
	s_and_not1_b32 s13, s13, exec_lo
	s_and_b32 s45, vcc_lo, exec_lo
	s_delay_alu instid0(SALU_CYCLE_1)
	s_or_b32 s13, s13, s45
	s_or_b32 exec_lo, exec_lo, s14
	s_and_saveexec_b32 s14, s13
	s_cbranch_execnz .LBB6_11660
	s_branch .LBB6_11661
.LBB6_12493:                            ;   in Loop: Header=BB6_11644 Depth=2
	s_or_saveexec_b32 s13, s13
	v_bfrev_b32_e32 v24, 1
	s_xor_b32 exec_lo, exec_lo, s13
	s_cbranch_execz .LBB6_11677
.LBB6_12494:                            ;   in Loop: Header=BB6_11644 Depth=2
	v_cmp_ne_u16_e32 vcc_lo, 0, v26
	v_mov_b32_e32 v24, 0
	s_and_not1_b32 s12, s12, exec_lo
	s_and_b32 s14, vcc_lo, exec_lo
	s_delay_alu instid0(SALU_CYCLE_1)
	s_or_b32 s12, s12, s14
	s_or_b32 exec_lo, exec_lo, s13
	s_and_saveexec_b32 s13, s12
	s_cbranch_execnz .LBB6_11678
	s_branch .LBB6_11679
.LBB6_12495:                            ;   in Loop: Header=BB6_11644 Depth=2
	s_or_saveexec_b32 s14, s14
	v_bfrev_b32_e32 v30, 1
	s_xor_b32 exec_lo, exec_lo, s14
	s_cbranch_execz .LBB6_11715
.LBB6_12496:                            ;   in Loop: Header=BB6_11644 Depth=2
	v_cmp_ne_u16_e32 vcc_lo, 0, v24
	v_mov_b32_e32 v30, 0
	s_and_not1_b32 s13, s13, exec_lo
	s_and_b32 s45, vcc_lo, exec_lo
	s_delay_alu instid0(SALU_CYCLE_1)
	s_or_b32 s13, s13, s45
	s_or_b32 exec_lo, exec_lo, s14
	s_and_saveexec_b32 s14, s13
	s_cbranch_execnz .LBB6_11716
	s_branch .LBB6_11717
.LBB6_12497:                            ;   in Loop: Header=BB6_11644 Depth=2
	s_or_saveexec_b32 s13, s13
	v_bfrev_b32_e32 v0, 1
	s_xor_b32 exec_lo, exec_lo, s13
	s_cbranch_execz .LBB6_11733
.LBB6_12498:                            ;   in Loop: Header=BB6_11644 Depth=2
	v_cmp_ne_u16_e32 vcc_lo, 0, v24
	v_mov_b32_e32 v0, 0
	s_and_not1_b32 s12, s12, exec_lo
	s_and_b32 s14, vcc_lo, exec_lo
	s_delay_alu instid0(SALU_CYCLE_1)
	s_or_b32 s12, s12, s14
	s_or_b32 exec_lo, exec_lo, s13
	s_and_saveexec_b32 s13, s12
	s_cbranch_execnz .LBB6_11734
	s_branch .LBB6_11735
.LBB6_12499:                            ;   in Loop: Header=BB6_11644 Depth=2
	s_or_saveexec_b32 s14, s14
	v_bfrev_b32_e32 v31, 1
	s_xor_b32 exec_lo, exec_lo, s14
	s_cbranch_execz .LBB6_11771
.LBB6_12500:                            ;   in Loop: Header=BB6_11644 Depth=2
	v_cmp_ne_u16_e32 vcc_lo, 0, v32
	v_mov_b32_e32 v31, 0
	s_and_not1_b32 s13, s13, exec_lo
	s_and_b32 s45, vcc_lo, exec_lo
	s_delay_alu instid0(SALU_CYCLE_1)
	s_or_b32 s13, s13, s45
	s_or_b32 exec_lo, exec_lo, s14
	s_and_saveexec_b32 s14, s13
	s_cbranch_execnz .LBB6_11772
	s_branch .LBB6_11773
.LBB6_12501:                            ;   in Loop: Header=BB6_11644 Depth=2
	s_or_saveexec_b32 s13, s13
	v_bfrev_b32_e32 v0, 1
	s_xor_b32 exec_lo, exec_lo, s13
	s_cbranch_execz .LBB6_11789
.LBB6_12502:                            ;   in Loop: Header=BB6_11644 Depth=2
	v_cmp_ne_u16_e32 vcc_lo, 0, v28
	v_mov_b32_e32 v0, 0
	s_and_not1_b32 s12, s12, exec_lo
	s_and_b32 s14, vcc_lo, exec_lo
	s_delay_alu instid0(SALU_CYCLE_1)
	s_or_b32 s12, s12, s14
	s_or_b32 exec_lo, exec_lo, s13
	s_and_saveexec_b32 s13, s12
	s_cbranch_execnz .LBB6_11790
	s_branch .LBB6_11791
.LBB6_12503:                            ;   in Loop: Header=BB6_11644 Depth=2
	s_or_saveexec_b32 s14, s14
	v_bfrev_b32_e32 v35, 1
	s_xor_b32 exec_lo, exec_lo, s14
	s_cbranch_execz .LBB6_11871
.LBB6_12504:                            ;   in Loop: Header=BB6_11644 Depth=2
	v_cmp_ne_u16_e32 vcc_lo, 0, v36
	v_mov_b32_e32 v35, 0
	s_and_not1_b32 s13, s13, exec_lo
	s_and_b32 s45, vcc_lo, exec_lo
	s_delay_alu instid0(SALU_CYCLE_1)
	s_or_b32 s13, s13, s45
	s_or_b32 exec_lo, exec_lo, s14
	s_and_saveexec_b32 s14, s13
	s_cbranch_execnz .LBB6_11872
	s_branch .LBB6_11873
.LBB6_12505:                            ;   in Loop: Header=BB6_11644 Depth=2
	s_or_saveexec_b32 s13, s13
	v_bfrev_b32_e32 v1, 1
	s_xor_b32 exec_lo, exec_lo, s13
	s_cbranch_execz .LBB6_11889
.LBB6_12506:                            ;   in Loop: Header=BB6_11644 Depth=2
	v_cmp_ne_u16_e32 vcc_lo, 0, v32
	v_mov_b32_e32 v1, 0
	s_and_not1_b32 s12, s12, exec_lo
	s_and_b32 s14, vcc_lo, exec_lo
	s_delay_alu instid0(SALU_CYCLE_1)
	s_or_b32 s12, s12, s14
	s_or_b32 exec_lo, exec_lo, s13
	s_and_saveexec_b32 s13, s12
	s_cbranch_execnz .LBB6_11890
	s_branch .LBB6_11891
.LBB6_12507:                            ;   in Loop: Header=BB6_11644 Depth=2
	s_or_saveexec_b32 s14, s14
	v_bfrev_b32_e32 v35, 1
	s_xor_b32 exec_lo, exec_lo, s14
	s_cbranch_execz .LBB6_11927
.LBB6_12508:                            ;   in Loop: Header=BB6_11644 Depth=2
	v_cmp_ne_u16_e32 vcc_lo, 0, v4
	v_mov_b32_e32 v35, 0
	s_and_not1_b32 s13, s13, exec_lo
	s_and_b32 s45, vcc_lo, exec_lo
	s_delay_alu instid0(SALU_CYCLE_1)
	s_or_b32 s13, s13, s45
	s_or_b32 exec_lo, exec_lo, s14
	s_and_saveexec_b32 s14, s13
	s_cbranch_execnz .LBB6_11928
	s_branch .LBB6_11929
.LBB6_12509:                            ;   in Loop: Header=BB6_11644 Depth=2
	s_or_saveexec_b32 s13, s13
	v_bfrev_b32_e32 v0, 1
	s_xor_b32 exec_lo, exec_lo, s13
	s_cbranch_execz .LBB6_11945
.LBB6_12510:                            ;   in Loop: Header=BB6_11644 Depth=2
	v_cmp_ne_u16_e32 vcc_lo, 0, v4
	v_mov_b32_e32 v0, 0
	s_and_not1_b32 s12, s12, exec_lo
	s_and_b32 s14, vcc_lo, exec_lo
	s_delay_alu instid0(SALU_CYCLE_1)
	s_or_b32 s12, s12, s14
	s_or_b32 exec_lo, exec_lo, s13
	s_and_saveexec_b32 s13, s12
	s_cbranch_execnz .LBB6_11946
	s_branch .LBB6_11947
.LBB6_12511:                            ;   in Loop: Header=BB6_11644 Depth=2
	s_or_saveexec_b32 s14, s14
	v_bfrev_b32_e32 v35, 1
	s_xor_b32 exec_lo, exec_lo, s14
	s_cbranch_execz .LBB6_11983
.LBB6_12512:                            ;   in Loop: Header=BB6_11644 Depth=2
	v_cmp_ne_u16_e32 vcc_lo, 0, v36
	v_mov_b32_e32 v35, 0
	s_and_not1_b32 s13, s13, exec_lo
	s_and_b32 s45, vcc_lo, exec_lo
	s_delay_alu instid0(SALU_CYCLE_1)
	s_or_b32 s13, s13, s45
	s_or_b32 exec_lo, exec_lo, s14
	s_and_saveexec_b32 s14, s13
	s_cbranch_execnz .LBB6_11984
	s_branch .LBB6_11985
.LBB6_12513:                            ;   in Loop: Header=BB6_11644 Depth=2
	s_or_saveexec_b32 s13, s13
	v_bfrev_b32_e32 v0, 1
	s_xor_b32 exec_lo, exec_lo, s13
	s_cbranch_execz .LBB6_12001
.LBB6_12514:                            ;   in Loop: Header=BB6_11644 Depth=2
	v_cmp_ne_u16_e32 vcc_lo, 0, v32
	v_mov_b32_e32 v0, 0
	s_and_not1_b32 s12, s12, exec_lo
	s_and_b32 s14, vcc_lo, exec_lo
	s_delay_alu instid0(SALU_CYCLE_1)
	s_or_b32 s12, s12, s14
	s_or_b32 exec_lo, exec_lo, s13
	s_and_saveexec_b32 s13, s12
	s_cbranch_execnz .LBB6_12002
	s_branch .LBB6_12003
.LBB6_12515:                            ;   in Loop: Header=BB6_11644 Depth=2
	s_or_saveexec_b32 s14, s14
	v_bfrev_b32_e32 v24, 1
	s_xor_b32 exec_lo, exec_lo, s14
	s_cbranch_execz .LBB6_12083
.LBB6_12516:                            ;   in Loop: Header=BB6_11644 Depth=2
	v_cmp_ne_u16_e32 vcc_lo, 0, v33
	v_mov_b32_e32 v24, 0
	s_and_not1_b32 s13, s13, exec_lo
	s_and_b32 s45, vcc_lo, exec_lo
	s_delay_alu instid0(SALU_CYCLE_1)
	s_or_b32 s13, s13, s45
	s_or_b32 exec_lo, exec_lo, s14
	s_and_saveexec_b32 s14, s13
	s_cbranch_execnz .LBB6_12084
	s_branch .LBB6_12085
.LBB6_12517:                            ;   in Loop: Header=BB6_11644 Depth=2
	s_or_saveexec_b32 s13, s13
	v_bfrev_b32_e32 v11, 1
	s_xor_b32 exec_lo, exec_lo, s13
	s_cbranch_execz .LBB6_12101
.LBB6_12518:                            ;   in Loop: Header=BB6_11644 Depth=2
	v_cmp_ne_u16_e32 vcc_lo, 0, v14
	v_mov_b32_e32 v11, 0
	s_and_not1_b32 s12, s12, exec_lo
	s_and_b32 s14, vcc_lo, exec_lo
	s_delay_alu instid0(SALU_CYCLE_1)
	s_or_b32 s12, s12, s14
	s_or_b32 exec_lo, exec_lo, s13
	s_and_saveexec_b32 s13, s12
	s_cbranch_execnz .LBB6_12102
	s_branch .LBB6_12103
.LBB6_12519:                            ;   in Loop: Header=BB6_11644 Depth=2
	s_or_saveexec_b32 s14, s14
	v_bfrev_b32_e32 v34, 1
	s_xor_b32 exec_lo, exec_lo, s14
	s_cbranch_execz .LBB6_12139
.LBB6_12520:                            ;   in Loop: Header=BB6_11644 Depth=2
	v_cmp_ne_u16_e32 vcc_lo, 0, v24
	v_mov_b32_e32 v34, 0
	s_and_not1_b32 s13, s13, exec_lo
	s_and_b32 s45, vcc_lo, exec_lo
	s_delay_alu instid0(SALU_CYCLE_1)
	s_or_b32 s13, s13, s45
	s_or_b32 exec_lo, exec_lo, s14
	s_and_saveexec_b32 s14, s13
	s_cbranch_execnz .LBB6_12140
	s_branch .LBB6_12141
.LBB6_12521:                            ;   in Loop: Header=BB6_11644 Depth=2
	s_or_saveexec_b32 s13, s13
	v_bfrev_b32_e32 v0, 1
	s_xor_b32 exec_lo, exec_lo, s13
	s_cbranch_execz .LBB6_12157
.LBB6_12522:                            ;   in Loop: Header=BB6_11644 Depth=2
	v_cmp_ne_u16_e32 vcc_lo, 0, v24
	v_mov_b32_e32 v0, 0
	s_and_not1_b32 s12, s12, exec_lo
	s_and_b32 s14, vcc_lo, exec_lo
	s_delay_alu instid0(SALU_CYCLE_1)
	s_or_b32 s12, s12, s14
	s_or_b32 exec_lo, exec_lo, s13
	s_and_saveexec_b32 s13, s12
	s_cbranch_execnz .LBB6_12158
	s_branch .LBB6_12159
.LBB6_12523:                            ;   in Loop: Header=BB6_11644 Depth=2
	s_or_saveexec_b32 s14, s14
	v_bfrev_b32_e32 v35, 1
	s_xor_b32 exec_lo, exec_lo, s14
	s_cbranch_execz .LBB6_12195
.LBB6_12524:                            ;   in Loop: Header=BB6_11644 Depth=2
	v_cmp_ne_u16_e32 vcc_lo, 0, v36
	v_mov_b32_e32 v35, 0
	s_and_not1_b32 s13, s13, exec_lo
	s_and_b32 s45, vcc_lo, exec_lo
	s_delay_alu instid0(SALU_CYCLE_1)
	s_or_b32 s13, s13, s45
	s_or_b32 exec_lo, exec_lo, s14
	s_and_saveexec_b32 s14, s13
	s_cbranch_execnz .LBB6_12196
	s_branch .LBB6_12197
.LBB6_12525:                            ;   in Loop: Header=BB6_11644 Depth=2
	s_or_saveexec_b32 s13, s13
	v_bfrev_b32_e32 v0, 1
	s_xor_b32 exec_lo, exec_lo, s13
	s_cbranch_execz .LBB6_12213
.LBB6_12526:                            ;   in Loop: Header=BB6_11644 Depth=2
	v_cmp_ne_u16_e32 vcc_lo, 0, v24
	v_mov_b32_e32 v0, 0
	s_and_not1_b32 s12, s12, exec_lo
	s_and_b32 s14, vcc_lo, exec_lo
	s_delay_alu instid0(SALU_CYCLE_1)
	s_or_b32 s12, s12, s14
	s_or_b32 exec_lo, exec_lo, s13
	s_and_saveexec_b32 s13, s12
	s_cbranch_execnz .LBB6_12214
	s_branch .LBB6_12215
.LBB6_12527:                            ;   in Loop: Header=BB6_11644 Depth=2
	s_or_saveexec_b32 s14, s14
	v_bfrev_b32_e32 v38, 1
	s_xor_b32 exec_lo, exec_lo, s14
	s_cbranch_execz .LBB6_12295
.LBB6_12528:                            ;   in Loop: Header=BB6_11644 Depth=2
	v_cmp_ne_u16_e32 vcc_lo, 0, v39
	v_mov_b32_e32 v38, 0
	s_and_not1_b32 s13, s13, exec_lo
	s_and_b32 s45, vcc_lo, exec_lo
	s_delay_alu instid0(SALU_CYCLE_1)
	s_or_b32 s13, s13, s45
	s_or_b32 exec_lo, exec_lo, s14
	s_and_saveexec_b32 s14, s13
	s_cbranch_execnz .LBB6_12296
	s_branch .LBB6_12297
.LBB6_12529:                            ;   in Loop: Header=BB6_11644 Depth=2
	s_or_saveexec_b32 s13, s13
	v_bfrev_b32_e32 v35, 1
	s_xor_b32 exec_lo, exec_lo, s13
	s_cbranch_execz .LBB6_12313
.LBB6_12530:                            ;   in Loop: Header=BB6_11644 Depth=2
	v_cmp_ne_u16_e32 vcc_lo, 0, v36
	v_mov_b32_e32 v35, 0
	s_and_not1_b32 s12, s12, exec_lo
	s_and_b32 s14, vcc_lo, exec_lo
	s_delay_alu instid0(SALU_CYCLE_1)
	s_or_b32 s12, s12, s14
	s_or_b32 exec_lo, exec_lo, s13
	s_and_saveexec_b32 s13, s12
	s_cbranch_execnz .LBB6_12314
	s_branch .LBB6_12315
.LBB6_12531:                            ;   in Loop: Header=BB6_11644 Depth=2
	s_or_saveexec_b32 s14, s14
	v_bfrev_b32_e32 v39, 1
	s_xor_b32 exec_lo, exec_lo, s14
	s_cbranch_execz .LBB6_12351
.LBB6_12532:                            ;   in Loop: Header=BB6_11644 Depth=2
	v_cmp_ne_u16_e32 vcc_lo, 0, v4
	v_mov_b32_e32 v39, 0
	s_and_not1_b32 s13, s13, exec_lo
	s_and_b32 s45, vcc_lo, exec_lo
	s_delay_alu instid0(SALU_CYCLE_1)
	s_or_b32 s13, s13, s45
	s_or_b32 exec_lo, exec_lo, s14
	s_and_saveexec_b32 s14, s13
	s_cbranch_execnz .LBB6_12352
	s_branch .LBB6_12353
.LBB6_12533:                            ;   in Loop: Header=BB6_11644 Depth=2
	s_or_saveexec_b32 s13, s13
	v_bfrev_b32_e32 v6, 1
	s_xor_b32 exec_lo, exec_lo, s13
	s_cbranch_execz .LBB6_12369
.LBB6_12534:                            ;   in Loop: Header=BB6_11644 Depth=2
	v_cmp_ne_u16_e32 vcc_lo, 0, v4
	v_mov_b32_e32 v6, 0
	s_and_not1_b32 s12, s12, exec_lo
	s_and_b32 s14, vcc_lo, exec_lo
	s_delay_alu instid0(SALU_CYCLE_1)
	s_or_b32 s12, s12, s14
	s_or_b32 exec_lo, exec_lo, s13
	s_and_saveexec_b32 s13, s12
	s_cbranch_execnz .LBB6_12370
	s_branch .LBB6_12371
.LBB6_12535:                            ;   in Loop: Header=BB6_11644 Depth=2
	s_or_saveexec_b32 s14, s14
	v_bfrev_b32_e32 v39, 1
	s_xor_b32 exec_lo, exec_lo, s14
	s_cbranch_execz .LBB6_12407
.LBB6_12536:                            ;   in Loop: Header=BB6_11644 Depth=2
	v_cmp_ne_u16_e32 vcc_lo, 0, v48
	v_mov_b32_e32 v39, 0
	s_and_not1_b32 s13, s13, exec_lo
	s_and_b32 s45, vcc_lo, exec_lo
	s_delay_alu instid0(SALU_CYCLE_1)
	s_or_b32 s13, s13, s45
	s_or_b32 exec_lo, exec_lo, s14
	s_and_saveexec_b32 s14, s13
	s_cbranch_execnz .LBB6_12408
	s_branch .LBB6_12409
.LBB6_12537:                            ;   in Loop: Header=BB6_11644 Depth=2
	s_or_saveexec_b32 s13, s13
	v_bfrev_b32_e32 v0, 1
	s_xor_b32 exec_lo, exec_lo, s13
	s_cbranch_execz .LBB6_12425
.LBB6_12538:                            ;   in Loop: Header=BB6_11644 Depth=2
	v_cmp_ne_u16_e32 vcc_lo, 0, v36
	v_mov_b32_e32 v0, 0
	s_and_not1_b32 s12, s12, exec_lo
	s_and_b32 s14, vcc_lo, exec_lo
	s_delay_alu instid0(SALU_CYCLE_1)
	s_or_b32 s12, s12, s14
	s_or_b32 exec_lo, exec_lo, s13
	s_and_saveexec_b32 s13, s12
	s_cbranch_execnz .LBB6_12426
	s_branch .LBB6_12427
.LBB6_12539:                            ;   in Loop: Header=BB6_7467 Depth=1
	s_or_b32 exec_lo, exec_lo, s43
.LBB6_12540:                            ;   in Loop: Header=BB6_7467 Depth=1
	s_delay_alu instid0(SALU_CYCLE_1)
	s_or_b32 exec_lo, exec_lo, s42
	scratch_load_b64 v[2:3], off, s33 offset:212 ; 8-byte Folded Reload
	v_cmp_lt_i32_e32 vcc_lo, 0, v22
	v_and_b32_e32 v0, 15, v104
	v_and_b32_e32 v1, 0x1f0, v104
	s_wait_loadcnt 0x0
	s_delay_alu instid0(VALU_DEP_2) | instskip(NEXT) | instid1(VALU_DEP_2)
	v_dual_cndmask_b32 v2, 0, v2, vcc_lo :: v_dual_cndmask_b32 v3, v9, v0, s7
	v_cndmask_b32_e64 v0, 0, v1, s7
	s_delay_alu instid0(VALU_DEP_2) | instskip(NEXT) | instid1(VALU_DEP_3)
	v_dual_mov_b32 v40, 0x7f800000 :: v_dual_sub_nc_u32 v1, v2, v22
	v_cmp_ne_u32_e32 vcc_lo, 0, v3
	s_delay_alu instid0(VALU_DEP_3) | instskip(NEXT) | instid1(VALU_DEP_3)
	v_and_or_b32 v9, 0x3ffffe00, v104, v0
	v_lshl_add_u32 v4, v1, 5, v8
	s_and_b32 s7, vcc_lo, exec_lo
.LBB6_12541:                            ;   in Loop: Header=BB6_7467 Depth=1
	s_wait_xcnt 0x0
	s_or_b32 exec_lo, exec_lo, s41
	s_and_saveexec_b32 s12, s7
	s_cbranch_execz .LBB6_14794
.LBB6_12542:                            ;   in Loop: Header=BB6_7467 Depth=1
	v_dual_ashrrev_i32 v0, 31, v4 :: v_dual_lshrrev_b32 v1, 10, v3
	s_mov_b32 s11, exec_lo
	s_delay_alu instid0(VALU_DEP_1) | instskip(NEXT) | instid1(VALU_DEP_1)
	v_lshrrev_b32_e32 v0, 27, v0
	v_add_nc_u32_e32 v0, v4, v0
	s_delay_alu instid0(VALU_DEP_1) | instskip(NEXT) | instid1(VALU_DEP_1)
	v_ashrrev_i32_e32 v5, 5, v0
	v_sub_nc_u32_e32 v126, v1, v5
	s_delay_alu instid0(VALU_DEP_1)
	v_cmpx_lt_i32_e32 0, v126
	s_cbranch_execz .LBB6_14722
; %bb.12543:                            ;   in Loop: Header=BB6_7467 Depth=1
	s_clause 0x6
	scratch_store_b32 off, v3, s33 offset:408
	scratch_store_b32 off, v104, s33 offset:400
	;; [unrolled: 1-line block ×3, first 2 shown]
	scratch_store_b64 off, v[94:95], s33 offset:384
	scratch_store_b64 off, v[90:91], s33 offset:376
	scratch_store_b128 off, v[60:63], s33 offset:284
	scratch_store_b32 off, v58, s33 offset:344
	v_and_b32_e32 v2, 0xffffffe0, v0
	s_trap 2
	ds_load_b64 v[0:1], v0
	s_wait_xcnt 0x6
	v_lshlrev_b32_e32 v3, 10, v5
	s_clause 0x2
	scratch_store_b32 off, v5, s33 offset:416
	scratch_store_b32 off, v4, s33 offset:412
	;; [unrolled: 1-line block ×3, first 2 shown]
	v_sub_nc_u32_e32 v2, v4, v2
	s_wait_xcnt 0x1
	v_add_nc_u64_e32 v[4:5], 0x3e0, v[92:93]
	s_bitcmp1_b32 s40, 0
	s_mov_b32 s13, 0
	s_cselect_b32 s14, -1, 0
	v_add3_u32 v2, v9, v2, v3
	s_delay_alu instid0(VALU_DEP_1) | instskip(NEXT) | instid1(VALU_DEP_1)
	v_ashrrev_i32_e32 v3, 31, v2
	v_add_nc_u64_e32 v[10:11], v[2:3], v[118:119]
	s_wait_dscnt 0x0
	v_add_nc_u64_e32 v[12:13], v[0:1], v[2:3]
	v_add_nc_u64_e32 v[14:15], v[4:5], v[2:3]
	s_branch .LBB6_12546
.LBB6_12544:                            ;   in Loop: Header=BB6_12546 Depth=2
	s_or_b32 exec_lo, exec_lo, s10
.LBB6_12545:                            ;   in Loop: Header=BB6_12546 Depth=2
	s_delay_alu instid0(SALU_CYCLE_1)
	s_or_b32 exec_lo, exec_lo, s7
	s_clause 0x16
	flat_store_b8 v[14:15], v85 offset:-992 th:TH_STORE_NT
	flat_store_b8 v[14:15], v21 offset:-960 th:TH_STORE_NT
	;; [unrolled: 1-line block ×23, first 2 shown]
	s_wait_loadcnt 0x0
	flat_store_b8 v[14:15], v66 offset:-256 th:TH_STORE_NT
	scratch_load_b64 v[2:3], off, s33 offset:212 ; 8-byte Folded Reload
	s_clause 0x7
	flat_store_b8 v[14:15], v67 offset:-224 th:TH_STORE_NT
	flat_store_b8 v[14:15], v50 offset:-192 th:TH_STORE_NT
	;; [unrolled: 1-line block ×7, first 2 shown]
	flat_store_b8 v[14:15], v1 th:TH_STORE_NT
	scratch_load_b64 v[0:1], off, s33 offset:276 ; 8-byte Folded Reload
	s_wait_loadcnt 0x1
	v_sub_nc_u32_e32 v126, v126, v2
	s_wait_loadcnt 0x0
	v_add_nc_u64_e32 v[10:11], v[10:11], v[0:1]
	v_add_nc_u64_e32 v[12:13], v[12:13], v[0:1]
	;; [unrolled: 1-line block ×3, first 2 shown]
	v_cmp_gt_i32_e32 vcc_lo, 1, v126
	s_or_b32 s13, vcc_lo, s13
	s_wait_xcnt 0x0
	s_and_not1_b32 exec_lo, exec_lo, s13
	s_cbranch_execz .LBB6_14721
.LBB6_12546:                            ;   Parent Loop BB6_7467 Depth=1
                                        ; =>  This Inner Loop Header: Depth=2
	s_clause 0x19
	flat_load_u8 v5, v[10:11] th:TH_LOAD_NT
	flat_load_i8 v28, v[10:11] offset:32 th:TH_LOAD_NT
	flat_load_i8 v80, v[10:11] offset:64 th:TH_LOAD_NT
	;; [unrolled: 1-line block ×25, first 2 shown]
	s_mov_b32 s10, -1
	s_and_b32 vcc_lo, exec_lo, s14
                                        ; implicit-def: $vgpr3
	s_wait_loadcnt_dscnt 0x1919
	v_bfe_i32 v24, v5, 0, 8
	v_cmp_ne_u16_e64 s7, 0, v5
	s_wait_loadcnt_dscnt 0x0
	scratch_store_b64 off, v[0:1], s33 offset:236 ; 8-byte Folded Spill
	flat_load_i8 v0, v[10:11] offset:832 th:TH_LOAD_NT
	s_wait_loadcnt_dscnt 0x0
	scratch_store_b64 off, v[0:1], s33 offset:244 ; 8-byte Folded Spill
	s_clause 0x1
	flat_load_i8 v118, v[10:11] offset:864 th:TH_LOAD_NT
	flat_load_i8 v0, v[10:11] offset:896 th:TH_LOAD_NT
	s_wait_loadcnt_dscnt 0x0
	scratch_store_b64 off, v[0:1], s33 offset:252 ; 8-byte Folded Spill
	s_clause 0x2
	flat_load_i8 v36, v[10:11] offset:928 th:TH_LOAD_NT
	flat_load_i8 v32, v[10:11] offset:960 th:TH_LOAD_NT
	;; [unrolled: 1-line block ×3, first 2 shown]
	s_clause 0x14
	flat_load_i8 v84, v[12:13] th:TH_LOAD_NT
	flat_load_i8 v20, v[12:13] offset:32 th:TH_LOAD_NT
	flat_load_i8 v16, v[12:13] offset:64 th:TH_LOAD_NT
	;; [unrolled: 1-line block ×20, first 2 shown]
	v_and_b32_e32 v1, 0xffff, v5
	s_wait_loadcnt_dscnt 0x0
	scratch_store_b64 off, v[18:19], s33 offset:260 ; 8-byte Folded Spill
	flat_load_i8 v18, v[12:13] offset:672 th:TH_LOAD_NT
	s_wait_loadcnt_dscnt 0x0
	scratch_store_b64 off, v[18:19], s33 offset:228 ; 8-byte Folded Spill
	s_clause 0x1
	flat_load_i8 v62, v[12:13] offset:704 th:TH_LOAD_NT
	flat_load_i8 v18, v[12:13] offset:736 th:TH_LOAD_NT
	s_wait_loadcnt_dscnt 0x0
	scratch_store_b64 off, v[18:19], s33 offset:220 ; 8-byte Folded Spill
	s_clause 0x7
	flat_load_i8 v42, v[12:13] offset:768 th:TH_LOAD_NT
	flat_load_i8 v60, v[12:13] offset:800 th:TH_LOAD_NT
	;; [unrolled: 1-line block ×8, first 2 shown]
	s_cbranch_vccz .LBB6_12568
; %bb.12547:                            ;   in Loop: Header=BB6_12546 Depth=2
	v_dual_mov_b32 v5, 0 :: v_dual_mov_b32 v3, 0
	s_wait_xcnt 0x0
	s_and_saveexec_b32 s41, s7
	s_cbranch_execz .LBB6_12557
; %bb.12548:                            ;   in Loop: Header=BB6_12546 Depth=2
	v_bfrev_b32_e32 v3, 1
	s_mov_b32 s42, exec_lo
	v_cmpx_ne_u16_e32 0xff80, v24
	s_cbranch_execz .LBB6_12556
; %bb.12549:                            ;   in Loop: Header=BB6_12546 Depth=2
	v_and_b32_e32 v3, 0x7c, v1
	v_and_b32_e32 v7, 3, v1
	s_delay_alu instid0(VALU_DEP_2) | instskip(SKIP_1) | instid1(SALU_CYCLE_1)
	v_cmp_ne_u32_e32 vcc_lo, 0x7c, v3
                                        ; implicit-def: $vgpr3
	s_and_saveexec_b32 s10, vcc_lo
	s_xor_b32 s10, exec_lo, s10
	s_cbranch_execz .LBB6_12553
; %bb.12550:                            ;   in Loop: Header=BB6_12546 Depth=2
	v_bfe_u32 v3, v1, 2, 5
	s_mov_b32 s43, exec_lo
	s_delay_alu instid0(VALU_DEP_1)
	v_cmpx_eq_u32_e32 0, v3
; %bb.12551:                            ;   in Loop: Header=BB6_12546 Depth=2
	v_clz_i32_u32_e32 v3, v7
	s_delay_alu instid0(VALU_DEP_1) | instskip(NEXT) | instid1(VALU_DEP_1)
	v_min_u32_e32 v3, 32, v3
	v_subrev_nc_u32_e32 v7, 29, v3
	s_delay_alu instid0(VALU_DEP_1) | instskip(NEXT) | instid1(VALU_DEP_1)
	v_lshlrev_b64_e32 v[18:19], v7, v[24:25]
	v_dual_sub_nc_u32 v3, 30, v3 :: v_dual_bitop2_b32 v7, 3, v18 bitop3:0x40
; %bb.12552:                            ;   in Loop: Header=BB6_12546 Depth=2
	s_or_b32 exec_lo, exec_lo, s43
	v_bfe_i32 v9, v24, 0, 16
	s_delay_alu instid0(VALU_DEP_1) | instskip(NEXT) | instid1(VALU_DEP_1)
	v_and_b32_e32 v9, 0x80000000, v9
	v_lshl_add_u32 v3, v3, 23, v9
	s_delay_alu instid0(VALU_DEP_1) | instskip(NEXT) | instid1(VALU_DEP_1)
	v_lshl_or_b32 v3, v7, 21, v3
                                        ; implicit-def: $vgpr7
	v_add_nc_u32_e32 v3, 0x38000000, v3
.LBB6_12553:                            ;   in Loop: Header=BB6_12546 Depth=2
	s_and_not1_saveexec_b32 s43, s10
; %bb.12554:                            ;   in Loop: Header=BB6_12546 Depth=2
	v_cmp_lt_i16_e64 s10, -1, v24
	v_cmp_eq_u32_e32 vcc_lo, 0, v7
	s_delay_alu instid0(VALU_DEP_2) | instskip(NEXT) | instid1(VALU_DEP_1)
	v_cndmask_b32_e64 v3, 0xff800000, v40, s10
	v_cndmask_b32_e32 v3, 0x7f800001, v3, vcc_lo
; %bb.12555:                            ;   in Loop: Header=BB6_12546 Depth=2
	s_or_b32 exec_lo, exec_lo, s43
.LBB6_12556:                            ;   in Loop: Header=BB6_12546 Depth=2
	s_delay_alu instid0(SALU_CYCLE_1)
	s_or_b32 exec_lo, exec_lo, s42
.LBB6_12557:                            ;   in Loop: Header=BB6_12546 Depth=2
	s_delay_alu instid0(SALU_CYCLE_1) | instskip(NEXT) | instid1(SALU_CYCLE_1)
	s_or_b32 exec_lo, exec_lo, s41
	s_mov_b32 s41, exec_lo
	v_cmpx_ne_u16_e32 0, v84
	s_cbranch_execz .LBB6_12567
; %bb.12558:                            ;   in Loop: Header=BB6_12546 Depth=2
	v_bfrev_b32_e32 v5, 1
	s_mov_b32 s42, exec_lo
	v_cmpx_ne_u16_e32 0xff80, v84
	s_cbranch_execz .LBB6_12566
; %bb.12559:                            ;   in Loop: Header=BB6_12546 Depth=2
	v_and_b32_e32 v5, 0x7c, v84
	v_and_b32_e32 v7, 3, v84
	s_delay_alu instid0(VALU_DEP_2) | instskip(SKIP_1) | instid1(SALU_CYCLE_1)
	v_cmp_ne_u32_e32 vcc_lo, 0x7c, v5
                                        ; implicit-def: $vgpr5
	s_and_saveexec_b32 s10, vcc_lo
	s_xor_b32 s10, exec_lo, s10
	s_cbranch_execz .LBB6_12563
; %bb.12560:                            ;   in Loop: Header=BB6_12546 Depth=2
	v_and_b32_e32 v5, 0xff, v84
	s_mov_b32 s43, exec_lo
	s_delay_alu instid0(VALU_DEP_1) | instskip(NEXT) | instid1(VALU_DEP_1)
	v_bfe_u32 v5, v5, 2, 5
	v_cmpx_eq_u32_e32 0, v5
	s_cbranch_execz .LBB6_12562
; %bb.12561:                            ;   in Loop: Header=BB6_12546 Depth=2
	v_clz_i32_u32_e32 v5, v7
	s_delay_alu instid0(VALU_DEP_1) | instskip(SKIP_1) | instid1(VALU_DEP_2)
	v_min_u32_e32 v5, 32, v5
	v_mov_b32_e32 v85, v25
	v_subrev_nc_u32_e32 v7, 29, v5
	v_sub_nc_u32_e32 v5, 30, v5
	s_delay_alu instid0(VALU_DEP_2) | instskip(NEXT) | instid1(VALU_DEP_1)
	v_lshlrev_b64_e32 v[18:19], v7, v[84:85]
	v_and_b32_e32 v7, 3, v18
.LBB6_12562:                            ;   in Loop: Header=BB6_12546 Depth=2
	s_or_b32 exec_lo, exec_lo, s43
	v_bfe_i32 v9, v84, 0, 16
	s_delay_alu instid0(VALU_DEP_1) | instskip(NEXT) | instid1(VALU_DEP_1)
	v_and_b32_e32 v9, 0x80000000, v9
	v_lshl_add_u32 v5, v5, 23, v9
	s_delay_alu instid0(VALU_DEP_1) | instskip(NEXT) | instid1(VALU_DEP_1)
	v_lshl_or_b32 v5, v7, 21, v5
                                        ; implicit-def: $vgpr7
	v_add_nc_u32_e32 v5, 0x38000000, v5
.LBB6_12563:                            ;   in Loop: Header=BB6_12546 Depth=2
	s_and_not1_saveexec_b32 s43, s10
; %bb.12564:                            ;   in Loop: Header=BB6_12546 Depth=2
	v_cmp_lt_i16_e64 s10, -1, v84
	v_cmp_eq_u32_e32 vcc_lo, 0, v7
	s_delay_alu instid0(VALU_DEP_2) | instskip(NEXT) | instid1(VALU_DEP_1)
	v_cndmask_b32_e64 v5, 0xff800000, v40, s10
	v_cndmask_b32_e32 v5, 0x7f800001, v5, vcc_lo
; %bb.12565:                            ;   in Loop: Header=BB6_12546 Depth=2
	s_or_b32 exec_lo, exec_lo, s43
.LBB6_12566:                            ;   in Loop: Header=BB6_12546 Depth=2
	s_delay_alu instid0(SALU_CYCLE_1)
	s_or_b32 exec_lo, exec_lo, s42
.LBB6_12567:                            ;   in Loop: Header=BB6_12546 Depth=2
	s_delay_alu instid0(SALU_CYCLE_1) | instskip(NEXT) | instid1(VALU_DEP_1)
	s_or_b32 exec_lo, exec_lo, s41
	v_dual_max_num_f32 v5, v5, v5 :: v_dual_max_num_f32 v3, v3, v3
	s_mov_b32 s10, 0
	s_delay_alu instid0(VALU_DEP_1)
	v_max_num_f32_e32 v3, v3, v5
.LBB6_12568:                            ;   in Loop: Header=BB6_12546 Depth=2
	s_and_b32 vcc_lo, exec_lo, s10
	s_cbranch_vccz .LBB6_12590
; %bb.12569:                            ;   in Loop: Header=BB6_12546 Depth=2
	v_dual_mov_b32 v3, 0 :: v_dual_mov_b32 v5, 0
	s_wait_xcnt 0x0
	s_and_saveexec_b32 s10, s7
	s_cbranch_execz .LBB6_12579
; %bb.12570:                            ;   in Loop: Header=BB6_12546 Depth=2
	v_bfrev_b32_e32 v5, 1
	s_mov_b32 s41, exec_lo
	v_cmpx_ne_u16_e32 0xff80, v24
	s_cbranch_execz .LBB6_12578
; %bb.12571:                            ;   in Loop: Header=BB6_12546 Depth=2
	v_and_b32_e32 v5, 0x7c, v1
	v_and_b32_e32 v7, 3, v1
	s_delay_alu instid0(VALU_DEP_2) | instskip(SKIP_1) | instid1(SALU_CYCLE_1)
	v_cmp_ne_u32_e32 vcc_lo, 0x7c, v5
                                        ; implicit-def: $vgpr5
	s_and_saveexec_b32 s7, vcc_lo
	s_xor_b32 s7, exec_lo, s7
	s_cbranch_execz .LBB6_12575
; %bb.12572:                            ;   in Loop: Header=BB6_12546 Depth=2
	v_bfe_u32 v1, v1, 2, 5
	s_mov_b32 s42, exec_lo
	s_delay_alu instid0(VALU_DEP_1)
	v_cmpx_eq_u32_e32 0, v1
; %bb.12573:                            ;   in Loop: Header=BB6_12546 Depth=2
	v_clz_i32_u32_e32 v1, v7
	s_delay_alu instid0(VALU_DEP_1) | instskip(NEXT) | instid1(VALU_DEP_1)
	v_min_u32_e32 v1, 32, v1
	v_subrev_nc_u32_e32 v5, 29, v1
	s_delay_alu instid0(VALU_DEP_1) | instskip(NEXT) | instid1(VALU_DEP_1)
	v_lshlrev_b64_e32 v[18:19], v5, v[24:25]
	v_dual_sub_nc_u32 v1, 30, v1 :: v_dual_bitop2_b32 v7, 3, v18 bitop3:0x40
; %bb.12574:                            ;   in Loop: Header=BB6_12546 Depth=2
	s_or_b32 exec_lo, exec_lo, s42
	v_bfe_i32 v5, v24, 0, 16
	s_delay_alu instid0(VALU_DEP_1) | instskip(NEXT) | instid1(VALU_DEP_1)
	v_and_b32_e32 v5, 0x80000000, v5
	v_lshl_add_u32 v1, v1, 23, v5
	s_delay_alu instid0(VALU_DEP_1) | instskip(NEXT) | instid1(VALU_DEP_1)
	v_lshl_or_b32 v1, v7, 21, v1
                                        ; implicit-def: $vgpr7
	v_add_nc_u32_e32 v5, 0x38000000, v1
.LBB6_12575:                            ;   in Loop: Header=BB6_12546 Depth=2
	s_and_not1_saveexec_b32 s42, s7
; %bb.12576:                            ;   in Loop: Header=BB6_12546 Depth=2
	v_cmp_lt_i16_e64 s7, -1, v24
	v_cmp_eq_u32_e32 vcc_lo, 0, v7
	s_delay_alu instid0(VALU_DEP_2) | instskip(NEXT) | instid1(VALU_DEP_1)
	v_cndmask_b32_e64 v1, 0xff800000, v40, s7
	v_cndmask_b32_e32 v5, 0x7f800001, v1, vcc_lo
; %bb.12577:                            ;   in Loop: Header=BB6_12546 Depth=2
	s_or_b32 exec_lo, exec_lo, s42
.LBB6_12578:                            ;   in Loop: Header=BB6_12546 Depth=2
	s_delay_alu instid0(SALU_CYCLE_1)
	s_or_b32 exec_lo, exec_lo, s41
.LBB6_12579:                            ;   in Loop: Header=BB6_12546 Depth=2
	s_delay_alu instid0(SALU_CYCLE_1) | instskip(NEXT) | instid1(SALU_CYCLE_1)
	s_or_b32 exec_lo, exec_lo, s10
	s_mov_b32 s7, exec_lo
	v_cmpx_ne_u16_e32 0, v84
	s_cbranch_execz .LBB6_12589
; %bb.12580:                            ;   in Loop: Header=BB6_12546 Depth=2
	v_bfrev_b32_e32 v3, 1
	s_mov_b32 s10, exec_lo
	v_cmpx_ne_u16_e32 0xff80, v84
	s_cbranch_execz .LBB6_12588
; %bb.12581:                            ;   in Loop: Header=BB6_12546 Depth=2
	v_and_b32_e32 v3, 0x7c, v84
	v_and_b32_e32 v1, 3, v84
	s_delay_alu instid0(VALU_DEP_2) | instskip(SKIP_1) | instid1(SALU_CYCLE_1)
	v_cmp_ne_u32_e32 vcc_lo, 0x7c, v3
                                        ; implicit-def: $vgpr3
	s_and_saveexec_b32 s41, vcc_lo
	s_xor_b32 s41, exec_lo, s41
	s_cbranch_execz .LBB6_12585
; %bb.12582:                            ;   in Loop: Header=BB6_12546 Depth=2
	v_and_b32_e32 v3, 0xff, v84
	s_mov_b32 s42, exec_lo
	s_delay_alu instid0(VALU_DEP_1) | instskip(NEXT) | instid1(VALU_DEP_1)
	v_bfe_u32 v3, v3, 2, 5
	v_cmpx_eq_u32_e32 0, v3
; %bb.12583:                            ;   in Loop: Header=BB6_12546 Depth=2
	v_clz_i32_u32_e32 v1, v1
	s_delay_alu instid0(VALU_DEP_1) | instskip(SKIP_1) | instid1(VALU_DEP_2)
	v_min_u32_e32 v1, 32, v1
	v_mov_b32_e32 v85, v25
	v_subrev_nc_u32_e32 v3, 29, v1
	s_delay_alu instid0(VALU_DEP_1) | instskip(NEXT) | instid1(VALU_DEP_1)
	v_lshlrev_b64_e32 v[18:19], v3, v[84:85]
	v_dual_sub_nc_u32 v3, 30, v1 :: v_dual_bitop2_b32 v1, 3, v18 bitop3:0x40
; %bb.12584:                            ;   in Loop: Header=BB6_12546 Depth=2
	s_or_b32 exec_lo, exec_lo, s42
	v_bfe_i32 v7, v84, 0, 16
                                        ; implicit-def: $vgpr84
	s_delay_alu instid0(VALU_DEP_1) | instskip(NEXT) | instid1(VALU_DEP_1)
	v_and_b32_e32 v7, 0x80000000, v7
	v_lshl_add_u32 v3, v3, 23, v7
	s_delay_alu instid0(VALU_DEP_1) | instskip(NEXT) | instid1(VALU_DEP_1)
	v_lshl_or_b32 v1, v1, 21, v3
	v_add_nc_u32_e32 v3, 0x38000000, v1
                                        ; implicit-def: $vgpr1
.LBB6_12585:                            ;   in Loop: Header=BB6_12546 Depth=2
	s_and_not1_saveexec_b32 s41, s41
; %bb.12586:                            ;   in Loop: Header=BB6_12546 Depth=2
	v_cmp_lt_i16_e32 vcc_lo, -1, v84
	v_cndmask_b32_e32 v3, 0xff800000, v40, vcc_lo
	v_cmp_eq_u32_e32 vcc_lo, 0, v1
	s_delay_alu instid0(VALU_DEP_2)
	v_cndmask_b32_e32 v3, 0x7f800001, v3, vcc_lo
; %bb.12587:                            ;   in Loop: Header=BB6_12546 Depth=2
	s_or_b32 exec_lo, exec_lo, s41
.LBB6_12588:                            ;   in Loop: Header=BB6_12546 Depth=2
	s_delay_alu instid0(SALU_CYCLE_1)
	s_or_b32 exec_lo, exec_lo, s10
.LBB6_12589:                            ;   in Loop: Header=BB6_12546 Depth=2
	s_delay_alu instid0(SALU_CYCLE_1) | instskip(NEXT) | instid1(VALU_DEP_1)
	s_or_b32 exec_lo, exec_lo, s7
	v_dual_max_num_f32 v1, v3, v3 :: v_dual_max_num_f32 v3, v5, v5
	s_delay_alu instid0(VALU_DEP_1)
	v_min_num_f32_e32 v3, v3, v1
.LBB6_12590:                            ;   in Loop: Header=BB6_12546 Depth=2
	s_wait_xcnt 0x8
	s_delay_alu instid0(VALU_DEP_1) | instskip(SKIP_4) | instid1(VALU_DEP_2)
	v_and_b32_e32 v18, 0x7f800000, v3
	v_mov_b32_e32 v19, v25
	v_and_b32_e32 v24, 0x7fffff, v3
                                        ; implicit-def: $vgpr85
	s_mov_b32 s7, exec_lo
	s_wait_xcnt 0x0
	v_cmpx_ne_u64_e32 0x7f800000, v[18:19]
	s_xor_b32 s10, exec_lo, s7
	s_cbranch_execz .LBB6_12608
; %bb.12591:                            ;   in Loop: Header=BB6_12546 Depth=2
	v_dual_mov_b32 v19, v25 :: v_dual_lshrrev_b32 v1, 24, v3
	v_and_b32_e32 v18, 0x7fffffff, v3
                                        ; implicit-def: $vgpr85
	s_mov_b32 s7, exec_lo
	s_delay_alu instid0(VALU_DEP_2) | instskip(NEXT) | instid1(VALU_DEP_2)
	v_and_b32_e32 v1, 0x80, v1
	v_cmpx_gt_u64_e32 0x47600001, v[18:19]
	s_xor_b32 s41, exec_lo, s7
	s_cbranch_execz .LBB6_12605
; %bb.12592:                            ;   in Loop: Header=BB6_12546 Depth=2
	v_mov_b32_e32 v85, 0
	s_mov_b32 s42, exec_lo
	v_cmpx_ne_u32_e32 0, v3
	s_cbranch_execz .LBB6_12604
; %bb.12593:                            ;   in Loop: Header=BB6_12546 Depth=2
	v_bfe_u32 v3, v3, 23, 8
	v_or_b32_e32 v7, 0x800000, v24
	s_delay_alu instid0(VALU_DEP_2) | instskip(SKIP_1) | instid1(VALU_DEP_3)
	v_cmp_eq_u32_e32 vcc_lo, 0, v3
	v_cmp_gt_u32_e64 s7, 0x72, v3
	v_dual_cndmask_b32 v24, v7, v24 :: v_dual_sub_nc_u32 v5, 0x71, v3
	s_delay_alu instid0(VALU_DEP_1) | instskip(NEXT) | instid1(VALU_DEP_1)
	v_cndmask_b32_e64 v5, 0, v5, s7
	v_cndmask_b32_e64 v5, v5, 0x70, vcc_lo
	s_delay_alu instid0(VALU_DEP_1) | instskip(NEXT) | instid1(VALU_DEP_1)
	v_add_nc_u32_e32 v7, 21, v5
	v_lshlrev_b64_e64 v[18:19], v7, -1
	v_add_nc_u32_e32 v7, 20, v5
	s_delay_alu instid0(VALU_DEP_1) | instskip(NEXT) | instid1(VALU_DEP_3)
	v_lshlrev_b64_e64 v[84:85], v7, 1
	v_bfi_b32 v19, v19, 0, 0
	s_delay_alu instid0(VALU_DEP_4) | instskip(NEXT) | instid1(VALU_DEP_1)
	v_bfi_b32 v18, v18, 0, v24
	v_cmp_eq_u64_e64 s7, v[18:19], v[84:85]
	v_lshrrev_b64 v[84:85], v5, v[24:25]
	s_delay_alu instid0(VALU_DEP_1)
	v_mov_b64_e32 v[18:19], v[84:85]
	s_and_saveexec_b32 s43, s7
; %bb.12594:                            ;   in Loop: Header=BB6_12546 Depth=2
	v_bfe_u32 v24, v84, 21, 1
	s_delay_alu instid0(VALU_DEP_1) | instskip(NEXT) | instid1(VALU_DEP_1)
	v_add_nc_u64_e32 v[18:19], v[84:85], v[24:25]
	v_add_nc_u64_e32 v[18:19], -1, v[18:19]
; %bb.12595:                            ;   in Loop: Header=BB6_12546 Depth=2
	s_or_b32 exec_lo, exec_lo, s43
	v_add_nc_u32_e32 v3, 0xffffff81, v3
	v_lshrrev_b32_e32 v7, 23, v84
	s_mov_b32 s7, exec_lo
	s_delay_alu instid0(VALU_DEP_2) | instskip(NEXT) | instid1(VALU_DEP_1)
	v_cndmask_b32_e64 v3, v3, 0xffffff82, vcc_lo
	v_add3_u32 v7, v5, v3, v7
	v_and_b32_e32 v3, 0x1fffff, v18
	s_delay_alu instid0(VALU_DEP_1) | instskip(NEXT) | instid1(VALU_DEP_1)
	v_dual_add_nc_u32 v5, 14, v7 :: v_dual_add_nc_u32 v24, v3, v84
                                        ; implicit-def: $vgpr84_vgpr85
                                        ; implicit-def: $vgpr3
	v_cmpx_ne_u32_e32 0, v5
	s_xor_b32 s7, exec_lo, s7
; %bb.12596:                            ;   in Loop: Header=BB6_12546 Depth=2
	s_delay_alu instid0(VALU_DEP_2) | instskip(SKIP_1) | instid1(VALU_DEP_1)
	v_cmp_lt_u64_e32 vcc_lo, 0xffffff, v[24:25]
	v_add_nc_u32_e32 v3, 15, v7
	v_cndmask_b32_e32 v3, v5, v3, vcc_lo
	v_cndmask_b32_e64 v5, 0, 1, vcc_lo
	s_delay_alu instid0(VALU_DEP_1)
	v_lshrrev_b64 v[84:85], v5, v[24:25]
; %bb.12597:                            ;   in Loop: Header=BB6_12546 Depth=2
	s_and_not1_saveexec_b32 s7, s7
; %bb.12598:                            ;   in Loop: Header=BB6_12546 Depth=2
	v_mov_b64_e32 v[84:85], v[24:25]
	v_bfe_u32 v3, v24, 23, 1
; %bb.12599:                            ;   in Loop: Header=BB6_12546 Depth=2
	s_or_b32 exec_lo, exec_lo, s7
	s_delay_alu instid0(VALU_DEP_2) | instskip(NEXT) | instid1(VALU_DEP_2)
	v_lshrrev_b64 v[18:19], 21, v[84:85]
	v_cmp_gt_i32_e32 vcc_lo, 32, v3
	v_cmp_ne_u32_e64 s7, 0, v3
	s_delay_alu instid0(VALU_DEP_3) | instskip(NEXT) | instid1(VALU_DEP_1)
	v_dual_cndmask_b32 v85, 0, v19 :: v_dual_cndmask_b32 v84, 3, v18
	v_cmp_ne_u64_e32 vcc_lo, 0, v[84:85]
                                        ; implicit-def: $vgpr85
	s_or_b32 s7, s7, vcc_lo
	s_delay_alu instid0(SALU_CYCLE_1) | instskip(NEXT) | instid1(SALU_CYCLE_1)
	s_and_saveexec_b32 s43, s7
	s_xor_b32 s7, exec_lo, s43
; %bb.12600:                            ;   in Loop: Header=BB6_12546 Depth=2
	v_min_i32_e32 v3, 31, v3
	s_delay_alu instid0(VALU_DEP_1) | instskip(NEXT) | instid1(VALU_DEP_1)
	v_lshl_or_b32 v1, v3, 2, v1
	v_and_or_b32 v85, v84, 3, v1
                                        ; implicit-def: $vgpr1
; %bb.12601:                            ;   in Loop: Header=BB6_12546 Depth=2
	s_and_not1_saveexec_b32 s7, s7
; %bb.12602:                            ;   in Loop: Header=BB6_12546 Depth=2
	v_mov_b32_e32 v85, v1
; %bb.12603:                            ;   in Loop: Header=BB6_12546 Depth=2
	s_or_b32 exec_lo, exec_lo, s7
.LBB6_12604:                            ;   in Loop: Header=BB6_12546 Depth=2
	s_delay_alu instid0(SALU_CYCLE_1)
	s_or_b32 exec_lo, exec_lo, s42
                                        ; implicit-def: $vgpr1
.LBB6_12605:                            ;   in Loop: Header=BB6_12546 Depth=2
	s_and_not1_saveexec_b32 s7, s41
; %bb.12606:                            ;   in Loop: Header=BB6_12546 Depth=2
	v_or_b32_e32 v85, 0x7b, v1
; %bb.12607:                            ;   in Loop: Header=BB6_12546 Depth=2
	s_or_b32 exec_lo, exec_lo, s7
                                        ; implicit-def: $vgpr3
.LBB6_12608:                            ;   in Loop: Header=BB6_12546 Depth=2
	s_and_not1_saveexec_b32 s7, s10
	s_cbranch_execz .LBB6_12614
; %bb.12609:                            ;   in Loop: Header=BB6_12546 Depth=2
	s_mov_b32 s10, exec_lo
                                        ; implicit-def: $vgpr85
	v_cmpx_ne_u64_e32 0, v[24:25]
	s_xor_b32 s10, exec_lo, s10
; %bb.12610:                            ;   in Loop: Header=BB6_12546 Depth=2
	v_lshrrev_b32_e32 v1, 24, v3
                                        ; implicit-def: $vgpr3
	s_delay_alu instid0(VALU_DEP_1)
	v_or_b32_e32 v85, 0x7f, v1
; %bb.12611:                            ;   in Loop: Header=BB6_12546 Depth=2
	s_and_not1_saveexec_b32 s10, s10
; %bb.12612:                            ;   in Loop: Header=BB6_12546 Depth=2
	v_cmp_lt_i32_e32 vcc_lo, -1, v3
	v_cndmask_b32_e64 v85, -4, 0x7c, vcc_lo
; %bb.12613:                            ;   in Loop: Header=BB6_12546 Depth=2
	s_or_b32 exec_lo, exec_lo, s10
.LBB6_12614:                            ;   in Loop: Header=BB6_12546 Depth=2
	s_delay_alu instid0(SALU_CYCLE_1)
	s_or_b32 exec_lo, exec_lo, s7
	v_and_b32_e32 v1, 0xff, v28
	v_cmp_ne_u16_e64 s7, 0, v28
	s_mov_b32 s10, -1
	s_and_not1_b32 vcc_lo, exec_lo, s14
                                        ; implicit-def: $vgpr3
	s_cbranch_vccnz .LBB6_12636
; %bb.12615:                            ;   in Loop: Header=BB6_12546 Depth=2
	v_dual_mov_b32 v5, 0 :: v_dual_mov_b32 v3, 0
	s_and_saveexec_b32 s41, s7
	s_cbranch_execz .LBB6_12625
; %bb.12616:                            ;   in Loop: Header=BB6_12546 Depth=2
	v_bfrev_b32_e32 v3, 1
	s_mov_b32 s42, exec_lo
	v_cmpx_ne_u16_e32 0xff80, v28
	s_cbranch_execz .LBB6_12624
; %bb.12617:                            ;   in Loop: Header=BB6_12546 Depth=2
	v_and_b32_e32 v3, 0x7c, v1
	v_and_b32_e32 v7, 3, v1
	s_delay_alu instid0(VALU_DEP_2) | instskip(SKIP_1) | instid1(SALU_CYCLE_1)
	v_cmp_ne_u32_e32 vcc_lo, 0x7c, v3
                                        ; implicit-def: $vgpr3
	s_and_saveexec_b32 s10, vcc_lo
	s_xor_b32 s10, exec_lo, s10
	s_cbranch_execz .LBB6_12621
; %bb.12618:                            ;   in Loop: Header=BB6_12546 Depth=2
	v_bfe_u32 v3, v1, 2, 5
	s_mov_b32 s43, exec_lo
	s_delay_alu instid0(VALU_DEP_1)
	v_cmpx_eq_u32_e32 0, v3
	s_cbranch_execz .LBB6_12620
; %bb.12619:                            ;   in Loop: Header=BB6_12546 Depth=2
	v_clz_i32_u32_e32 v3, v7
	s_delay_alu instid0(VALU_DEP_1) | instskip(SKIP_1) | instid1(VALU_DEP_2)
	v_min_u32_e32 v3, 32, v3
	v_mov_b32_e32 v29, v25
	v_subrev_nc_u32_e32 v7, 29, v3
	v_sub_nc_u32_e32 v3, 30, v3
	s_delay_alu instid0(VALU_DEP_2) | instskip(NEXT) | instid1(VALU_DEP_1)
	v_lshlrev_b64_e32 v[18:19], v7, v[28:29]
	v_and_b32_e32 v7, 3, v18
.LBB6_12620:                            ;   in Loop: Header=BB6_12546 Depth=2
	s_or_b32 exec_lo, exec_lo, s43
	v_bfe_i32 v9, v28, 0, 16
	s_delay_alu instid0(VALU_DEP_1) | instskip(NEXT) | instid1(VALU_DEP_1)
	v_and_b32_e32 v9, 0x80000000, v9
	v_lshl_add_u32 v3, v3, 23, v9
	s_delay_alu instid0(VALU_DEP_1) | instskip(NEXT) | instid1(VALU_DEP_1)
	v_lshl_or_b32 v3, v7, 21, v3
                                        ; implicit-def: $vgpr7
	v_add_nc_u32_e32 v3, 0x38000000, v3
.LBB6_12621:                            ;   in Loop: Header=BB6_12546 Depth=2
	s_and_not1_saveexec_b32 s43, s10
; %bb.12622:                            ;   in Loop: Header=BB6_12546 Depth=2
	v_cmp_lt_i16_e64 s10, -1, v28
	v_cmp_eq_u32_e32 vcc_lo, 0, v7
	s_delay_alu instid0(VALU_DEP_2) | instskip(NEXT) | instid1(VALU_DEP_1)
	v_cndmask_b32_e64 v3, 0xff800000, v40, s10
	v_cndmask_b32_e32 v3, 0x7f800001, v3, vcc_lo
; %bb.12623:                            ;   in Loop: Header=BB6_12546 Depth=2
	s_or_b32 exec_lo, exec_lo, s43
.LBB6_12624:                            ;   in Loop: Header=BB6_12546 Depth=2
	s_delay_alu instid0(SALU_CYCLE_1)
	s_or_b32 exec_lo, exec_lo, s42
.LBB6_12625:                            ;   in Loop: Header=BB6_12546 Depth=2
	s_delay_alu instid0(SALU_CYCLE_1) | instskip(NEXT) | instid1(SALU_CYCLE_1)
	s_or_b32 exec_lo, exec_lo, s41
	s_mov_b32 s41, exec_lo
	v_cmpx_ne_u16_e32 0, v20
	s_cbranch_execz .LBB6_12635
; %bb.12626:                            ;   in Loop: Header=BB6_12546 Depth=2
	v_bfrev_b32_e32 v5, 1
	s_mov_b32 s42, exec_lo
	v_cmpx_ne_u16_e32 0xff80, v20
	s_cbranch_execz .LBB6_12634
; %bb.12627:                            ;   in Loop: Header=BB6_12546 Depth=2
	v_and_b32_e32 v5, 0x7c, v20
	v_and_b32_e32 v7, 3, v20
	s_delay_alu instid0(VALU_DEP_2) | instskip(SKIP_1) | instid1(SALU_CYCLE_1)
	v_cmp_ne_u32_e32 vcc_lo, 0x7c, v5
                                        ; implicit-def: $vgpr5
	s_and_saveexec_b32 s10, vcc_lo
	s_xor_b32 s10, exec_lo, s10
	s_cbranch_execz .LBB6_12631
; %bb.12628:                            ;   in Loop: Header=BB6_12546 Depth=2
	v_and_b32_e32 v5, 0xff, v20
	s_mov_b32 s43, exec_lo
	s_delay_alu instid0(VALU_DEP_1) | instskip(NEXT) | instid1(VALU_DEP_1)
	v_bfe_u32 v5, v5, 2, 5
	v_cmpx_eq_u32_e32 0, v5
	s_cbranch_execz .LBB6_12630
; %bb.12629:                            ;   in Loop: Header=BB6_12546 Depth=2
	v_clz_i32_u32_e32 v5, v7
	s_delay_alu instid0(VALU_DEP_1) | instskip(SKIP_1) | instid1(VALU_DEP_2)
	v_min_u32_e32 v5, 32, v5
	v_mov_b32_e32 v21, v25
	v_subrev_nc_u32_e32 v7, 29, v5
	v_sub_nc_u32_e32 v5, 30, v5
	s_delay_alu instid0(VALU_DEP_2) | instskip(NEXT) | instid1(VALU_DEP_1)
	v_lshlrev_b64_e32 v[18:19], v7, v[20:21]
	v_and_b32_e32 v7, 3, v18
.LBB6_12630:                            ;   in Loop: Header=BB6_12546 Depth=2
	s_or_b32 exec_lo, exec_lo, s43
	v_bfe_i32 v9, v20, 0, 16
	s_delay_alu instid0(VALU_DEP_1) | instskip(NEXT) | instid1(VALU_DEP_1)
	v_and_b32_e32 v9, 0x80000000, v9
	v_lshl_add_u32 v5, v5, 23, v9
	s_delay_alu instid0(VALU_DEP_1) | instskip(NEXT) | instid1(VALU_DEP_1)
	v_lshl_or_b32 v5, v7, 21, v5
                                        ; implicit-def: $vgpr7
	v_add_nc_u32_e32 v5, 0x38000000, v5
.LBB6_12631:                            ;   in Loop: Header=BB6_12546 Depth=2
	s_and_not1_saveexec_b32 s43, s10
; %bb.12632:                            ;   in Loop: Header=BB6_12546 Depth=2
	v_cmp_lt_i16_e64 s10, -1, v20
	v_cmp_eq_u32_e32 vcc_lo, 0, v7
	s_delay_alu instid0(VALU_DEP_2) | instskip(NEXT) | instid1(VALU_DEP_1)
	v_cndmask_b32_e64 v5, 0xff800000, v40, s10
	v_cndmask_b32_e32 v5, 0x7f800001, v5, vcc_lo
; %bb.12633:                            ;   in Loop: Header=BB6_12546 Depth=2
	s_or_b32 exec_lo, exec_lo, s43
.LBB6_12634:                            ;   in Loop: Header=BB6_12546 Depth=2
	s_delay_alu instid0(SALU_CYCLE_1)
	s_or_b32 exec_lo, exec_lo, s42
.LBB6_12635:                            ;   in Loop: Header=BB6_12546 Depth=2
	s_delay_alu instid0(SALU_CYCLE_1) | instskip(NEXT) | instid1(VALU_DEP_1)
	s_or_b32 exec_lo, exec_lo, s41
	v_dual_max_num_f32 v5, v5, v5 :: v_dual_max_num_f32 v3, v3, v3
	s_mov_b32 s10, 0
	s_delay_alu instid0(VALU_DEP_1)
	v_max_num_f32_e32 v3, v3, v5
.LBB6_12636:                            ;   in Loop: Header=BB6_12546 Depth=2
	s_and_b32 vcc_lo, exec_lo, s10
	s_cbranch_vccz .LBB6_12658
; %bb.12637:                            ;   in Loop: Header=BB6_12546 Depth=2
	v_dual_mov_b32 v3, 0 :: v_dual_mov_b32 v5, 0
	s_and_saveexec_b32 s10, s7
	s_cbranch_execz .LBB6_12647
; %bb.12638:                            ;   in Loop: Header=BB6_12546 Depth=2
	v_bfrev_b32_e32 v5, 1
	s_mov_b32 s41, exec_lo
	v_cmpx_ne_u16_e32 0xff80, v28
	s_cbranch_execz .LBB6_12646
; %bb.12639:                            ;   in Loop: Header=BB6_12546 Depth=2
	v_and_b32_e32 v5, 0x7c, v1
	v_and_b32_e32 v7, 3, v1
	s_delay_alu instid0(VALU_DEP_2) | instskip(SKIP_1) | instid1(SALU_CYCLE_1)
	v_cmp_ne_u32_e32 vcc_lo, 0x7c, v5
                                        ; implicit-def: $vgpr5
	s_and_saveexec_b32 s7, vcc_lo
	s_xor_b32 s7, exec_lo, s7
	s_cbranch_execz .LBB6_12643
; %bb.12640:                            ;   in Loop: Header=BB6_12546 Depth=2
	v_bfe_u32 v1, v1, 2, 5
	s_mov_b32 s42, exec_lo
	s_delay_alu instid0(VALU_DEP_1)
	v_cmpx_eq_u32_e32 0, v1
	s_cbranch_execz .LBB6_12642
; %bb.12641:                            ;   in Loop: Header=BB6_12546 Depth=2
	v_clz_i32_u32_e32 v1, v7
	s_delay_alu instid0(VALU_DEP_1) | instskip(SKIP_1) | instid1(VALU_DEP_2)
	v_min_u32_e32 v1, 32, v1
	v_mov_b32_e32 v29, v25
	v_subrev_nc_u32_e32 v5, 29, v1
	v_sub_nc_u32_e32 v1, 30, v1
	s_delay_alu instid0(VALU_DEP_2) | instskip(NEXT) | instid1(VALU_DEP_1)
	v_lshlrev_b64_e32 v[18:19], v5, v[28:29]
	v_and_b32_e32 v7, 3, v18
.LBB6_12642:                            ;   in Loop: Header=BB6_12546 Depth=2
	s_or_b32 exec_lo, exec_lo, s42
	v_bfe_i32 v5, v28, 0, 16
                                        ; implicit-def: $vgpr28
	s_delay_alu instid0(VALU_DEP_1) | instskip(NEXT) | instid1(VALU_DEP_1)
	v_and_b32_e32 v5, 0x80000000, v5
	v_lshl_add_u32 v1, v1, 23, v5
	s_delay_alu instid0(VALU_DEP_1) | instskip(NEXT) | instid1(VALU_DEP_1)
	v_lshl_or_b32 v1, v7, 21, v1
                                        ; implicit-def: $vgpr7
	v_add_nc_u32_e32 v5, 0x38000000, v1
.LBB6_12643:                            ;   in Loop: Header=BB6_12546 Depth=2
	s_and_not1_saveexec_b32 s42, s7
; %bb.12644:                            ;   in Loop: Header=BB6_12546 Depth=2
	v_cmp_lt_i16_e64 s7, -1, v28
	v_cmp_eq_u32_e32 vcc_lo, 0, v7
	s_delay_alu instid0(VALU_DEP_2) | instskip(NEXT) | instid1(VALU_DEP_1)
	v_cndmask_b32_e64 v1, 0xff800000, v40, s7
	v_cndmask_b32_e32 v5, 0x7f800001, v1, vcc_lo
; %bb.12645:                            ;   in Loop: Header=BB6_12546 Depth=2
	s_or_b32 exec_lo, exec_lo, s42
.LBB6_12646:                            ;   in Loop: Header=BB6_12546 Depth=2
	s_delay_alu instid0(SALU_CYCLE_1)
	s_or_b32 exec_lo, exec_lo, s41
.LBB6_12647:                            ;   in Loop: Header=BB6_12546 Depth=2
	s_delay_alu instid0(SALU_CYCLE_1) | instskip(NEXT) | instid1(SALU_CYCLE_1)
	s_or_b32 exec_lo, exec_lo, s10
	s_mov_b32 s7, exec_lo
	v_cmpx_ne_u16_e32 0, v20
	s_cbranch_execz .LBB6_12657
; %bb.12648:                            ;   in Loop: Header=BB6_12546 Depth=2
	v_bfrev_b32_e32 v3, 1
	s_mov_b32 s10, exec_lo
	v_cmpx_ne_u16_e32 0xff80, v20
	s_cbranch_execz .LBB6_12656
; %bb.12649:                            ;   in Loop: Header=BB6_12546 Depth=2
	v_and_b32_e32 v3, 0x7c, v20
	v_and_b32_e32 v1, 3, v20
	s_delay_alu instid0(VALU_DEP_2) | instskip(SKIP_1) | instid1(SALU_CYCLE_1)
	v_cmp_ne_u32_e32 vcc_lo, 0x7c, v3
                                        ; implicit-def: $vgpr3
	s_and_saveexec_b32 s41, vcc_lo
	s_xor_b32 s41, exec_lo, s41
	s_cbranch_execz .LBB6_12653
; %bb.12650:                            ;   in Loop: Header=BB6_12546 Depth=2
	v_and_b32_e32 v3, 0xff, v20
	s_mov_b32 s42, exec_lo
	s_delay_alu instid0(VALU_DEP_1) | instskip(NEXT) | instid1(VALU_DEP_1)
	v_bfe_u32 v3, v3, 2, 5
	v_cmpx_eq_u32_e32 0, v3
; %bb.12651:                            ;   in Loop: Header=BB6_12546 Depth=2
	v_clz_i32_u32_e32 v1, v1
	s_delay_alu instid0(VALU_DEP_1) | instskip(SKIP_1) | instid1(VALU_DEP_2)
	v_min_u32_e32 v1, 32, v1
	v_mov_b32_e32 v21, v25
	v_subrev_nc_u32_e32 v3, 29, v1
	s_delay_alu instid0(VALU_DEP_1) | instskip(NEXT) | instid1(VALU_DEP_1)
	v_lshlrev_b64_e32 v[18:19], v3, v[20:21]
	v_dual_sub_nc_u32 v3, 30, v1 :: v_dual_bitop2_b32 v1, 3, v18 bitop3:0x40
; %bb.12652:                            ;   in Loop: Header=BB6_12546 Depth=2
	s_or_b32 exec_lo, exec_lo, s42
	v_bfe_i32 v7, v20, 0, 16
                                        ; implicit-def: $vgpr20
	s_delay_alu instid0(VALU_DEP_1) | instskip(NEXT) | instid1(VALU_DEP_1)
	v_and_b32_e32 v7, 0x80000000, v7
	v_lshl_add_u32 v3, v3, 23, v7
	s_delay_alu instid0(VALU_DEP_1) | instskip(NEXT) | instid1(VALU_DEP_1)
	v_lshl_or_b32 v1, v1, 21, v3
	v_add_nc_u32_e32 v3, 0x38000000, v1
                                        ; implicit-def: $vgpr1
.LBB6_12653:                            ;   in Loop: Header=BB6_12546 Depth=2
	s_and_not1_saveexec_b32 s41, s41
; %bb.12654:                            ;   in Loop: Header=BB6_12546 Depth=2
	v_cmp_lt_i16_e32 vcc_lo, -1, v20
	v_cndmask_b32_e32 v3, 0xff800000, v40, vcc_lo
	v_cmp_eq_u32_e32 vcc_lo, 0, v1
	s_delay_alu instid0(VALU_DEP_2)
	v_cndmask_b32_e32 v3, 0x7f800001, v3, vcc_lo
; %bb.12655:                            ;   in Loop: Header=BB6_12546 Depth=2
	s_or_b32 exec_lo, exec_lo, s41
.LBB6_12656:                            ;   in Loop: Header=BB6_12546 Depth=2
	s_delay_alu instid0(SALU_CYCLE_1)
	s_or_b32 exec_lo, exec_lo, s10
.LBB6_12657:                            ;   in Loop: Header=BB6_12546 Depth=2
	s_delay_alu instid0(SALU_CYCLE_1) | instskip(NEXT) | instid1(VALU_DEP_1)
	s_or_b32 exec_lo, exec_lo, s7
	v_dual_max_num_f32 v1, v3, v3 :: v_dual_max_num_f32 v3, v5, v5
	s_delay_alu instid0(VALU_DEP_1)
	v_min_num_f32_e32 v3, v3, v1
.LBB6_12658:                            ;   in Loop: Header=BB6_12546 Depth=2
	s_delay_alu instid0(VALU_DEP_1) | instskip(SKIP_3) | instid1(VALU_DEP_2)
	v_and_b32_e32 v18, 0x7f800000, v3
	v_mov_b32_e32 v19, v25
	v_and_b32_e32 v24, 0x7fffff, v3
                                        ; implicit-def: $vgpr21
	s_mov_b32 s7, exec_lo
	v_cmpx_ne_u64_e32 0x7f800000, v[18:19]
	s_xor_b32 s10, exec_lo, s7
	s_cbranch_execz .LBB6_12676
; %bb.12659:                            ;   in Loop: Header=BB6_12546 Depth=2
	v_dual_mov_b32 v19, v25 :: v_dual_lshrrev_b32 v1, 24, v3
	v_and_b32_e32 v18, 0x7fffffff, v3
                                        ; implicit-def: $vgpr21
	s_mov_b32 s7, exec_lo
	s_delay_alu instid0(VALU_DEP_2) | instskip(NEXT) | instid1(VALU_DEP_2)
	v_and_b32_e32 v1, 0x80, v1
	v_cmpx_gt_u64_e32 0x47600001, v[18:19]
	s_xor_b32 s41, exec_lo, s7
	s_cbranch_execz .LBB6_12673
; %bb.12660:                            ;   in Loop: Header=BB6_12546 Depth=2
	v_mov_b32_e32 v21, 0
	s_mov_b32 s42, exec_lo
	v_cmpx_ne_u32_e32 0, v3
	s_cbranch_execz .LBB6_12672
; %bb.12661:                            ;   in Loop: Header=BB6_12546 Depth=2
	v_bfe_u32 v3, v3, 23, 8
	v_or_b32_e32 v7, 0x800000, v24
	s_delay_alu instid0(VALU_DEP_2) | instskip(SKIP_1) | instid1(VALU_DEP_3)
	v_cmp_eq_u32_e32 vcc_lo, 0, v3
	v_cmp_gt_u32_e64 s7, 0x72, v3
	v_dual_cndmask_b32 v24, v7, v24 :: v_dual_sub_nc_u32 v5, 0x71, v3
	s_delay_alu instid0(VALU_DEP_1) | instskip(NEXT) | instid1(VALU_DEP_1)
	v_cndmask_b32_e64 v5, 0, v5, s7
	v_cndmask_b32_e64 v5, v5, 0x70, vcc_lo
	s_delay_alu instid0(VALU_DEP_1) | instskip(NEXT) | instid1(VALU_DEP_1)
	v_add_nc_u32_e32 v7, 21, v5
	v_lshlrev_b64_e64 v[18:19], v7, -1
	v_add_nc_u32_e32 v7, 20, v5
	s_delay_alu instid0(VALU_DEP_1) | instskip(NEXT) | instid1(VALU_DEP_3)
	v_lshlrev_b64_e64 v[20:21], v7, 1
	v_bfi_b32 v19, v19, 0, 0
	s_delay_alu instid0(VALU_DEP_4) | instskip(NEXT) | instid1(VALU_DEP_1)
	v_bfi_b32 v18, v18, 0, v24
	v_cmp_eq_u64_e64 s7, v[18:19], v[20:21]
	v_lshrrev_b64 v[20:21], v5, v[24:25]
	s_delay_alu instid0(VALU_DEP_1)
	v_mov_b64_e32 v[18:19], v[20:21]
	s_and_saveexec_b32 s43, s7
; %bb.12662:                            ;   in Loop: Header=BB6_12546 Depth=2
	v_bfe_u32 v24, v20, 21, 1
	s_delay_alu instid0(VALU_DEP_1) | instskip(NEXT) | instid1(VALU_DEP_1)
	v_add_nc_u64_e32 v[18:19], v[20:21], v[24:25]
	v_add_nc_u64_e32 v[18:19], -1, v[18:19]
; %bb.12663:                            ;   in Loop: Header=BB6_12546 Depth=2
	s_or_b32 exec_lo, exec_lo, s43
	v_add_nc_u32_e32 v3, 0xffffff81, v3
	v_lshrrev_b32_e32 v7, 23, v20
	s_mov_b32 s7, exec_lo
	s_delay_alu instid0(VALU_DEP_2) | instskip(NEXT) | instid1(VALU_DEP_1)
	v_cndmask_b32_e64 v3, v3, 0xffffff82, vcc_lo
	v_add3_u32 v7, v5, v3, v7
	v_and_b32_e32 v3, 0x1fffff, v18
	s_delay_alu instid0(VALU_DEP_1) | instskip(NEXT) | instid1(VALU_DEP_1)
	v_dual_add_nc_u32 v5, 14, v7 :: v_dual_add_nc_u32 v24, v3, v20
                                        ; implicit-def: $vgpr20_vgpr21
                                        ; implicit-def: $vgpr3
	v_cmpx_ne_u32_e32 0, v5
	s_xor_b32 s7, exec_lo, s7
; %bb.12664:                            ;   in Loop: Header=BB6_12546 Depth=2
	s_delay_alu instid0(VALU_DEP_2) | instskip(SKIP_1) | instid1(VALU_DEP_1)
	v_cmp_lt_u64_e32 vcc_lo, 0xffffff, v[24:25]
	v_add_nc_u32_e32 v3, 15, v7
	v_cndmask_b32_e32 v3, v5, v3, vcc_lo
	v_cndmask_b32_e64 v5, 0, 1, vcc_lo
	s_delay_alu instid0(VALU_DEP_1)
	v_lshrrev_b64 v[20:21], v5, v[24:25]
; %bb.12665:                            ;   in Loop: Header=BB6_12546 Depth=2
	s_and_not1_saveexec_b32 s7, s7
; %bb.12666:                            ;   in Loop: Header=BB6_12546 Depth=2
	v_mov_b64_e32 v[20:21], v[24:25]
	v_bfe_u32 v3, v24, 23, 1
; %bb.12667:                            ;   in Loop: Header=BB6_12546 Depth=2
	s_or_b32 exec_lo, exec_lo, s7
	s_delay_alu instid0(VALU_DEP_2) | instskip(NEXT) | instid1(VALU_DEP_2)
	v_lshrrev_b64 v[18:19], 21, v[20:21]
	v_cmp_gt_i32_e32 vcc_lo, 32, v3
	v_cmp_ne_u32_e64 s7, 0, v3
	s_delay_alu instid0(VALU_DEP_3) | instskip(NEXT) | instid1(VALU_DEP_1)
	v_dual_cndmask_b32 v21, 0, v19 :: v_dual_cndmask_b32 v20, 3, v18
	v_cmp_ne_u64_e32 vcc_lo, 0, v[20:21]
                                        ; implicit-def: $vgpr21
	s_or_b32 s7, s7, vcc_lo
	s_delay_alu instid0(SALU_CYCLE_1) | instskip(NEXT) | instid1(SALU_CYCLE_1)
	s_and_saveexec_b32 s43, s7
	s_xor_b32 s7, exec_lo, s43
; %bb.12668:                            ;   in Loop: Header=BB6_12546 Depth=2
	v_min_i32_e32 v3, 31, v3
	s_delay_alu instid0(VALU_DEP_1) | instskip(NEXT) | instid1(VALU_DEP_1)
	v_lshl_or_b32 v1, v3, 2, v1
	v_and_or_b32 v21, v20, 3, v1
                                        ; implicit-def: $vgpr1
; %bb.12669:                            ;   in Loop: Header=BB6_12546 Depth=2
	s_and_not1_saveexec_b32 s7, s7
; %bb.12670:                            ;   in Loop: Header=BB6_12546 Depth=2
	v_mov_b32_e32 v21, v1
; %bb.12671:                            ;   in Loop: Header=BB6_12546 Depth=2
	s_or_b32 exec_lo, exec_lo, s7
.LBB6_12672:                            ;   in Loop: Header=BB6_12546 Depth=2
	s_delay_alu instid0(SALU_CYCLE_1)
	s_or_b32 exec_lo, exec_lo, s42
                                        ; implicit-def: $vgpr1
.LBB6_12673:                            ;   in Loop: Header=BB6_12546 Depth=2
	s_and_not1_saveexec_b32 s7, s41
; %bb.12674:                            ;   in Loop: Header=BB6_12546 Depth=2
	v_or_b32_e32 v21, 0x7b, v1
; %bb.12675:                            ;   in Loop: Header=BB6_12546 Depth=2
	s_or_b32 exec_lo, exec_lo, s7
                                        ; implicit-def: $vgpr3
.LBB6_12676:                            ;   in Loop: Header=BB6_12546 Depth=2
	s_and_not1_saveexec_b32 s7, s10
	s_cbranch_execz .LBB6_12682
; %bb.12677:                            ;   in Loop: Header=BB6_12546 Depth=2
	s_mov_b32 s10, exec_lo
                                        ; implicit-def: $vgpr21
	v_cmpx_ne_u64_e32 0, v[24:25]
	s_xor_b32 s10, exec_lo, s10
; %bb.12678:                            ;   in Loop: Header=BB6_12546 Depth=2
	v_lshrrev_b32_e32 v1, 24, v3
                                        ; implicit-def: $vgpr3
	s_delay_alu instid0(VALU_DEP_1)
	v_or_b32_e32 v21, 0x7f, v1
; %bb.12679:                            ;   in Loop: Header=BB6_12546 Depth=2
	s_and_not1_saveexec_b32 s10, s10
; %bb.12680:                            ;   in Loop: Header=BB6_12546 Depth=2
	v_cmp_lt_i32_e32 vcc_lo, -1, v3
	v_cndmask_b32_e64 v21, -4, 0x7c, vcc_lo
; %bb.12681:                            ;   in Loop: Header=BB6_12546 Depth=2
	s_or_b32 exec_lo, exec_lo, s10
.LBB6_12682:                            ;   in Loop: Header=BB6_12546 Depth=2
	s_delay_alu instid0(SALU_CYCLE_1)
	s_or_b32 exec_lo, exec_lo, s7
	v_and_b32_e32 v1, 0xff, v80
	v_cmp_ne_u16_e64 s7, 0, v80
	s_and_not1_b32 vcc_lo, exec_lo, s14
	s_mov_b32 s10, -1
                                        ; implicit-def: $vgpr3
	s_cbranch_vccnz .LBB6_12704
; %bb.12683:                            ;   in Loop: Header=BB6_12546 Depth=2
	v_dual_mov_b32 v5, 0 :: v_dual_mov_b32 v3, 0
	s_and_saveexec_b32 s41, s7
	s_cbranch_execz .LBB6_12693
; %bb.12684:                            ;   in Loop: Header=BB6_12546 Depth=2
	v_bfrev_b32_e32 v3, 1
	s_mov_b32 s42, exec_lo
	v_cmpx_ne_u16_e32 0xff80, v80
	s_cbranch_execz .LBB6_12692
; %bb.12685:                            ;   in Loop: Header=BB6_12546 Depth=2
	v_and_b32_e32 v3, 0x7c, v1
	v_and_b32_e32 v7, 3, v1
	s_delay_alu instid0(VALU_DEP_2) | instskip(SKIP_1) | instid1(SALU_CYCLE_1)
	v_cmp_ne_u32_e32 vcc_lo, 0x7c, v3
                                        ; implicit-def: $vgpr3
	s_and_saveexec_b32 s10, vcc_lo
	s_xor_b32 s10, exec_lo, s10
	s_cbranch_execz .LBB6_12689
; %bb.12686:                            ;   in Loop: Header=BB6_12546 Depth=2
	v_bfe_u32 v3, v1, 2, 5
	s_mov_b32 s43, exec_lo
	s_delay_alu instid0(VALU_DEP_1)
	v_cmpx_eq_u32_e32 0, v3
	s_cbranch_execz .LBB6_12688
; %bb.12687:                            ;   in Loop: Header=BB6_12546 Depth=2
	v_clz_i32_u32_e32 v3, v7
	s_delay_alu instid0(VALU_DEP_1) | instskip(SKIP_1) | instid1(VALU_DEP_2)
	v_min_u32_e32 v3, 32, v3
	v_mov_b32_e32 v81, v25
	v_subrev_nc_u32_e32 v7, 29, v3
	v_sub_nc_u32_e32 v3, 30, v3
	s_delay_alu instid0(VALU_DEP_2) | instskip(NEXT) | instid1(VALU_DEP_1)
	v_lshlrev_b64_e32 v[18:19], v7, v[80:81]
	v_and_b32_e32 v7, 3, v18
.LBB6_12688:                            ;   in Loop: Header=BB6_12546 Depth=2
	s_or_b32 exec_lo, exec_lo, s43
	v_bfe_i32 v9, v80, 0, 16
	s_delay_alu instid0(VALU_DEP_1) | instskip(NEXT) | instid1(VALU_DEP_1)
	v_and_b32_e32 v9, 0x80000000, v9
	v_lshl_add_u32 v3, v3, 23, v9
	s_delay_alu instid0(VALU_DEP_1) | instskip(NEXT) | instid1(VALU_DEP_1)
	v_lshl_or_b32 v3, v7, 21, v3
                                        ; implicit-def: $vgpr7
	v_add_nc_u32_e32 v3, 0x38000000, v3
.LBB6_12689:                            ;   in Loop: Header=BB6_12546 Depth=2
	s_and_not1_saveexec_b32 s43, s10
; %bb.12690:                            ;   in Loop: Header=BB6_12546 Depth=2
	v_cmp_lt_i16_e64 s10, -1, v80
	v_cmp_eq_u32_e32 vcc_lo, 0, v7
	s_delay_alu instid0(VALU_DEP_2) | instskip(NEXT) | instid1(VALU_DEP_1)
	v_cndmask_b32_e64 v3, 0xff800000, v40, s10
	v_cndmask_b32_e32 v3, 0x7f800001, v3, vcc_lo
; %bb.12691:                            ;   in Loop: Header=BB6_12546 Depth=2
	s_or_b32 exec_lo, exec_lo, s43
.LBB6_12692:                            ;   in Loop: Header=BB6_12546 Depth=2
	s_delay_alu instid0(SALU_CYCLE_1)
	s_or_b32 exec_lo, exec_lo, s42
.LBB6_12693:                            ;   in Loop: Header=BB6_12546 Depth=2
	s_delay_alu instid0(SALU_CYCLE_1) | instskip(NEXT) | instid1(SALU_CYCLE_1)
	s_or_b32 exec_lo, exec_lo, s41
	s_mov_b32 s41, exec_lo
	v_cmpx_ne_u16_e32 0, v16
	s_cbranch_execz .LBB6_12703
; %bb.12694:                            ;   in Loop: Header=BB6_12546 Depth=2
	v_bfrev_b32_e32 v5, 1
	s_mov_b32 s42, exec_lo
	v_cmpx_ne_u16_e32 0xff80, v16
	s_cbranch_execz .LBB6_12702
; %bb.12695:                            ;   in Loop: Header=BB6_12546 Depth=2
	v_and_b32_e32 v5, 0x7c, v16
	v_and_b32_e32 v7, 3, v16
	s_delay_alu instid0(VALU_DEP_2) | instskip(SKIP_1) | instid1(SALU_CYCLE_1)
	v_cmp_ne_u32_e32 vcc_lo, 0x7c, v5
                                        ; implicit-def: $vgpr5
	s_and_saveexec_b32 s10, vcc_lo
	s_xor_b32 s10, exec_lo, s10
	s_cbranch_execz .LBB6_12699
; %bb.12696:                            ;   in Loop: Header=BB6_12546 Depth=2
	v_and_b32_e32 v5, 0xff, v16
	s_mov_b32 s43, exec_lo
	s_delay_alu instid0(VALU_DEP_1) | instskip(NEXT) | instid1(VALU_DEP_1)
	v_bfe_u32 v5, v5, 2, 5
	v_cmpx_eq_u32_e32 0, v5
	s_cbranch_execz .LBB6_12698
; %bb.12697:                            ;   in Loop: Header=BB6_12546 Depth=2
	v_clz_i32_u32_e32 v5, v7
	s_delay_alu instid0(VALU_DEP_1) | instskip(SKIP_1) | instid1(VALU_DEP_2)
	v_min_u32_e32 v5, 32, v5
	v_mov_b32_e32 v17, v25
	v_subrev_nc_u32_e32 v7, 29, v5
	v_sub_nc_u32_e32 v5, 30, v5
	s_delay_alu instid0(VALU_DEP_2) | instskip(NEXT) | instid1(VALU_DEP_1)
	v_lshlrev_b64_e32 v[18:19], v7, v[16:17]
	v_and_b32_e32 v7, 3, v18
.LBB6_12698:                            ;   in Loop: Header=BB6_12546 Depth=2
	s_or_b32 exec_lo, exec_lo, s43
	v_bfe_i32 v9, v16, 0, 16
	s_delay_alu instid0(VALU_DEP_1) | instskip(NEXT) | instid1(VALU_DEP_1)
	v_and_b32_e32 v9, 0x80000000, v9
	v_lshl_add_u32 v5, v5, 23, v9
	s_delay_alu instid0(VALU_DEP_1) | instskip(NEXT) | instid1(VALU_DEP_1)
	v_lshl_or_b32 v5, v7, 21, v5
                                        ; implicit-def: $vgpr7
	v_add_nc_u32_e32 v5, 0x38000000, v5
.LBB6_12699:                            ;   in Loop: Header=BB6_12546 Depth=2
	s_and_not1_saveexec_b32 s43, s10
; %bb.12700:                            ;   in Loop: Header=BB6_12546 Depth=2
	v_cmp_lt_i16_e64 s10, -1, v16
	v_cmp_eq_u32_e32 vcc_lo, 0, v7
	s_delay_alu instid0(VALU_DEP_2) | instskip(NEXT) | instid1(VALU_DEP_1)
	v_cndmask_b32_e64 v5, 0xff800000, v40, s10
	v_cndmask_b32_e32 v5, 0x7f800001, v5, vcc_lo
; %bb.12701:                            ;   in Loop: Header=BB6_12546 Depth=2
	s_or_b32 exec_lo, exec_lo, s43
.LBB6_12702:                            ;   in Loop: Header=BB6_12546 Depth=2
	s_delay_alu instid0(SALU_CYCLE_1)
	s_or_b32 exec_lo, exec_lo, s42
.LBB6_12703:                            ;   in Loop: Header=BB6_12546 Depth=2
	s_delay_alu instid0(SALU_CYCLE_1) | instskip(NEXT) | instid1(VALU_DEP_1)
	s_or_b32 exec_lo, exec_lo, s41
	v_dual_max_num_f32 v5, v5, v5 :: v_dual_max_num_f32 v3, v3, v3
	s_mov_b32 s10, 0
	s_delay_alu instid0(VALU_DEP_1)
	v_max_num_f32_e32 v3, v3, v5
.LBB6_12704:                            ;   in Loop: Header=BB6_12546 Depth=2
	s_and_b32 vcc_lo, exec_lo, s10
	s_cbranch_vccz .LBB6_12726
; %bb.12705:                            ;   in Loop: Header=BB6_12546 Depth=2
	v_dual_mov_b32 v5, 0 :: v_dual_mov_b32 v3, 0
	s_and_saveexec_b32 s10, s7
	s_cbranch_execz .LBB6_12715
; %bb.12706:                            ;   in Loop: Header=BB6_12546 Depth=2
	v_bfrev_b32_e32 v3, 1
	s_mov_b32 s7, exec_lo
	v_cmpx_ne_u16_e32 0xff80, v80
	s_cbranch_execz .LBB6_12714
; %bb.12707:                            ;   in Loop: Header=BB6_12546 Depth=2
	v_and_b32_e32 v3, 0x7c, v1
	v_and_b32_e32 v7, 3, v1
	s_delay_alu instid0(VALU_DEP_2) | instskip(SKIP_1) | instid1(SALU_CYCLE_1)
	v_cmp_ne_u32_e32 vcc_lo, 0x7c, v3
                                        ; implicit-def: $vgpr3
	s_and_saveexec_b32 s41, vcc_lo
	s_xor_b32 s41, exec_lo, s41
	s_cbranch_execz .LBB6_12711
; %bb.12708:                            ;   in Loop: Header=BB6_12546 Depth=2
	v_bfe_u32 v1, v1, 2, 5
	s_mov_b32 s42, exec_lo
	s_delay_alu instid0(VALU_DEP_1)
	v_cmpx_eq_u32_e32 0, v1
	s_cbranch_execz .LBB6_12710
; %bb.12709:                            ;   in Loop: Header=BB6_12546 Depth=2
	v_clz_i32_u32_e32 v1, v7
	s_delay_alu instid0(VALU_DEP_1) | instskip(SKIP_1) | instid1(VALU_DEP_2)
	v_min_u32_e32 v1, 32, v1
	v_mov_b32_e32 v81, v25
	v_subrev_nc_u32_e32 v3, 29, v1
	v_sub_nc_u32_e32 v1, 30, v1
	s_delay_alu instid0(VALU_DEP_2) | instskip(NEXT) | instid1(VALU_DEP_1)
	v_lshlrev_b64_e32 v[18:19], v3, v[80:81]
	v_and_b32_e32 v7, 3, v18
.LBB6_12710:                            ;   in Loop: Header=BB6_12546 Depth=2
	s_or_b32 exec_lo, exec_lo, s42
	v_bfe_i32 v3, v80, 0, 16
                                        ; implicit-def: $vgpr80
	s_delay_alu instid0(VALU_DEP_1) | instskip(NEXT) | instid1(VALU_DEP_1)
	v_and_b32_e32 v3, 0x80000000, v3
	v_lshl_add_u32 v1, v1, 23, v3
	s_delay_alu instid0(VALU_DEP_1) | instskip(NEXT) | instid1(VALU_DEP_1)
	v_lshl_or_b32 v1, v7, 21, v1
                                        ; implicit-def: $vgpr7
	v_add_nc_u32_e32 v3, 0x38000000, v1
.LBB6_12711:                            ;   in Loop: Header=BB6_12546 Depth=2
	s_and_not1_saveexec_b32 s41, s41
; %bb.12712:                            ;   in Loop: Header=BB6_12546 Depth=2
	v_cmp_lt_i16_e32 vcc_lo, -1, v80
	v_cndmask_b32_e32 v1, 0xff800000, v40, vcc_lo
	v_cmp_eq_u32_e32 vcc_lo, 0, v7
	s_delay_alu instid0(VALU_DEP_2)
	v_cndmask_b32_e32 v3, 0x7f800001, v1, vcc_lo
; %bb.12713:                            ;   in Loop: Header=BB6_12546 Depth=2
	s_or_b32 exec_lo, exec_lo, s41
.LBB6_12714:                            ;   in Loop: Header=BB6_12546 Depth=2
	s_delay_alu instid0(SALU_CYCLE_1)
	s_or_b32 exec_lo, exec_lo, s7
.LBB6_12715:                            ;   in Loop: Header=BB6_12546 Depth=2
	s_delay_alu instid0(SALU_CYCLE_1) | instskip(NEXT) | instid1(SALU_CYCLE_1)
	s_or_b32 exec_lo, exec_lo, s10
	s_mov_b32 s7, exec_lo
	v_cmpx_ne_u16_e32 0, v16
	s_cbranch_execz .LBB6_12725
; %bb.12716:                            ;   in Loop: Header=BB6_12546 Depth=2
	v_bfrev_b32_e32 v5, 1
	s_mov_b32 s10, exec_lo
	v_cmpx_ne_u16_e32 0xff80, v16
	s_cbranch_execz .LBB6_12724
; %bb.12717:                            ;   in Loop: Header=BB6_12546 Depth=2
	v_and_b32_e32 v5, 0x7c, v16
	v_and_b32_e32 v1, 3, v16
	s_delay_alu instid0(VALU_DEP_2) | instskip(SKIP_1) | instid1(SALU_CYCLE_1)
	v_cmp_ne_u32_e32 vcc_lo, 0x7c, v5
                                        ; implicit-def: $vgpr5
	s_and_saveexec_b32 s41, vcc_lo
	s_xor_b32 s41, exec_lo, s41
	s_cbranch_execz .LBB6_12721
; %bb.12718:                            ;   in Loop: Header=BB6_12546 Depth=2
	v_and_b32_e32 v5, 0xff, v16
	s_mov_b32 s42, exec_lo
	s_delay_alu instid0(VALU_DEP_1) | instskip(NEXT) | instid1(VALU_DEP_1)
	v_bfe_u32 v5, v5, 2, 5
	v_cmpx_eq_u32_e32 0, v5
; %bb.12719:                            ;   in Loop: Header=BB6_12546 Depth=2
	v_clz_i32_u32_e32 v1, v1
	s_delay_alu instid0(VALU_DEP_1) | instskip(SKIP_1) | instid1(VALU_DEP_2)
	v_min_u32_e32 v1, 32, v1
	v_mov_b32_e32 v17, v25
	v_subrev_nc_u32_e32 v5, 29, v1
	s_delay_alu instid0(VALU_DEP_1) | instskip(NEXT) | instid1(VALU_DEP_1)
	v_lshlrev_b64_e32 v[18:19], v5, v[16:17]
	v_dual_sub_nc_u32 v5, 30, v1 :: v_dual_bitop2_b32 v1, 3, v18 bitop3:0x40
; %bb.12720:                            ;   in Loop: Header=BB6_12546 Depth=2
	s_or_b32 exec_lo, exec_lo, s42
	v_bfe_i32 v7, v16, 0, 16
                                        ; implicit-def: $vgpr16
	s_delay_alu instid0(VALU_DEP_1) | instskip(NEXT) | instid1(VALU_DEP_1)
	v_and_b32_e32 v7, 0x80000000, v7
	v_lshl_add_u32 v5, v5, 23, v7
	s_delay_alu instid0(VALU_DEP_1) | instskip(NEXT) | instid1(VALU_DEP_1)
	v_lshl_or_b32 v1, v1, 21, v5
	v_add_nc_u32_e32 v5, 0x38000000, v1
                                        ; implicit-def: $vgpr1
.LBB6_12721:                            ;   in Loop: Header=BB6_12546 Depth=2
	s_and_not1_saveexec_b32 s41, s41
; %bb.12722:                            ;   in Loop: Header=BB6_12546 Depth=2
	v_cmp_lt_i16_e32 vcc_lo, -1, v16
	v_cndmask_b32_e32 v5, 0xff800000, v40, vcc_lo
	v_cmp_eq_u32_e32 vcc_lo, 0, v1
	s_delay_alu instid0(VALU_DEP_2)
	v_cndmask_b32_e32 v5, 0x7f800001, v5, vcc_lo
; %bb.12723:                            ;   in Loop: Header=BB6_12546 Depth=2
	s_or_b32 exec_lo, exec_lo, s41
.LBB6_12724:                            ;   in Loop: Header=BB6_12546 Depth=2
	s_delay_alu instid0(SALU_CYCLE_1)
	s_or_b32 exec_lo, exec_lo, s10
.LBB6_12725:                            ;   in Loop: Header=BB6_12546 Depth=2
	s_delay_alu instid0(SALU_CYCLE_1) | instskip(NEXT) | instid1(VALU_DEP_1)
	s_or_b32 exec_lo, exec_lo, s7
	v_dual_max_num_f32 v1, v5, v5 :: v_dual_max_num_f32 v3, v3, v3
	s_delay_alu instid0(VALU_DEP_1)
	v_min_num_f32_e32 v3, v3, v1
.LBB6_12726:                            ;   in Loop: Header=BB6_12546 Depth=2
	s_delay_alu instid0(VALU_DEP_1) | instskip(SKIP_2) | instid1(VALU_DEP_2)
	v_and_b32_e32 v16, 0x7f800000, v3
	v_mov_b32_e32 v17, v25
	v_and_b32_e32 v24, 0x7fffff, v3
                                        ; implicit-def: $vgpr20
	v_cmp_ne_u64_e32 vcc_lo, 0x7f800000, v[16:17]
	s_mov_b32 s7, exec_lo
	s_wait_loadcnt_dscnt 0x0
	v_mov_b32_e32 v80, v22
	s_and_b32 s41, s7, vcc_lo
	s_delay_alu instid0(SALU_CYCLE_1)
	s_xor_b32 s10, s41, s7
	s_mov_b32 exec_lo, s41
	s_cbranch_execz .LBB6_12744
; %bb.12727:                            ;   in Loop: Header=BB6_12546 Depth=2
	v_dual_mov_b32 v17, v25 :: v_dual_lshrrev_b32 v1, 24, v3
	v_and_b32_e32 v16, 0x7fffffff, v3
                                        ; implicit-def: $vgpr20
	s_mov_b32 s7, exec_lo
	s_delay_alu instid0(VALU_DEP_2) | instskip(NEXT) | instid1(VALU_DEP_2)
	v_and_b32_e32 v1, 0x80, v1
	v_cmpx_gt_u64_e32 0x47600001, v[16:17]
	s_xor_b32 s41, exec_lo, s7
	s_cbranch_execz .LBB6_12741
; %bb.12728:                            ;   in Loop: Header=BB6_12546 Depth=2
	v_mov_b32_e32 v20, 0
	s_mov_b32 s42, exec_lo
	v_cmpx_ne_u32_e32 0, v3
	s_cbranch_execz .LBB6_12740
; %bb.12729:                            ;   in Loop: Header=BB6_12546 Depth=2
	v_bfe_u32 v3, v3, 23, 8
	v_or_b32_e32 v7, 0x800000, v24
	s_delay_alu instid0(VALU_DEP_2) | instskip(SKIP_1) | instid1(VALU_DEP_3)
	v_cmp_eq_u32_e32 vcc_lo, 0, v3
	v_cmp_gt_u32_e64 s7, 0x72, v3
	v_dual_cndmask_b32 v24, v7, v24 :: v_dual_sub_nc_u32 v5, 0x71, v3
	s_delay_alu instid0(VALU_DEP_1) | instskip(NEXT) | instid1(VALU_DEP_1)
	v_cndmask_b32_e64 v5, 0, v5, s7
	v_cndmask_b32_e64 v5, v5, 0x70, vcc_lo
	s_delay_alu instid0(VALU_DEP_1) | instskip(NEXT) | instid1(VALU_DEP_1)
	v_add_nc_u32_e32 v7, 21, v5
	v_lshlrev_b64_e64 v[16:17], v7, -1
	v_add_nc_u32_e32 v7, 20, v5
	s_delay_alu instid0(VALU_DEP_1) | instskip(NEXT) | instid1(VALU_DEP_3)
	v_lshlrev_b64_e64 v[18:19], v7, 1
	v_bfi_b32 v17, v17, 0, 0
	s_delay_alu instid0(VALU_DEP_4) | instskip(NEXT) | instid1(VALU_DEP_1)
	v_bfi_b32 v16, v16, 0, v24
	v_cmp_eq_u64_e64 s7, v[16:17], v[18:19]
	v_lshrrev_b64 v[16:17], v5, v[24:25]
	s_delay_alu instid0(VALU_DEP_1)
	v_mov_b64_e32 v[18:19], v[16:17]
	s_and_saveexec_b32 s43, s7
; %bb.12730:                            ;   in Loop: Header=BB6_12546 Depth=2
	v_bfe_u32 v24, v16, 21, 1
	s_delay_alu instid0(VALU_DEP_1) | instskip(NEXT) | instid1(VALU_DEP_1)
	v_add_nc_u64_e32 v[18:19], v[16:17], v[24:25]
	v_add_nc_u64_e32 v[18:19], -1, v[18:19]
; %bb.12731:                            ;   in Loop: Header=BB6_12546 Depth=2
	s_or_b32 exec_lo, exec_lo, s43
	v_add_nc_u32_e32 v3, 0xffffff81, v3
	v_lshrrev_b32_e32 v7, 23, v16
	s_mov_b32 s7, exec_lo
	s_delay_alu instid0(VALU_DEP_2) | instskip(NEXT) | instid1(VALU_DEP_1)
	v_cndmask_b32_e64 v3, v3, 0xffffff82, vcc_lo
	v_add3_u32 v7, v5, v3, v7
	v_and_b32_e32 v3, 0x1fffff, v18
	s_delay_alu instid0(VALU_DEP_1) | instskip(NEXT) | instid1(VALU_DEP_1)
	v_dual_add_nc_u32 v5, 14, v7 :: v_dual_add_nc_u32 v24, v3, v16
                                        ; implicit-def: $vgpr16_vgpr17
                                        ; implicit-def: $vgpr3
	v_cmpx_ne_u32_e32 0, v5
	s_xor_b32 s7, exec_lo, s7
; %bb.12732:                            ;   in Loop: Header=BB6_12546 Depth=2
	s_delay_alu instid0(VALU_DEP_2) | instskip(SKIP_1) | instid1(VALU_DEP_1)
	v_cmp_lt_u64_e32 vcc_lo, 0xffffff, v[24:25]
	v_add_nc_u32_e32 v3, 15, v7
	v_cndmask_b32_e32 v3, v5, v3, vcc_lo
	v_cndmask_b32_e64 v5, 0, 1, vcc_lo
	s_delay_alu instid0(VALU_DEP_1)
	v_lshrrev_b64 v[16:17], v5, v[24:25]
; %bb.12733:                            ;   in Loop: Header=BB6_12546 Depth=2
	s_and_not1_saveexec_b32 s7, s7
; %bb.12734:                            ;   in Loop: Header=BB6_12546 Depth=2
	v_mov_b64_e32 v[16:17], v[24:25]
	v_bfe_u32 v3, v24, 23, 1
; %bb.12735:                            ;   in Loop: Header=BB6_12546 Depth=2
	s_or_b32 exec_lo, exec_lo, s7
	s_delay_alu instid0(VALU_DEP_2) | instskip(NEXT) | instid1(VALU_DEP_2)
	v_lshrrev_b64 v[16:17], 21, v[16:17]
	v_cmp_gt_i32_e32 vcc_lo, 32, v3
	v_cmp_ne_u32_e64 s7, 0, v3
                                        ; implicit-def: $vgpr20
	s_delay_alu instid0(VALU_DEP_3) | instskip(NEXT) | instid1(VALU_DEP_1)
	v_dual_cndmask_b32 v17, 0, v17 :: v_dual_cndmask_b32 v16, 3, v16
	v_cmp_ne_u64_e32 vcc_lo, 0, v[16:17]
	s_or_b32 s7, s7, vcc_lo
	s_delay_alu instid0(SALU_CYCLE_1) | instskip(NEXT) | instid1(SALU_CYCLE_1)
	s_and_saveexec_b32 s43, s7
	s_xor_b32 s7, exec_lo, s43
; %bb.12736:                            ;   in Loop: Header=BB6_12546 Depth=2
	v_min_i32_e32 v3, 31, v3
	s_delay_alu instid0(VALU_DEP_1) | instskip(NEXT) | instid1(VALU_DEP_1)
	v_lshl_or_b32 v1, v3, 2, v1
	v_and_or_b32 v20, v16, 3, v1
                                        ; implicit-def: $vgpr1
; %bb.12737:                            ;   in Loop: Header=BB6_12546 Depth=2
	s_and_not1_saveexec_b32 s7, s7
; %bb.12738:                            ;   in Loop: Header=BB6_12546 Depth=2
	v_mov_b32_e32 v20, v1
; %bb.12739:                            ;   in Loop: Header=BB6_12546 Depth=2
	s_or_b32 exec_lo, exec_lo, s7
.LBB6_12740:                            ;   in Loop: Header=BB6_12546 Depth=2
	s_delay_alu instid0(SALU_CYCLE_1)
	s_or_b32 exec_lo, exec_lo, s42
                                        ; implicit-def: $vgpr1
.LBB6_12741:                            ;   in Loop: Header=BB6_12546 Depth=2
	s_and_not1_saveexec_b32 s7, s41
; %bb.12742:                            ;   in Loop: Header=BB6_12546 Depth=2
	v_or_b32_e32 v20, 0x7b, v1
; %bb.12743:                            ;   in Loop: Header=BB6_12546 Depth=2
	s_or_b32 exec_lo, exec_lo, s7
                                        ; implicit-def: $vgpr3
.LBB6_12744:                            ;   in Loop: Header=BB6_12546 Depth=2
	s_and_not1_saveexec_b32 s7, s10
	s_cbranch_execz .LBB6_12750
; %bb.12745:                            ;   in Loop: Header=BB6_12546 Depth=2
	s_mov_b32 s10, exec_lo
                                        ; implicit-def: $vgpr20
	v_cmpx_ne_u64_e32 0, v[24:25]
	s_xor_b32 s10, exec_lo, s10
; %bb.12746:                            ;   in Loop: Header=BB6_12546 Depth=2
	v_lshrrev_b32_e32 v1, 24, v3
                                        ; implicit-def: $vgpr3
	s_delay_alu instid0(VALU_DEP_1)
	v_or_b32_e32 v20, 0x7f, v1
; %bb.12747:                            ;   in Loop: Header=BB6_12546 Depth=2
	s_and_not1_saveexec_b32 s10, s10
; %bb.12748:                            ;   in Loop: Header=BB6_12546 Depth=2
	v_cmp_lt_i32_e32 vcc_lo, -1, v3
	v_cndmask_b32_e64 v20, -4, 0x7c, vcc_lo
; %bb.12749:                            ;   in Loop: Header=BB6_12546 Depth=2
	s_or_b32 exec_lo, exec_lo, s10
.LBB6_12750:                            ;   in Loop: Header=BB6_12546 Depth=2
	s_delay_alu instid0(SALU_CYCLE_1)
	s_or_b32 exec_lo, exec_lo, s7
	v_and_b32_e32 v1, 0xff, v114
	v_cmp_ne_u16_e64 s7, 0, v114
	s_and_not1_b32 vcc_lo, exec_lo, s14
	s_mov_b32 s10, -1
                                        ; implicit-def: $vgpr3
	s_cbranch_vccnz .LBB6_12772
; %bb.12751:                            ;   in Loop: Header=BB6_12546 Depth=2
	v_dual_mov_b32 v5, 0 :: v_dual_mov_b32 v3, 0
	s_and_saveexec_b32 s41, s7
	s_cbranch_execz .LBB6_12761
; %bb.12752:                            ;   in Loop: Header=BB6_12546 Depth=2
	v_bfrev_b32_e32 v3, 1
	s_mov_b32 s42, exec_lo
	v_cmpx_ne_u16_e32 0xff80, v114
	s_cbranch_execz .LBB6_12760
; %bb.12753:                            ;   in Loop: Header=BB6_12546 Depth=2
	v_and_b32_e32 v3, 0x7c, v1
	v_and_b32_e32 v7, 3, v1
	s_delay_alu instid0(VALU_DEP_2) | instskip(SKIP_1) | instid1(SALU_CYCLE_1)
	v_cmp_ne_u32_e32 vcc_lo, 0x7c, v3
                                        ; implicit-def: $vgpr3
	s_and_saveexec_b32 s10, vcc_lo
	s_xor_b32 s10, exec_lo, s10
	s_cbranch_execz .LBB6_12757
; %bb.12754:                            ;   in Loop: Header=BB6_12546 Depth=2
	v_bfe_u32 v3, v1, 2, 5
	s_mov_b32 s43, exec_lo
	s_delay_alu instid0(VALU_DEP_1)
	v_cmpx_eq_u32_e32 0, v3
	s_cbranch_execz .LBB6_12756
; %bb.12755:                            ;   in Loop: Header=BB6_12546 Depth=2
	v_clz_i32_u32_e32 v3, v7
	s_delay_alu instid0(VALU_DEP_1) | instskip(SKIP_1) | instid1(VALU_DEP_2)
	v_min_u32_e32 v3, 32, v3
	v_mov_b32_e32 v115, v25
	v_subrev_nc_u32_e32 v7, 29, v3
	v_sub_nc_u32_e32 v3, 30, v3
	s_delay_alu instid0(VALU_DEP_2) | instskip(NEXT) | instid1(VALU_DEP_1)
	v_lshlrev_b64_e32 v[16:17], v7, v[114:115]
	v_and_b32_e32 v7, 3, v16
.LBB6_12756:                            ;   in Loop: Header=BB6_12546 Depth=2
	s_or_b32 exec_lo, exec_lo, s43
	v_bfe_i32 v9, v114, 0, 16
	s_delay_alu instid0(VALU_DEP_1) | instskip(NEXT) | instid1(VALU_DEP_1)
	v_and_b32_e32 v9, 0x80000000, v9
	v_lshl_add_u32 v3, v3, 23, v9
	s_delay_alu instid0(VALU_DEP_1) | instskip(NEXT) | instid1(VALU_DEP_1)
	v_lshl_or_b32 v3, v7, 21, v3
                                        ; implicit-def: $vgpr7
	v_add_nc_u32_e32 v3, 0x38000000, v3
.LBB6_12757:                            ;   in Loop: Header=BB6_12546 Depth=2
	s_and_not1_saveexec_b32 s43, s10
; %bb.12758:                            ;   in Loop: Header=BB6_12546 Depth=2
	v_cmp_lt_i16_e64 s10, -1, v114
	v_cmp_eq_u32_e32 vcc_lo, 0, v7
	s_delay_alu instid0(VALU_DEP_2) | instskip(NEXT) | instid1(VALU_DEP_1)
	v_cndmask_b32_e64 v3, 0xff800000, v40, s10
	v_cndmask_b32_e32 v3, 0x7f800001, v3, vcc_lo
; %bb.12759:                            ;   in Loop: Header=BB6_12546 Depth=2
	s_or_b32 exec_lo, exec_lo, s43
.LBB6_12760:                            ;   in Loop: Header=BB6_12546 Depth=2
	s_delay_alu instid0(SALU_CYCLE_1)
	s_or_b32 exec_lo, exec_lo, s42
.LBB6_12761:                            ;   in Loop: Header=BB6_12546 Depth=2
	s_delay_alu instid0(SALU_CYCLE_1) | instskip(NEXT) | instid1(SALU_CYCLE_1)
	s_or_b32 exec_lo, exec_lo, s41
	s_mov_b32 s41, exec_lo
	v_cmpx_ne_u16_e32 0, v64
	s_cbranch_execz .LBB6_12771
; %bb.12762:                            ;   in Loop: Header=BB6_12546 Depth=2
	v_bfrev_b32_e32 v5, 1
	s_mov_b32 s42, exec_lo
	v_cmpx_ne_u16_e32 0xff80, v64
	s_cbranch_execz .LBB6_12770
; %bb.12763:                            ;   in Loop: Header=BB6_12546 Depth=2
	v_and_b32_e32 v5, 0x7c, v64
	v_and_b32_e32 v7, 3, v64
	s_delay_alu instid0(VALU_DEP_2) | instskip(SKIP_1) | instid1(SALU_CYCLE_1)
	v_cmp_ne_u32_e32 vcc_lo, 0x7c, v5
                                        ; implicit-def: $vgpr5
	s_and_saveexec_b32 s10, vcc_lo
	s_xor_b32 s10, exec_lo, s10
	s_cbranch_execz .LBB6_12767
; %bb.12764:                            ;   in Loop: Header=BB6_12546 Depth=2
	v_and_b32_e32 v5, 0xff, v64
	s_mov_b32 s43, exec_lo
	s_delay_alu instid0(VALU_DEP_1) | instskip(NEXT) | instid1(VALU_DEP_1)
	v_bfe_u32 v5, v5, 2, 5
	v_cmpx_eq_u32_e32 0, v5
	s_cbranch_execz .LBB6_12766
; %bb.12765:                            ;   in Loop: Header=BB6_12546 Depth=2
	v_clz_i32_u32_e32 v5, v7
	s_delay_alu instid0(VALU_DEP_1) | instskip(SKIP_1) | instid1(VALU_DEP_2)
	v_min_u32_e32 v5, 32, v5
	v_mov_b32_e32 v65, v25
	v_subrev_nc_u32_e32 v7, 29, v5
	v_sub_nc_u32_e32 v5, 30, v5
	s_delay_alu instid0(VALU_DEP_2) | instskip(NEXT) | instid1(VALU_DEP_1)
	v_lshlrev_b64_e32 v[16:17], v7, v[64:65]
	v_and_b32_e32 v7, 3, v16
.LBB6_12766:                            ;   in Loop: Header=BB6_12546 Depth=2
	s_or_b32 exec_lo, exec_lo, s43
	v_bfe_i32 v9, v64, 0, 16
	s_delay_alu instid0(VALU_DEP_1) | instskip(NEXT) | instid1(VALU_DEP_1)
	v_and_b32_e32 v9, 0x80000000, v9
	v_lshl_add_u32 v5, v5, 23, v9
	s_delay_alu instid0(VALU_DEP_1) | instskip(NEXT) | instid1(VALU_DEP_1)
	v_lshl_or_b32 v5, v7, 21, v5
                                        ; implicit-def: $vgpr7
	v_add_nc_u32_e32 v5, 0x38000000, v5
.LBB6_12767:                            ;   in Loop: Header=BB6_12546 Depth=2
	s_and_not1_saveexec_b32 s43, s10
; %bb.12768:                            ;   in Loop: Header=BB6_12546 Depth=2
	v_cmp_lt_i16_e64 s10, -1, v64
	v_cmp_eq_u32_e32 vcc_lo, 0, v7
	s_delay_alu instid0(VALU_DEP_2) | instskip(NEXT) | instid1(VALU_DEP_1)
	v_cndmask_b32_e64 v5, 0xff800000, v40, s10
	v_cndmask_b32_e32 v5, 0x7f800001, v5, vcc_lo
; %bb.12769:                            ;   in Loop: Header=BB6_12546 Depth=2
	s_or_b32 exec_lo, exec_lo, s43
.LBB6_12770:                            ;   in Loop: Header=BB6_12546 Depth=2
	s_delay_alu instid0(SALU_CYCLE_1)
	s_or_b32 exec_lo, exec_lo, s42
.LBB6_12771:                            ;   in Loop: Header=BB6_12546 Depth=2
	s_delay_alu instid0(SALU_CYCLE_1) | instskip(NEXT) | instid1(VALU_DEP_1)
	s_or_b32 exec_lo, exec_lo, s41
	v_dual_max_num_f32 v5, v5, v5 :: v_dual_max_num_f32 v3, v3, v3
	s_mov_b32 s10, 0
	s_delay_alu instid0(VALU_DEP_1)
	v_max_num_f32_e32 v3, v3, v5
.LBB6_12772:                            ;   in Loop: Header=BB6_12546 Depth=2
	s_and_b32 vcc_lo, exec_lo, s10
	s_cbranch_vccz .LBB6_12794
; %bb.12773:                            ;   in Loop: Header=BB6_12546 Depth=2
	v_dual_mov_b32 v5, 0 :: v_dual_mov_b32 v3, 0
	s_and_saveexec_b32 s10, s7
	s_cbranch_execz .LBB6_12783
; %bb.12774:                            ;   in Loop: Header=BB6_12546 Depth=2
	v_bfrev_b32_e32 v3, 1
	s_mov_b32 s7, exec_lo
	v_cmpx_ne_u16_e32 0xff80, v114
	s_cbranch_execz .LBB6_12782
; %bb.12775:                            ;   in Loop: Header=BB6_12546 Depth=2
	v_and_b32_e32 v3, 0x7c, v1
	v_and_b32_e32 v7, 3, v1
	s_delay_alu instid0(VALU_DEP_2) | instskip(SKIP_1) | instid1(SALU_CYCLE_1)
	v_cmp_ne_u32_e32 vcc_lo, 0x7c, v3
                                        ; implicit-def: $vgpr3
	s_and_saveexec_b32 s41, vcc_lo
	s_xor_b32 s41, exec_lo, s41
	s_cbranch_execz .LBB6_12779
; %bb.12776:                            ;   in Loop: Header=BB6_12546 Depth=2
	v_bfe_u32 v1, v1, 2, 5
	s_mov_b32 s42, exec_lo
	s_delay_alu instid0(VALU_DEP_1)
	v_cmpx_eq_u32_e32 0, v1
	s_cbranch_execz .LBB6_12778
; %bb.12777:                            ;   in Loop: Header=BB6_12546 Depth=2
	v_clz_i32_u32_e32 v1, v7
	s_delay_alu instid0(VALU_DEP_1) | instskip(SKIP_1) | instid1(VALU_DEP_2)
	v_min_u32_e32 v1, 32, v1
	v_mov_b32_e32 v115, v25
	v_subrev_nc_u32_e32 v3, 29, v1
	v_sub_nc_u32_e32 v1, 30, v1
	s_delay_alu instid0(VALU_DEP_2) | instskip(NEXT) | instid1(VALU_DEP_1)
	v_lshlrev_b64_e32 v[16:17], v3, v[114:115]
	v_and_b32_e32 v7, 3, v16
.LBB6_12778:                            ;   in Loop: Header=BB6_12546 Depth=2
	s_or_b32 exec_lo, exec_lo, s42
	v_bfe_i32 v3, v114, 0, 16
                                        ; implicit-def: $vgpr114
	s_delay_alu instid0(VALU_DEP_1) | instskip(NEXT) | instid1(VALU_DEP_1)
	v_and_b32_e32 v3, 0x80000000, v3
	v_lshl_add_u32 v1, v1, 23, v3
	s_delay_alu instid0(VALU_DEP_1) | instskip(NEXT) | instid1(VALU_DEP_1)
	v_lshl_or_b32 v1, v7, 21, v1
                                        ; implicit-def: $vgpr7
	v_add_nc_u32_e32 v3, 0x38000000, v1
.LBB6_12779:                            ;   in Loop: Header=BB6_12546 Depth=2
	s_and_not1_saveexec_b32 s41, s41
; %bb.12780:                            ;   in Loop: Header=BB6_12546 Depth=2
	v_cmp_lt_i16_e32 vcc_lo, -1, v114
	v_cndmask_b32_e32 v1, 0xff800000, v40, vcc_lo
	v_cmp_eq_u32_e32 vcc_lo, 0, v7
	s_delay_alu instid0(VALU_DEP_2)
	v_cndmask_b32_e32 v3, 0x7f800001, v1, vcc_lo
; %bb.12781:                            ;   in Loop: Header=BB6_12546 Depth=2
	s_or_b32 exec_lo, exec_lo, s41
.LBB6_12782:                            ;   in Loop: Header=BB6_12546 Depth=2
	s_delay_alu instid0(SALU_CYCLE_1)
	s_or_b32 exec_lo, exec_lo, s7
.LBB6_12783:                            ;   in Loop: Header=BB6_12546 Depth=2
	s_delay_alu instid0(SALU_CYCLE_1) | instskip(NEXT) | instid1(SALU_CYCLE_1)
	s_or_b32 exec_lo, exec_lo, s10
	s_mov_b32 s7, exec_lo
	v_cmpx_ne_u16_e32 0, v64
	s_cbranch_execz .LBB6_12793
; %bb.12784:                            ;   in Loop: Header=BB6_12546 Depth=2
	v_bfrev_b32_e32 v5, 1
	s_mov_b32 s10, exec_lo
	v_cmpx_ne_u16_e32 0xff80, v64
	s_cbranch_execz .LBB6_12792
; %bb.12785:                            ;   in Loop: Header=BB6_12546 Depth=2
	v_and_b32_e32 v5, 0x7c, v64
	v_and_b32_e32 v1, 3, v64
	s_delay_alu instid0(VALU_DEP_2) | instskip(SKIP_1) | instid1(SALU_CYCLE_1)
	v_cmp_ne_u32_e32 vcc_lo, 0x7c, v5
                                        ; implicit-def: $vgpr5
	s_and_saveexec_b32 s41, vcc_lo
	s_xor_b32 s41, exec_lo, s41
	s_cbranch_execz .LBB6_12789
; %bb.12786:                            ;   in Loop: Header=BB6_12546 Depth=2
	v_and_b32_e32 v5, 0xff, v64
	s_mov_b32 s42, exec_lo
	s_delay_alu instid0(VALU_DEP_1) | instskip(NEXT) | instid1(VALU_DEP_1)
	v_bfe_u32 v5, v5, 2, 5
	v_cmpx_eq_u32_e32 0, v5
; %bb.12787:                            ;   in Loop: Header=BB6_12546 Depth=2
	v_clz_i32_u32_e32 v1, v1
	s_delay_alu instid0(VALU_DEP_1) | instskip(SKIP_1) | instid1(VALU_DEP_2)
	v_min_u32_e32 v1, 32, v1
	v_mov_b32_e32 v65, v25
	v_subrev_nc_u32_e32 v5, 29, v1
	s_delay_alu instid0(VALU_DEP_1) | instskip(NEXT) | instid1(VALU_DEP_1)
	v_lshlrev_b64_e32 v[16:17], v5, v[64:65]
	v_dual_sub_nc_u32 v5, 30, v1 :: v_dual_bitop2_b32 v1, 3, v16 bitop3:0x40
; %bb.12788:                            ;   in Loop: Header=BB6_12546 Depth=2
	s_or_b32 exec_lo, exec_lo, s42
	v_bfe_i32 v7, v64, 0, 16
                                        ; implicit-def: $vgpr64
	s_delay_alu instid0(VALU_DEP_1) | instskip(NEXT) | instid1(VALU_DEP_1)
	v_and_b32_e32 v7, 0x80000000, v7
	v_lshl_add_u32 v5, v5, 23, v7
	s_delay_alu instid0(VALU_DEP_1) | instskip(NEXT) | instid1(VALU_DEP_1)
	v_lshl_or_b32 v1, v1, 21, v5
	v_add_nc_u32_e32 v5, 0x38000000, v1
                                        ; implicit-def: $vgpr1
.LBB6_12789:                            ;   in Loop: Header=BB6_12546 Depth=2
	s_and_not1_saveexec_b32 s41, s41
; %bb.12790:                            ;   in Loop: Header=BB6_12546 Depth=2
	v_cmp_lt_i16_e32 vcc_lo, -1, v64
	v_cndmask_b32_e32 v5, 0xff800000, v40, vcc_lo
	v_cmp_eq_u32_e32 vcc_lo, 0, v1
	s_delay_alu instid0(VALU_DEP_2)
	v_cndmask_b32_e32 v5, 0x7f800001, v5, vcc_lo
; %bb.12791:                            ;   in Loop: Header=BB6_12546 Depth=2
	s_or_b32 exec_lo, exec_lo, s41
.LBB6_12792:                            ;   in Loop: Header=BB6_12546 Depth=2
	s_delay_alu instid0(SALU_CYCLE_1)
	s_or_b32 exec_lo, exec_lo, s10
.LBB6_12793:                            ;   in Loop: Header=BB6_12546 Depth=2
	s_delay_alu instid0(SALU_CYCLE_1) | instskip(NEXT) | instid1(VALU_DEP_1)
	s_or_b32 exec_lo, exec_lo, s7
	v_dual_max_num_f32 v1, v5, v5 :: v_dual_max_num_f32 v3, v3, v3
	s_delay_alu instid0(VALU_DEP_1)
	v_min_num_f32_e32 v3, v3, v1
.LBB6_12794:                            ;   in Loop: Header=BB6_12546 Depth=2
	s_delay_alu instid0(VALU_DEP_1) | instskip(SKIP_2) | instid1(VALU_DEP_2)
	v_and_b32_e32 v16, 0x7f800000, v3
	v_mov_b32_e32 v17, v25
	v_and_b32_e32 v24, 0x7fffff, v3
	v_cmp_ne_u64_e32 vcc_lo, 0x7f800000, v[16:17]
                                        ; implicit-def: $vgpr17
	s_and_saveexec_b32 s7, vcc_lo
	s_delay_alu instid0(SALU_CYCLE_1)
	s_xor_b32 s10, exec_lo, s7
	s_cbranch_execz .LBB6_12812
; %bb.12795:                            ;   in Loop: Header=BB6_12546 Depth=2
	v_and_b32_e32 v16, 0x7fffffff, v3
	v_dual_mov_b32 v17, v25 :: v_dual_lshrrev_b32 v1, 24, v3
	s_delay_alu instid0(VALU_DEP_1) | instskip(NEXT) | instid1(VALU_DEP_2)
	v_cmp_gt_u64_e32 vcc_lo, 0x47600001, v[16:17]
	v_and_b32_e32 v1, 0x80, v1
                                        ; implicit-def: $vgpr17
	s_and_saveexec_b32 s7, vcc_lo
	s_delay_alu instid0(SALU_CYCLE_1)
	s_xor_b32 s41, exec_lo, s7
	s_cbranch_execz .LBB6_12809
; %bb.12796:                            ;   in Loop: Header=BB6_12546 Depth=2
	v_mov_b32_e32 v17, 0
	s_mov_b32 s42, exec_lo
	v_cmpx_ne_u32_e32 0, v3
	s_cbranch_execz .LBB6_12808
; %bb.12797:                            ;   in Loop: Header=BB6_12546 Depth=2
	v_bfe_u32 v3, v3, 23, 8
	v_or_b32_e32 v7, 0x800000, v24
	s_delay_alu instid0(VALU_DEP_2) | instskip(SKIP_1) | instid1(VALU_DEP_3)
	v_cmp_eq_u32_e32 vcc_lo, 0, v3
	v_cmp_gt_u32_e64 s7, 0x72, v3
	v_dual_cndmask_b32 v24, v7, v24 :: v_dual_sub_nc_u32 v5, 0x71, v3
	s_delay_alu instid0(VALU_DEP_1) | instskip(NEXT) | instid1(VALU_DEP_1)
	v_cndmask_b32_e64 v5, 0, v5, s7
	v_cndmask_b32_e64 v5, v5, 0x70, vcc_lo
	s_delay_alu instid0(VALU_DEP_1) | instskip(NEXT) | instid1(VALU_DEP_1)
	v_add_nc_u32_e32 v7, 21, v5
	v_lshlrev_b64_e64 v[16:17], v7, -1
	v_add_nc_u32_e32 v7, 20, v5
	s_delay_alu instid0(VALU_DEP_1) | instskip(NEXT) | instid1(VALU_DEP_3)
	v_lshlrev_b64_e64 v[18:19], v7, 1
	v_bfi_b32 v17, v17, 0, 0
	s_delay_alu instid0(VALU_DEP_4) | instskip(NEXT) | instid1(VALU_DEP_1)
	v_bfi_b32 v16, v16, 0, v24
	v_cmp_eq_u64_e64 s7, v[16:17], v[18:19]
	v_lshrrev_b64 v[16:17], v5, v[24:25]
	s_delay_alu instid0(VALU_DEP_1)
	v_mov_b64_e32 v[18:19], v[16:17]
	s_and_saveexec_b32 s43, s7
; %bb.12798:                            ;   in Loop: Header=BB6_12546 Depth=2
	v_bfe_u32 v24, v16, 21, 1
	s_delay_alu instid0(VALU_DEP_1) | instskip(NEXT) | instid1(VALU_DEP_1)
	v_add_nc_u64_e32 v[18:19], v[16:17], v[24:25]
	v_add_nc_u64_e32 v[18:19], -1, v[18:19]
; %bb.12799:                            ;   in Loop: Header=BB6_12546 Depth=2
	s_or_b32 exec_lo, exec_lo, s43
	v_add_nc_u32_e32 v3, 0xffffff81, v3
	v_lshrrev_b32_e32 v7, 23, v16
	s_mov_b32 s7, exec_lo
	s_delay_alu instid0(VALU_DEP_2) | instskip(NEXT) | instid1(VALU_DEP_1)
	v_cndmask_b32_e64 v3, v3, 0xffffff82, vcc_lo
	v_add3_u32 v7, v5, v3, v7
	v_and_b32_e32 v3, 0x1fffff, v18
	s_delay_alu instid0(VALU_DEP_1) | instskip(NEXT) | instid1(VALU_DEP_1)
	v_dual_add_nc_u32 v5, 14, v7 :: v_dual_add_nc_u32 v24, v3, v16
                                        ; implicit-def: $vgpr16_vgpr17
                                        ; implicit-def: $vgpr3
	v_cmpx_ne_u32_e32 0, v5
	s_xor_b32 s7, exec_lo, s7
; %bb.12800:                            ;   in Loop: Header=BB6_12546 Depth=2
	s_delay_alu instid0(VALU_DEP_2) | instskip(SKIP_1) | instid1(VALU_DEP_1)
	v_cmp_lt_u64_e32 vcc_lo, 0xffffff, v[24:25]
	v_add_nc_u32_e32 v3, 15, v7
	v_cndmask_b32_e32 v3, v5, v3, vcc_lo
	v_cndmask_b32_e64 v5, 0, 1, vcc_lo
	s_delay_alu instid0(VALU_DEP_1)
	v_lshrrev_b64 v[16:17], v5, v[24:25]
; %bb.12801:                            ;   in Loop: Header=BB6_12546 Depth=2
	s_and_not1_saveexec_b32 s7, s7
; %bb.12802:                            ;   in Loop: Header=BB6_12546 Depth=2
	v_mov_b64_e32 v[16:17], v[24:25]
	v_bfe_u32 v3, v24, 23, 1
; %bb.12803:                            ;   in Loop: Header=BB6_12546 Depth=2
	s_or_b32 exec_lo, exec_lo, s7
	s_delay_alu instid0(VALU_DEP_2) | instskip(NEXT) | instid1(VALU_DEP_2)
	v_lshrrev_b64 v[16:17], 21, v[16:17]
	v_cmp_gt_i32_e32 vcc_lo, 32, v3
	v_cmp_ne_u32_e64 s7, 0, v3
	s_delay_alu instid0(VALU_DEP_3) | instskip(NEXT) | instid1(VALU_DEP_1)
	v_dual_cndmask_b32 v17, 0, v17 :: v_dual_cndmask_b32 v16, 3, v16
	v_cmp_ne_u64_e32 vcc_lo, 0, v[16:17]
                                        ; implicit-def: $vgpr17
	s_or_b32 s7, s7, vcc_lo
	s_delay_alu instid0(SALU_CYCLE_1) | instskip(NEXT) | instid1(SALU_CYCLE_1)
	s_and_saveexec_b32 s43, s7
	s_xor_b32 s7, exec_lo, s43
; %bb.12804:                            ;   in Loop: Header=BB6_12546 Depth=2
	v_min_i32_e32 v3, 31, v3
	s_delay_alu instid0(VALU_DEP_1) | instskip(NEXT) | instid1(VALU_DEP_1)
	v_lshl_or_b32 v1, v3, 2, v1
	v_and_or_b32 v17, v16, 3, v1
                                        ; implicit-def: $vgpr1
; %bb.12805:                            ;   in Loop: Header=BB6_12546 Depth=2
	s_and_not1_saveexec_b32 s7, s7
; %bb.12806:                            ;   in Loop: Header=BB6_12546 Depth=2
	v_mov_b32_e32 v17, v1
; %bb.12807:                            ;   in Loop: Header=BB6_12546 Depth=2
	s_or_b32 exec_lo, exec_lo, s7
.LBB6_12808:                            ;   in Loop: Header=BB6_12546 Depth=2
	s_delay_alu instid0(SALU_CYCLE_1)
	s_or_b32 exec_lo, exec_lo, s42
                                        ; implicit-def: $vgpr1
.LBB6_12809:                            ;   in Loop: Header=BB6_12546 Depth=2
	s_and_not1_saveexec_b32 s7, s41
; %bb.12810:                            ;   in Loop: Header=BB6_12546 Depth=2
	v_or_b32_e32 v17, 0x7b, v1
; %bb.12811:                            ;   in Loop: Header=BB6_12546 Depth=2
	s_or_b32 exec_lo, exec_lo, s7
                                        ; implicit-def: $vgpr3
.LBB6_12812:                            ;   in Loop: Header=BB6_12546 Depth=2
	s_and_not1_saveexec_b32 s7, s10
	s_cbranch_execz .LBB6_12818
; %bb.12813:                            ;   in Loop: Header=BB6_12546 Depth=2
	s_mov_b32 s10, exec_lo
                                        ; implicit-def: $vgpr17
	v_cmpx_ne_u64_e32 0, v[24:25]
	s_xor_b32 s10, exec_lo, s10
; %bb.12814:                            ;   in Loop: Header=BB6_12546 Depth=2
	v_lshrrev_b32_e32 v1, 24, v3
                                        ; implicit-def: $vgpr3
	s_delay_alu instid0(VALU_DEP_1)
	v_or_b32_e32 v17, 0x7f, v1
; %bb.12815:                            ;   in Loop: Header=BB6_12546 Depth=2
	s_and_not1_saveexec_b32 s10, s10
; %bb.12816:                            ;   in Loop: Header=BB6_12546 Depth=2
	v_cmp_lt_i32_e32 vcc_lo, -1, v3
	v_cndmask_b32_e64 v17, -4, 0x7c, vcc_lo
; %bb.12817:                            ;   in Loop: Header=BB6_12546 Depth=2
	s_or_b32 exec_lo, exec_lo, s10
.LBB6_12818:                            ;   in Loop: Header=BB6_12546 Depth=2
	s_delay_alu instid0(SALU_CYCLE_1)
	s_or_b32 exec_lo, exec_lo, s7
	v_and_b32_e32 v1, 0xff, v8
	v_cmp_ne_u16_e64 s7, 0, v8
	s_and_not1_b32 vcc_lo, exec_lo, s14
	s_mov_b32 s10, -1
                                        ; implicit-def: $vgpr3
	s_cbranch_vccnz .LBB6_12840
; %bb.12819:                            ;   in Loop: Header=BB6_12546 Depth=2
	v_dual_mov_b32 v5, 0 :: v_dual_mov_b32 v3, 0
	s_and_saveexec_b32 s10, s7
	s_cbranch_execz .LBB6_12829
; %bb.12820:                            ;   in Loop: Header=BB6_12546 Depth=2
	v_bfrev_b32_e32 v3, 1
	s_mov_b32 s41, exec_lo
	v_cmpx_ne_u16_e32 0xff80, v8
	s_cbranch_execz .LBB6_12828
; %bb.12821:                            ;   in Loop: Header=BB6_12546 Depth=2
	v_and_b32_e32 v3, 0x7c, v1
	v_and_b32_e32 v7, 3, v1
	s_delay_alu instid0(VALU_DEP_2) | instskip(SKIP_1) | instid1(SALU_CYCLE_1)
	v_cmp_ne_u32_e32 vcc_lo, 0x7c, v3
                                        ; implicit-def: $vgpr3
	s_and_saveexec_b32 s42, vcc_lo
	s_xor_b32 s42, exec_lo, s42
	s_cbranch_execz .LBB6_12825
; %bb.12822:                            ;   in Loop: Header=BB6_12546 Depth=2
	v_bfe_u32 v3, v1, 2, 5
	s_mov_b32 s43, exec_lo
	s_delay_alu instid0(VALU_DEP_1)
	v_cmpx_eq_u32_e32 0, v3
	s_cbranch_execz .LBB6_12824
; %bb.12823:                            ;   in Loop: Header=BB6_12546 Depth=2
	v_clz_i32_u32_e32 v3, v7
	s_delay_alu instid0(VALU_DEP_1) | instskip(SKIP_1) | instid1(VALU_DEP_2)
	v_min_u32_e32 v3, 32, v3
	v_mov_b32_e32 v9, v25
	v_subrev_nc_u32_e32 v7, 29, v3
	v_sub_nc_u32_e32 v3, 30, v3
	s_delay_alu instid0(VALU_DEP_2) | instskip(NEXT) | instid1(VALU_DEP_1)
	v_lshlrev_b64_e32 v[18:19], v7, v[8:9]
	v_and_b32_e32 v7, 3, v18
.LBB6_12824:                            ;   in Loop: Header=BB6_12546 Depth=2
	s_or_b32 exec_lo, exec_lo, s43
	v_bfe_i32 v9, v8, 0, 16
	s_delay_alu instid0(VALU_DEP_1) | instskip(NEXT) | instid1(VALU_DEP_1)
	v_and_b32_e32 v9, 0x80000000, v9
	v_lshl_add_u32 v3, v3, 23, v9
	s_delay_alu instid0(VALU_DEP_1) | instskip(NEXT) | instid1(VALU_DEP_1)
	v_lshl_or_b32 v3, v7, 21, v3
                                        ; implicit-def: $vgpr7
	v_add_nc_u32_e32 v3, 0x38000000, v3
.LBB6_12825:                            ;   in Loop: Header=BB6_12546 Depth=2
	s_and_not1_saveexec_b32 s42, s42
; %bb.12826:                            ;   in Loop: Header=BB6_12546 Depth=2
	v_cmp_lt_i16_e32 vcc_lo, -1, v8
	v_cndmask_b32_e32 v3, 0xff800000, v40, vcc_lo
	v_cmp_eq_u32_e32 vcc_lo, 0, v7
	s_delay_alu instid0(VALU_DEP_2)
	v_cndmask_b32_e32 v3, 0x7f800001, v3, vcc_lo
; %bb.12827:                            ;   in Loop: Header=BB6_12546 Depth=2
	s_or_b32 exec_lo, exec_lo, s42
.LBB6_12828:                            ;   in Loop: Header=BB6_12546 Depth=2
	s_delay_alu instid0(SALU_CYCLE_1)
	s_or_b32 exec_lo, exec_lo, s41
.LBB6_12829:                            ;   in Loop: Header=BB6_12546 Depth=2
	s_delay_alu instid0(SALU_CYCLE_1) | instskip(NEXT) | instid1(SALU_CYCLE_1)
	s_or_b32 exec_lo, exec_lo, s10
	s_mov_b32 s10, exec_lo
	v_cmpx_ne_u16_e32 0, v6
	s_cbranch_execz .LBB6_12839
; %bb.12830:                            ;   in Loop: Header=BB6_12546 Depth=2
	v_bfrev_b32_e32 v5, 1
	s_mov_b32 s41, exec_lo
	v_cmpx_ne_u16_e32 0xff80, v6
	s_cbranch_execz .LBB6_12838
; %bb.12831:                            ;   in Loop: Header=BB6_12546 Depth=2
	v_and_b32_e32 v5, 0x7c, v6
	v_and_b32_e32 v7, 3, v6
	s_delay_alu instid0(VALU_DEP_2) | instskip(SKIP_1) | instid1(SALU_CYCLE_1)
	v_cmp_ne_u32_e32 vcc_lo, 0x7c, v5
                                        ; implicit-def: $vgpr5
	s_and_saveexec_b32 s42, vcc_lo
	s_xor_b32 s42, exec_lo, s42
	s_cbranch_execz .LBB6_12835
; %bb.12832:                            ;   in Loop: Header=BB6_12546 Depth=2
	v_and_b32_e32 v5, 0xff, v6
	s_mov_b32 s43, exec_lo
	s_delay_alu instid0(VALU_DEP_1) | instskip(NEXT) | instid1(VALU_DEP_1)
	v_bfe_u32 v5, v5, 2, 5
	v_cmpx_eq_u32_e32 0, v5
	s_cbranch_execz .LBB6_12834
; %bb.12833:                            ;   in Loop: Header=BB6_12546 Depth=2
	v_clz_i32_u32_e32 v5, v7
	s_delay_alu instid0(VALU_DEP_1) | instskip(SKIP_1) | instid1(VALU_DEP_2)
	v_min_u32_e32 v5, 32, v5
	v_mov_b32_e32 v7, v25
	v_subrev_nc_u32_e32 v9, 29, v5
	v_sub_nc_u32_e32 v5, 30, v5
	s_delay_alu instid0(VALU_DEP_2) | instskip(NEXT) | instid1(VALU_DEP_1)
	v_lshlrev_b64_e32 v[18:19], v9, v[6:7]
	v_and_b32_e32 v7, 3, v18
.LBB6_12834:                            ;   in Loop: Header=BB6_12546 Depth=2
	s_or_b32 exec_lo, exec_lo, s43
	v_bfe_i32 v9, v6, 0, 16
	s_delay_alu instid0(VALU_DEP_1) | instskip(NEXT) | instid1(VALU_DEP_1)
	v_and_b32_e32 v9, 0x80000000, v9
	v_lshl_add_u32 v5, v5, 23, v9
	s_delay_alu instid0(VALU_DEP_1) | instskip(NEXT) | instid1(VALU_DEP_1)
	v_lshl_or_b32 v5, v7, 21, v5
                                        ; implicit-def: $vgpr7
	v_add_nc_u32_e32 v5, 0x38000000, v5
.LBB6_12835:                            ;   in Loop: Header=BB6_12546 Depth=2
	s_and_not1_saveexec_b32 s42, s42
; %bb.12836:                            ;   in Loop: Header=BB6_12546 Depth=2
	v_cmp_lt_i16_e32 vcc_lo, -1, v6
	v_cndmask_b32_e32 v5, 0xff800000, v40, vcc_lo
	v_cmp_eq_u32_e32 vcc_lo, 0, v7
	s_delay_alu instid0(VALU_DEP_2)
	v_cndmask_b32_e32 v5, 0x7f800001, v5, vcc_lo
; %bb.12837:                            ;   in Loop: Header=BB6_12546 Depth=2
	s_or_b32 exec_lo, exec_lo, s42
.LBB6_12838:                            ;   in Loop: Header=BB6_12546 Depth=2
	s_delay_alu instid0(SALU_CYCLE_1)
	s_or_b32 exec_lo, exec_lo, s41
.LBB6_12839:                            ;   in Loop: Header=BB6_12546 Depth=2
	s_delay_alu instid0(SALU_CYCLE_1) | instskip(NEXT) | instid1(VALU_DEP_1)
	s_or_b32 exec_lo, exec_lo, s10
	v_dual_max_num_f32 v5, v5, v5 :: v_dual_max_num_f32 v3, v3, v3
	s_mov_b32 s10, 0
	s_delay_alu instid0(VALU_DEP_1)
	v_max_num_f32_e32 v3, v3, v5
.LBB6_12840:                            ;   in Loop: Header=BB6_12546 Depth=2
	s_and_b32 vcc_lo, exec_lo, s10
	s_cbranch_vccz .LBB6_12862
; %bb.12841:                            ;   in Loop: Header=BB6_12546 Depth=2
	v_dual_mov_b32 v5, 0 :: v_dual_mov_b32 v3, 0
	s_and_saveexec_b32 s10, s7
	s_cbranch_execz .LBB6_12851
; %bb.12842:                            ;   in Loop: Header=BB6_12546 Depth=2
	v_bfrev_b32_e32 v3, 1
	s_mov_b32 s7, exec_lo
	v_cmpx_ne_u16_e32 0xff80, v8
	s_cbranch_execz .LBB6_12850
; %bb.12843:                            ;   in Loop: Header=BB6_12546 Depth=2
	v_and_b32_e32 v3, 0x7c, v1
	v_and_b32_e32 v7, 3, v1
	s_delay_alu instid0(VALU_DEP_2) | instskip(SKIP_1) | instid1(SALU_CYCLE_1)
	v_cmp_ne_u32_e32 vcc_lo, 0x7c, v3
                                        ; implicit-def: $vgpr3
	s_and_saveexec_b32 s41, vcc_lo
	s_xor_b32 s41, exec_lo, s41
	s_cbranch_execz .LBB6_12847
; %bb.12844:                            ;   in Loop: Header=BB6_12546 Depth=2
	v_bfe_u32 v1, v1, 2, 5
	s_mov_b32 s42, exec_lo
	s_delay_alu instid0(VALU_DEP_1)
	v_cmpx_eq_u32_e32 0, v1
	s_cbranch_execz .LBB6_12846
; %bb.12845:                            ;   in Loop: Header=BB6_12546 Depth=2
	v_clz_i32_u32_e32 v1, v7
	s_delay_alu instid0(VALU_DEP_1) | instskip(SKIP_1) | instid1(VALU_DEP_2)
	v_min_u32_e32 v1, 32, v1
	v_mov_b32_e32 v9, v25
	v_subrev_nc_u32_e32 v3, 29, v1
	v_sub_nc_u32_e32 v1, 30, v1
	s_delay_alu instid0(VALU_DEP_2) | instskip(NEXT) | instid1(VALU_DEP_1)
	v_lshlrev_b64_e32 v[18:19], v3, v[8:9]
	v_and_b32_e32 v7, 3, v18
.LBB6_12846:                            ;   in Loop: Header=BB6_12546 Depth=2
	s_or_b32 exec_lo, exec_lo, s42
	v_bfe_i32 v3, v8, 0, 16
                                        ; implicit-def: $vgpr8
	s_delay_alu instid0(VALU_DEP_1) | instskip(NEXT) | instid1(VALU_DEP_1)
	v_and_b32_e32 v3, 0x80000000, v3
	v_lshl_add_u32 v1, v1, 23, v3
	s_delay_alu instid0(VALU_DEP_1) | instskip(NEXT) | instid1(VALU_DEP_1)
	v_lshl_or_b32 v1, v7, 21, v1
                                        ; implicit-def: $vgpr7
	v_add_nc_u32_e32 v3, 0x38000000, v1
.LBB6_12847:                            ;   in Loop: Header=BB6_12546 Depth=2
	s_and_not1_saveexec_b32 s41, s41
; %bb.12848:                            ;   in Loop: Header=BB6_12546 Depth=2
	v_cmp_lt_i16_e32 vcc_lo, -1, v8
	v_cndmask_b32_e32 v1, 0xff800000, v40, vcc_lo
	v_cmp_eq_u32_e32 vcc_lo, 0, v7
	s_delay_alu instid0(VALU_DEP_2)
	v_cndmask_b32_e32 v3, 0x7f800001, v1, vcc_lo
; %bb.12849:                            ;   in Loop: Header=BB6_12546 Depth=2
	s_or_b32 exec_lo, exec_lo, s41
.LBB6_12850:                            ;   in Loop: Header=BB6_12546 Depth=2
	s_delay_alu instid0(SALU_CYCLE_1)
	s_or_b32 exec_lo, exec_lo, s7
.LBB6_12851:                            ;   in Loop: Header=BB6_12546 Depth=2
	s_delay_alu instid0(SALU_CYCLE_1) | instskip(NEXT) | instid1(SALU_CYCLE_1)
	s_or_b32 exec_lo, exec_lo, s10
	s_mov_b32 s7, exec_lo
	v_cmpx_ne_u16_e32 0, v6
	s_cbranch_execz .LBB6_12861
; %bb.12852:                            ;   in Loop: Header=BB6_12546 Depth=2
	v_bfrev_b32_e32 v5, 1
	s_mov_b32 s10, exec_lo
	v_cmpx_ne_u16_e32 0xff80, v6
	s_cbranch_execz .LBB6_12860
; %bb.12853:                            ;   in Loop: Header=BB6_12546 Depth=2
	v_and_b32_e32 v5, 0x7c, v6
	v_and_b32_e32 v1, 3, v6
	s_delay_alu instid0(VALU_DEP_2) | instskip(SKIP_1) | instid1(SALU_CYCLE_1)
	v_cmp_ne_u32_e32 vcc_lo, 0x7c, v5
                                        ; implicit-def: $vgpr5
	s_and_saveexec_b32 s41, vcc_lo
	s_xor_b32 s41, exec_lo, s41
	s_cbranch_execz .LBB6_12857
; %bb.12854:                            ;   in Loop: Header=BB6_12546 Depth=2
	v_and_b32_e32 v5, 0xff, v6
	s_mov_b32 s42, exec_lo
	s_delay_alu instid0(VALU_DEP_1) | instskip(NEXT) | instid1(VALU_DEP_1)
	v_bfe_u32 v5, v5, 2, 5
	v_cmpx_eq_u32_e32 0, v5
; %bb.12855:                            ;   in Loop: Header=BB6_12546 Depth=2
	v_clz_i32_u32_e32 v1, v1
	s_delay_alu instid0(VALU_DEP_1) | instskip(SKIP_1) | instid1(VALU_DEP_2)
	v_min_u32_e32 v1, 32, v1
	v_mov_b32_e32 v7, v25
	v_subrev_nc_u32_e32 v5, 29, v1
	s_delay_alu instid0(VALU_DEP_1) | instskip(NEXT) | instid1(VALU_DEP_1)
	v_lshlrev_b64_e32 v[8:9], v5, v[6:7]
	v_dual_sub_nc_u32 v5, 30, v1 :: v_dual_bitop2_b32 v1, 3, v8 bitop3:0x40
; %bb.12856:                            ;   in Loop: Header=BB6_12546 Depth=2
	s_or_b32 exec_lo, exec_lo, s42
	v_bfe_i32 v6, v6, 0, 16
	s_delay_alu instid0(VALU_DEP_1) | instskip(NEXT) | instid1(VALU_DEP_1)
	v_and_b32_e32 v6, 0x80000000, v6
	v_lshl_add_u32 v5, v5, 23, v6
                                        ; implicit-def: $vgpr6
	s_delay_alu instid0(VALU_DEP_1) | instskip(NEXT) | instid1(VALU_DEP_1)
	v_lshl_or_b32 v1, v1, 21, v5
	v_add_nc_u32_e32 v5, 0x38000000, v1
                                        ; implicit-def: $vgpr1
.LBB6_12857:                            ;   in Loop: Header=BB6_12546 Depth=2
	s_and_not1_saveexec_b32 s41, s41
; %bb.12858:                            ;   in Loop: Header=BB6_12546 Depth=2
	v_cmp_lt_i16_e32 vcc_lo, -1, v6
	v_cndmask_b32_e32 v5, 0xff800000, v40, vcc_lo
	v_cmp_eq_u32_e32 vcc_lo, 0, v1
	s_delay_alu instid0(VALU_DEP_2)
	v_cndmask_b32_e32 v5, 0x7f800001, v5, vcc_lo
; %bb.12859:                            ;   in Loop: Header=BB6_12546 Depth=2
	s_or_b32 exec_lo, exec_lo, s41
.LBB6_12860:                            ;   in Loop: Header=BB6_12546 Depth=2
	s_delay_alu instid0(SALU_CYCLE_1)
	s_or_b32 exec_lo, exec_lo, s10
.LBB6_12861:                            ;   in Loop: Header=BB6_12546 Depth=2
	s_delay_alu instid0(SALU_CYCLE_1) | instskip(NEXT) | instid1(VALU_DEP_1)
	s_or_b32 exec_lo, exec_lo, s7
	v_dual_max_num_f32 v1, v5, v5 :: v_dual_max_num_f32 v3, v3, v3
	s_delay_alu instid0(VALU_DEP_1)
	v_min_num_f32_e32 v3, v3, v1
.LBB6_12862:                            ;   in Loop: Header=BB6_12546 Depth=2
	s_delay_alu instid0(VALU_DEP_1) | instskip(SKIP_3) | instid1(VALU_DEP_2)
	v_and_b32_e32 v6, 0x7f800000, v3
	v_mov_b32_e32 v7, v25
	v_and_b32_e32 v24, 0x7fffff, v3
                                        ; implicit-def: $vgpr16
	s_mov_b32 s7, exec_lo
	v_cmpx_ne_u64_e32 0x7f800000, v[6:7]
	s_xor_b32 s10, exec_lo, s7
	s_cbranch_execz .LBB6_12880
; %bb.12863:                            ;   in Loop: Header=BB6_12546 Depth=2
	v_dual_mov_b32 v7, v25 :: v_dual_lshrrev_b32 v1, 24, v3
	v_and_b32_e32 v6, 0x7fffffff, v3
                                        ; implicit-def: $vgpr16
	s_mov_b32 s7, exec_lo
	s_delay_alu instid0(VALU_DEP_2) | instskip(NEXT) | instid1(VALU_DEP_2)
	v_and_b32_e32 v1, 0x80, v1
	v_cmpx_gt_u64_e32 0x47600001, v[6:7]
	s_xor_b32 s41, exec_lo, s7
	s_cbranch_execz .LBB6_12877
; %bb.12864:                            ;   in Loop: Header=BB6_12546 Depth=2
	v_mov_b32_e32 v16, 0
	s_mov_b32 s42, exec_lo
	v_cmpx_ne_u32_e32 0, v3
	s_cbranch_execz .LBB6_12876
; %bb.12865:                            ;   in Loop: Header=BB6_12546 Depth=2
	v_bfe_u32 v3, v3, 23, 8
	v_or_b32_e32 v6, 0x800000, v24
	s_delay_alu instid0(VALU_DEP_2) | instskip(SKIP_1) | instid1(VALU_DEP_3)
	v_cmp_eq_u32_e32 vcc_lo, 0, v3
	v_cmp_gt_u32_e64 s7, 0x72, v3
	v_dual_cndmask_b32 v24, v6, v24 :: v_dual_sub_nc_u32 v5, 0x71, v3
	s_delay_alu instid0(VALU_DEP_1) | instskip(NEXT) | instid1(VALU_DEP_1)
	v_cndmask_b32_e64 v5, 0, v5, s7
	v_cndmask_b32_e64 v5, v5, 0x70, vcc_lo
	s_delay_alu instid0(VALU_DEP_1) | instskip(NEXT) | instid1(VALU_DEP_1)
	v_dual_add_nc_u32 v6, 21, v5 :: v_dual_add_nc_u32 v8, 20, v5
	v_lshlrev_b64_e64 v[6:7], v6, -1
	s_delay_alu instid0(VALU_DEP_2) | instskip(NEXT) | instid1(VALU_DEP_2)
	v_lshlrev_b64_e64 v[8:9], v8, 1
	v_bfi_b32 v7, v7, 0, 0
	s_delay_alu instid0(VALU_DEP_3) | instskip(NEXT) | instid1(VALU_DEP_1)
	v_bfi_b32 v6, v6, 0, v24
	v_cmp_eq_u64_e64 s7, v[6:7], v[8:9]
	v_lshrrev_b64 v[6:7], v5, v[24:25]
	s_delay_alu instid0(VALU_DEP_1)
	v_mov_b64_e32 v[8:9], v[6:7]
	s_and_saveexec_b32 s43, s7
; %bb.12866:                            ;   in Loop: Header=BB6_12546 Depth=2
	v_bfe_u32 v24, v6, 21, 1
	s_delay_alu instid0(VALU_DEP_1) | instskip(NEXT) | instid1(VALU_DEP_1)
	v_add_nc_u64_e32 v[8:9], v[6:7], v[24:25]
	v_add_nc_u64_e32 v[8:9], -1, v[8:9]
; %bb.12867:                            ;   in Loop: Header=BB6_12546 Depth=2
	s_or_b32 exec_lo, exec_lo, s43
	v_add_nc_u32_e32 v3, 0xffffff81, v3
	v_lshrrev_b32_e32 v7, 23, v6
	s_mov_b32 s7, exec_lo
	s_delay_alu instid0(VALU_DEP_2) | instskip(NEXT) | instid1(VALU_DEP_1)
	v_cndmask_b32_e64 v3, v3, 0xffffff82, vcc_lo
	v_add3_u32 v5, v5, v3, v7
	v_and_b32_e32 v3, 0x1fffff, v8
	s_delay_alu instid0(VALU_DEP_1) | instskip(NEXT) | instid1(VALU_DEP_1)
	v_dual_add_nc_u32 v8, 14, v5 :: v_dual_add_nc_u32 v24, v3, v6
                                        ; implicit-def: $vgpr6_vgpr7
                                        ; implicit-def: $vgpr3
	v_cmpx_ne_u32_e32 0, v8
	s_xor_b32 s7, exec_lo, s7
; %bb.12868:                            ;   in Loop: Header=BB6_12546 Depth=2
	s_delay_alu instid0(VALU_DEP_2) | instskip(SKIP_2) | instid1(VALU_DEP_2)
	v_cmp_lt_u64_e32 vcc_lo, 0xffffff, v[24:25]
	v_add_nc_u32_e32 v3, 15, v5
	v_cndmask_b32_e64 v5, 0, 1, vcc_lo
	v_cndmask_b32_e32 v3, v8, v3, vcc_lo
	s_delay_alu instid0(VALU_DEP_2)
	v_lshrrev_b64 v[6:7], v5, v[24:25]
; %bb.12869:                            ;   in Loop: Header=BB6_12546 Depth=2
	s_and_not1_saveexec_b32 s7, s7
; %bb.12870:                            ;   in Loop: Header=BB6_12546 Depth=2
	v_mov_b64_e32 v[6:7], v[24:25]
	v_bfe_u32 v3, v24, 23, 1
; %bb.12871:                            ;   in Loop: Header=BB6_12546 Depth=2
	s_or_b32 exec_lo, exec_lo, s7
	s_delay_alu instid0(VALU_DEP_2) | instskip(NEXT) | instid1(VALU_DEP_2)
	v_lshrrev_b64 v[6:7], 21, v[6:7]
	v_cmp_gt_i32_e32 vcc_lo, 32, v3
	v_cmp_ne_u32_e64 s7, 0, v3
                                        ; implicit-def: $vgpr16
	s_delay_alu instid0(VALU_DEP_3) | instskip(NEXT) | instid1(VALU_DEP_1)
	v_dual_cndmask_b32 v7, 0, v7 :: v_dual_cndmask_b32 v6, 3, v6
	v_cmp_ne_u64_e32 vcc_lo, 0, v[6:7]
	s_or_b32 s7, s7, vcc_lo
	s_delay_alu instid0(SALU_CYCLE_1) | instskip(NEXT) | instid1(SALU_CYCLE_1)
	s_and_saveexec_b32 s43, s7
	s_xor_b32 s7, exec_lo, s43
; %bb.12872:                            ;   in Loop: Header=BB6_12546 Depth=2
	v_min_i32_e32 v3, 31, v3
	s_delay_alu instid0(VALU_DEP_1) | instskip(NEXT) | instid1(VALU_DEP_1)
	v_lshl_or_b32 v1, v3, 2, v1
	v_and_or_b32 v16, v6, 3, v1
                                        ; implicit-def: $vgpr1
; %bb.12873:                            ;   in Loop: Header=BB6_12546 Depth=2
	s_and_not1_saveexec_b32 s7, s7
; %bb.12874:                            ;   in Loop: Header=BB6_12546 Depth=2
	v_mov_b32_e32 v16, v1
; %bb.12875:                            ;   in Loop: Header=BB6_12546 Depth=2
	s_or_b32 exec_lo, exec_lo, s7
.LBB6_12876:                            ;   in Loop: Header=BB6_12546 Depth=2
	s_delay_alu instid0(SALU_CYCLE_1)
	s_or_b32 exec_lo, exec_lo, s42
                                        ; implicit-def: $vgpr1
.LBB6_12877:                            ;   in Loop: Header=BB6_12546 Depth=2
	s_and_not1_saveexec_b32 s7, s41
; %bb.12878:                            ;   in Loop: Header=BB6_12546 Depth=2
	v_or_b32_e32 v16, 0x7b, v1
; %bb.12879:                            ;   in Loop: Header=BB6_12546 Depth=2
	s_or_b32 exec_lo, exec_lo, s7
                                        ; implicit-def: $vgpr3
.LBB6_12880:                            ;   in Loop: Header=BB6_12546 Depth=2
	s_and_not1_saveexec_b32 s7, s10
	s_cbranch_execz .LBB6_12886
; %bb.12881:                            ;   in Loop: Header=BB6_12546 Depth=2
	s_mov_b32 s10, exec_lo
                                        ; implicit-def: $vgpr16
	v_cmpx_ne_u64_e32 0, v[24:25]
	s_xor_b32 s10, exec_lo, s10
; %bb.12882:                            ;   in Loop: Header=BB6_12546 Depth=2
	v_lshrrev_b32_e32 v1, 24, v3
                                        ; implicit-def: $vgpr3
	s_delay_alu instid0(VALU_DEP_1)
	v_or_b32_e32 v16, 0x7f, v1
; %bb.12883:                            ;   in Loop: Header=BB6_12546 Depth=2
	s_and_not1_saveexec_b32 s10, s10
; %bb.12884:                            ;   in Loop: Header=BB6_12546 Depth=2
	v_cmp_lt_i32_e32 vcc_lo, -1, v3
	v_cndmask_b32_e64 v16, -4, 0x7c, vcc_lo
; %bb.12885:                            ;   in Loop: Header=BB6_12546 Depth=2
	s_or_b32 exec_lo, exec_lo, s10
.LBB6_12886:                            ;   in Loop: Header=BB6_12546 Depth=2
	s_delay_alu instid0(SALU_CYCLE_1)
	s_or_b32 exec_lo, exec_lo, s7
	v_and_b32_e32 v1, 0xff, v102
	v_cmp_ne_u16_e64 s7, 0, v102
	s_and_not1_b32 vcc_lo, exec_lo, s14
	s_mov_b32 s10, -1
                                        ; implicit-def: $vgpr3
	s_cbranch_vccnz .LBB6_12908
; %bb.12887:                            ;   in Loop: Header=BB6_12546 Depth=2
	v_dual_mov_b32 v5, 0 :: v_dual_mov_b32 v3, 0
	s_and_saveexec_b32 s10, s7
	s_cbranch_execz .LBB6_12897
; %bb.12888:                            ;   in Loop: Header=BB6_12546 Depth=2
	v_bfrev_b32_e32 v3, 1
	s_mov_b32 s41, exec_lo
	v_cmpx_ne_u16_e32 0xff80, v102
	s_cbranch_execz .LBB6_12896
; %bb.12889:                            ;   in Loop: Header=BB6_12546 Depth=2
	v_and_b32_e32 v3, 0x7c, v1
	v_and_b32_e32 v6, 3, v1
	s_delay_alu instid0(VALU_DEP_2) | instskip(SKIP_1) | instid1(SALU_CYCLE_1)
	v_cmp_ne_u32_e32 vcc_lo, 0x7c, v3
                                        ; implicit-def: $vgpr3
	s_and_saveexec_b32 s42, vcc_lo
	s_xor_b32 s42, exec_lo, s42
	s_cbranch_execz .LBB6_12893
; %bb.12890:                            ;   in Loop: Header=BB6_12546 Depth=2
	v_bfe_u32 v3, v1, 2, 5
	s_mov_b32 s43, exec_lo
	s_delay_alu instid0(VALU_DEP_1)
	v_cmpx_eq_u32_e32 0, v3
	s_cbranch_execz .LBB6_12892
; %bb.12891:                            ;   in Loop: Header=BB6_12546 Depth=2
	v_clz_i32_u32_e32 v3, v6
	s_delay_alu instid0(VALU_DEP_1) | instskip(SKIP_1) | instid1(VALU_DEP_2)
	v_min_u32_e32 v3, 32, v3
	v_mov_b32_e32 v103, v25
	v_subrev_nc_u32_e32 v6, 29, v3
	v_sub_nc_u32_e32 v3, 30, v3
	s_delay_alu instid0(VALU_DEP_2) | instskip(NEXT) | instid1(VALU_DEP_1)
	v_lshlrev_b64_e32 v[6:7], v6, v[102:103]
	v_and_b32_e32 v6, 3, v6
.LBB6_12892:                            ;   in Loop: Header=BB6_12546 Depth=2
	s_or_b32 exec_lo, exec_lo, s43
	v_bfe_i32 v7, v102, 0, 16
	s_delay_alu instid0(VALU_DEP_1) | instskip(NEXT) | instid1(VALU_DEP_1)
	v_and_b32_e32 v7, 0x80000000, v7
	v_lshl_add_u32 v3, v3, 23, v7
	s_delay_alu instid0(VALU_DEP_1) | instskip(NEXT) | instid1(VALU_DEP_1)
	v_lshl_or_b32 v3, v6, 21, v3
                                        ; implicit-def: $vgpr6
	v_add_nc_u32_e32 v3, 0x38000000, v3
.LBB6_12893:                            ;   in Loop: Header=BB6_12546 Depth=2
	s_and_not1_saveexec_b32 s42, s42
; %bb.12894:                            ;   in Loop: Header=BB6_12546 Depth=2
	v_cmp_lt_i16_e32 vcc_lo, -1, v102
	v_cndmask_b32_e32 v3, 0xff800000, v40, vcc_lo
	v_cmp_eq_u32_e32 vcc_lo, 0, v6
	s_delay_alu instid0(VALU_DEP_2)
	v_cndmask_b32_e32 v3, 0x7f800001, v3, vcc_lo
; %bb.12895:                            ;   in Loop: Header=BB6_12546 Depth=2
	s_or_b32 exec_lo, exec_lo, s42
.LBB6_12896:                            ;   in Loop: Header=BB6_12546 Depth=2
	s_delay_alu instid0(SALU_CYCLE_1)
	s_or_b32 exec_lo, exec_lo, s41
.LBB6_12897:                            ;   in Loop: Header=BB6_12546 Depth=2
	s_delay_alu instid0(SALU_CYCLE_1) | instskip(NEXT) | instid1(SALU_CYCLE_1)
	s_or_b32 exec_lo, exec_lo, s10
	s_mov_b32 s10, exec_lo
	v_cmpx_ne_u16_e32 0, v70
	s_cbranch_execz .LBB6_12907
; %bb.12898:                            ;   in Loop: Header=BB6_12546 Depth=2
	v_bfrev_b32_e32 v5, 1
	s_mov_b32 s41, exec_lo
	v_cmpx_ne_u16_e32 0xff80, v70
	s_cbranch_execz .LBB6_12906
; %bb.12899:                            ;   in Loop: Header=BB6_12546 Depth=2
	v_and_b32_e32 v5, 0x7c, v70
	v_and_b32_e32 v6, 3, v70
	s_delay_alu instid0(VALU_DEP_2) | instskip(SKIP_1) | instid1(SALU_CYCLE_1)
	v_cmp_ne_u32_e32 vcc_lo, 0x7c, v5
                                        ; implicit-def: $vgpr5
	s_and_saveexec_b32 s42, vcc_lo
	s_xor_b32 s42, exec_lo, s42
	s_cbranch_execz .LBB6_12903
; %bb.12900:                            ;   in Loop: Header=BB6_12546 Depth=2
	v_and_b32_e32 v5, 0xff, v70
	s_mov_b32 s43, exec_lo
	s_delay_alu instid0(VALU_DEP_1) | instskip(NEXT) | instid1(VALU_DEP_1)
	v_bfe_u32 v5, v5, 2, 5
	v_cmpx_eq_u32_e32 0, v5
	s_cbranch_execz .LBB6_12902
; %bb.12901:                            ;   in Loop: Header=BB6_12546 Depth=2
	v_clz_i32_u32_e32 v5, v6
	s_delay_alu instid0(VALU_DEP_1) | instskip(SKIP_1) | instid1(VALU_DEP_2)
	v_min_u32_e32 v5, 32, v5
	v_mov_b32_e32 v71, v25
	v_subrev_nc_u32_e32 v6, 29, v5
	v_sub_nc_u32_e32 v5, 30, v5
	s_delay_alu instid0(VALU_DEP_2) | instskip(NEXT) | instid1(VALU_DEP_1)
	v_lshlrev_b64_e32 v[6:7], v6, v[70:71]
	v_and_b32_e32 v6, 3, v6
.LBB6_12902:                            ;   in Loop: Header=BB6_12546 Depth=2
	s_or_b32 exec_lo, exec_lo, s43
	v_bfe_i32 v7, v70, 0, 16
	s_delay_alu instid0(VALU_DEP_1) | instskip(NEXT) | instid1(VALU_DEP_1)
	v_and_b32_e32 v7, 0x80000000, v7
	v_lshl_add_u32 v5, v5, 23, v7
	s_delay_alu instid0(VALU_DEP_1) | instskip(NEXT) | instid1(VALU_DEP_1)
	v_lshl_or_b32 v5, v6, 21, v5
                                        ; implicit-def: $vgpr6
	v_add_nc_u32_e32 v5, 0x38000000, v5
.LBB6_12903:                            ;   in Loop: Header=BB6_12546 Depth=2
	s_and_not1_saveexec_b32 s42, s42
; %bb.12904:                            ;   in Loop: Header=BB6_12546 Depth=2
	v_cmp_lt_i16_e32 vcc_lo, -1, v70
	v_cndmask_b32_e32 v5, 0xff800000, v40, vcc_lo
	v_cmp_eq_u32_e32 vcc_lo, 0, v6
	s_delay_alu instid0(VALU_DEP_2)
	v_cndmask_b32_e32 v5, 0x7f800001, v5, vcc_lo
; %bb.12905:                            ;   in Loop: Header=BB6_12546 Depth=2
	s_or_b32 exec_lo, exec_lo, s42
.LBB6_12906:                            ;   in Loop: Header=BB6_12546 Depth=2
	s_delay_alu instid0(SALU_CYCLE_1)
	s_or_b32 exec_lo, exec_lo, s41
.LBB6_12907:                            ;   in Loop: Header=BB6_12546 Depth=2
	s_delay_alu instid0(SALU_CYCLE_1) | instskip(NEXT) | instid1(VALU_DEP_1)
	s_or_b32 exec_lo, exec_lo, s10
	v_dual_max_num_f32 v5, v5, v5 :: v_dual_max_num_f32 v3, v3, v3
	s_mov_b32 s10, 0
	s_delay_alu instid0(VALU_DEP_1)
	v_max_num_f32_e32 v3, v3, v5
.LBB6_12908:                            ;   in Loop: Header=BB6_12546 Depth=2
	s_and_b32 vcc_lo, exec_lo, s10
	s_cbranch_vccz .LBB6_12930
; %bb.12909:                            ;   in Loop: Header=BB6_12546 Depth=2
	v_dual_mov_b32 v5, 0 :: v_dual_mov_b32 v3, 0
	s_and_saveexec_b32 s10, s7
	s_cbranch_execz .LBB6_12919
; %bb.12910:                            ;   in Loop: Header=BB6_12546 Depth=2
	v_bfrev_b32_e32 v3, 1
	s_mov_b32 s7, exec_lo
	v_cmpx_ne_u16_e32 0xff80, v102
	s_cbranch_execz .LBB6_12918
; %bb.12911:                            ;   in Loop: Header=BB6_12546 Depth=2
	v_and_b32_e32 v3, 0x7c, v1
	v_and_b32_e32 v6, 3, v1
	s_delay_alu instid0(VALU_DEP_2) | instskip(SKIP_1) | instid1(SALU_CYCLE_1)
	v_cmp_ne_u32_e32 vcc_lo, 0x7c, v3
                                        ; implicit-def: $vgpr3
	s_and_saveexec_b32 s41, vcc_lo
	s_xor_b32 s41, exec_lo, s41
	s_cbranch_execz .LBB6_12915
; %bb.12912:                            ;   in Loop: Header=BB6_12546 Depth=2
	v_bfe_u32 v1, v1, 2, 5
	s_mov_b32 s42, exec_lo
	s_delay_alu instid0(VALU_DEP_1)
	v_cmpx_eq_u32_e32 0, v1
	s_cbranch_execz .LBB6_12914
; %bb.12913:                            ;   in Loop: Header=BB6_12546 Depth=2
	v_clz_i32_u32_e32 v1, v6
	s_delay_alu instid0(VALU_DEP_1) | instskip(SKIP_1) | instid1(VALU_DEP_2)
	v_min_u32_e32 v1, 32, v1
	v_mov_b32_e32 v103, v25
	v_subrev_nc_u32_e32 v3, 29, v1
	v_sub_nc_u32_e32 v1, 30, v1
	s_delay_alu instid0(VALU_DEP_2) | instskip(NEXT) | instid1(VALU_DEP_1)
	v_lshlrev_b64_e32 v[6:7], v3, v[102:103]
	v_and_b32_e32 v6, 3, v6
.LBB6_12914:                            ;   in Loop: Header=BB6_12546 Depth=2
	s_or_b32 exec_lo, exec_lo, s42
	v_bfe_i32 v3, v102, 0, 16
                                        ; implicit-def: $vgpr102
	s_delay_alu instid0(VALU_DEP_1) | instskip(NEXT) | instid1(VALU_DEP_1)
	v_and_b32_e32 v3, 0x80000000, v3
	v_lshl_add_u32 v1, v1, 23, v3
	s_delay_alu instid0(VALU_DEP_1) | instskip(NEXT) | instid1(VALU_DEP_1)
	v_lshl_or_b32 v1, v6, 21, v1
                                        ; implicit-def: $vgpr6
	v_add_nc_u32_e32 v3, 0x38000000, v1
.LBB6_12915:                            ;   in Loop: Header=BB6_12546 Depth=2
	s_and_not1_saveexec_b32 s41, s41
; %bb.12916:                            ;   in Loop: Header=BB6_12546 Depth=2
	v_cmp_lt_i16_e32 vcc_lo, -1, v102
	v_cndmask_b32_e32 v1, 0xff800000, v40, vcc_lo
	v_cmp_eq_u32_e32 vcc_lo, 0, v6
	s_delay_alu instid0(VALU_DEP_2)
	v_cndmask_b32_e32 v3, 0x7f800001, v1, vcc_lo
; %bb.12917:                            ;   in Loop: Header=BB6_12546 Depth=2
	s_or_b32 exec_lo, exec_lo, s41
.LBB6_12918:                            ;   in Loop: Header=BB6_12546 Depth=2
	s_delay_alu instid0(SALU_CYCLE_1)
	s_or_b32 exec_lo, exec_lo, s7
.LBB6_12919:                            ;   in Loop: Header=BB6_12546 Depth=2
	s_delay_alu instid0(SALU_CYCLE_1) | instskip(NEXT) | instid1(SALU_CYCLE_1)
	s_or_b32 exec_lo, exec_lo, s10
	s_mov_b32 s7, exec_lo
	v_cmpx_ne_u16_e32 0, v70
	s_cbranch_execz .LBB6_12929
; %bb.12920:                            ;   in Loop: Header=BB6_12546 Depth=2
	v_bfrev_b32_e32 v5, 1
	s_mov_b32 s10, exec_lo
	v_cmpx_ne_u16_e32 0xff80, v70
	s_cbranch_execz .LBB6_12928
; %bb.12921:                            ;   in Loop: Header=BB6_12546 Depth=2
	v_and_b32_e32 v5, 0x7c, v70
	v_and_b32_e32 v1, 3, v70
	s_delay_alu instid0(VALU_DEP_2) | instskip(SKIP_1) | instid1(SALU_CYCLE_1)
	v_cmp_ne_u32_e32 vcc_lo, 0x7c, v5
                                        ; implicit-def: $vgpr5
	s_and_saveexec_b32 s41, vcc_lo
	s_xor_b32 s41, exec_lo, s41
	s_cbranch_execz .LBB6_12925
; %bb.12922:                            ;   in Loop: Header=BB6_12546 Depth=2
	v_and_b32_e32 v5, 0xff, v70
	s_mov_b32 s42, exec_lo
	s_delay_alu instid0(VALU_DEP_1) | instskip(NEXT) | instid1(VALU_DEP_1)
	v_bfe_u32 v5, v5, 2, 5
	v_cmpx_eq_u32_e32 0, v5
; %bb.12923:                            ;   in Loop: Header=BB6_12546 Depth=2
	v_clz_i32_u32_e32 v1, v1
	s_delay_alu instid0(VALU_DEP_1) | instskip(SKIP_1) | instid1(VALU_DEP_2)
	v_min_u32_e32 v1, 32, v1
	v_mov_b32_e32 v71, v25
	v_subrev_nc_u32_e32 v5, 29, v1
	s_delay_alu instid0(VALU_DEP_1) | instskip(NEXT) | instid1(VALU_DEP_1)
	v_lshlrev_b64_e32 v[6:7], v5, v[70:71]
	v_dual_sub_nc_u32 v5, 30, v1 :: v_dual_bitop2_b32 v1, 3, v6 bitop3:0x40
; %bb.12924:                            ;   in Loop: Header=BB6_12546 Depth=2
	s_or_b32 exec_lo, exec_lo, s42
	v_bfe_i32 v6, v70, 0, 16
                                        ; implicit-def: $vgpr70
	s_delay_alu instid0(VALU_DEP_1) | instskip(NEXT) | instid1(VALU_DEP_1)
	v_and_b32_e32 v6, 0x80000000, v6
	v_lshl_add_u32 v5, v5, 23, v6
	s_delay_alu instid0(VALU_DEP_1) | instskip(NEXT) | instid1(VALU_DEP_1)
	v_lshl_or_b32 v1, v1, 21, v5
	v_add_nc_u32_e32 v5, 0x38000000, v1
                                        ; implicit-def: $vgpr1
.LBB6_12925:                            ;   in Loop: Header=BB6_12546 Depth=2
	s_and_not1_saveexec_b32 s41, s41
; %bb.12926:                            ;   in Loop: Header=BB6_12546 Depth=2
	v_cmp_lt_i16_e32 vcc_lo, -1, v70
	v_cndmask_b32_e32 v5, 0xff800000, v40, vcc_lo
	v_cmp_eq_u32_e32 vcc_lo, 0, v1
	s_delay_alu instid0(VALU_DEP_2)
	v_cndmask_b32_e32 v5, 0x7f800001, v5, vcc_lo
; %bb.12927:                            ;   in Loop: Header=BB6_12546 Depth=2
	s_or_b32 exec_lo, exec_lo, s41
.LBB6_12928:                            ;   in Loop: Header=BB6_12546 Depth=2
	s_delay_alu instid0(SALU_CYCLE_1)
	s_or_b32 exec_lo, exec_lo, s10
.LBB6_12929:                            ;   in Loop: Header=BB6_12546 Depth=2
	s_delay_alu instid0(SALU_CYCLE_1) | instskip(NEXT) | instid1(VALU_DEP_1)
	s_or_b32 exec_lo, exec_lo, s7
	v_dual_max_num_f32 v1, v5, v5 :: v_dual_max_num_f32 v3, v3, v3
	s_delay_alu instid0(VALU_DEP_1)
	v_min_num_f32_e32 v3, v3, v1
.LBB6_12930:                            ;   in Loop: Header=BB6_12546 Depth=2
	s_delay_alu instid0(VALU_DEP_1) | instskip(SKIP_3) | instid1(VALU_DEP_2)
	v_and_b32_e32 v6, 0x7f800000, v3
	v_mov_b32_e32 v7, v25
	v_and_b32_e32 v24, 0x7fffff, v3
                                        ; implicit-def: $vgpr8
	s_mov_b32 s7, exec_lo
	v_cmpx_ne_u64_e32 0x7f800000, v[6:7]
	s_xor_b32 s10, exec_lo, s7
	s_cbranch_execz .LBB6_12948
; %bb.12931:                            ;   in Loop: Header=BB6_12546 Depth=2
	v_dual_mov_b32 v7, v25 :: v_dual_lshrrev_b32 v1, 24, v3
	v_and_b32_e32 v6, 0x7fffffff, v3
                                        ; implicit-def: $vgpr8
	s_mov_b32 s7, exec_lo
	s_delay_alu instid0(VALU_DEP_2) | instskip(NEXT) | instid1(VALU_DEP_2)
	v_and_b32_e32 v1, 0x80, v1
	v_cmpx_gt_u64_e32 0x47600001, v[6:7]
	s_xor_b32 s41, exec_lo, s7
	s_cbranch_execz .LBB6_12945
; %bb.12932:                            ;   in Loop: Header=BB6_12546 Depth=2
	v_mov_b32_e32 v8, 0
	s_mov_b32 s42, exec_lo
	v_cmpx_ne_u32_e32 0, v3
	s_cbranch_execz .LBB6_12944
; %bb.12933:                            ;   in Loop: Header=BB6_12546 Depth=2
	v_bfe_u32 v3, v3, 23, 8
	v_or_b32_e32 v6, 0x800000, v24
	s_delay_alu instid0(VALU_DEP_2) | instskip(SKIP_1) | instid1(VALU_DEP_3)
	v_cmp_eq_u32_e32 vcc_lo, 0, v3
	v_cmp_gt_u32_e64 s7, 0x72, v3
	v_dual_cndmask_b32 v24, v6, v24 :: v_dual_sub_nc_u32 v5, 0x71, v3
	s_delay_alu instid0(VALU_DEP_1) | instskip(NEXT) | instid1(VALU_DEP_1)
	v_cndmask_b32_e64 v5, 0, v5, s7
	v_cndmask_b32_e64 v5, v5, 0x70, vcc_lo
	s_delay_alu instid0(VALU_DEP_1) | instskip(NEXT) | instid1(VALU_DEP_1)
	v_dual_add_nc_u32 v6, 21, v5 :: v_dual_add_nc_u32 v8, 20, v5
	v_lshlrev_b64_e64 v[6:7], v6, -1
	s_delay_alu instid0(VALU_DEP_2) | instskip(NEXT) | instid1(VALU_DEP_2)
	v_lshlrev_b64_e64 v[8:9], v8, 1
	v_bfi_b32 v7, v7, 0, 0
	s_delay_alu instid0(VALU_DEP_3) | instskip(NEXT) | instid1(VALU_DEP_1)
	v_bfi_b32 v6, v6, 0, v24
	v_cmp_eq_u64_e64 s7, v[6:7], v[8:9]
	v_lshrrev_b64 v[6:7], v5, v[24:25]
	s_delay_alu instid0(VALU_DEP_1)
	v_mov_b64_e32 v[8:9], v[6:7]
	s_and_saveexec_b32 s43, s7
; %bb.12934:                            ;   in Loop: Header=BB6_12546 Depth=2
	v_bfe_u32 v24, v6, 21, 1
	s_delay_alu instid0(VALU_DEP_1) | instskip(NEXT) | instid1(VALU_DEP_1)
	v_add_nc_u64_e32 v[8:9], v[6:7], v[24:25]
	v_add_nc_u64_e32 v[8:9], -1, v[8:9]
; %bb.12935:                            ;   in Loop: Header=BB6_12546 Depth=2
	s_or_b32 exec_lo, exec_lo, s43
	v_add_nc_u32_e32 v3, 0xffffff81, v3
	v_lshrrev_b32_e32 v7, 23, v6
	s_mov_b32 s7, exec_lo
	s_delay_alu instid0(VALU_DEP_2) | instskip(NEXT) | instid1(VALU_DEP_1)
	v_cndmask_b32_e64 v3, v3, 0xffffff82, vcc_lo
	v_add3_u32 v5, v5, v3, v7
	v_and_b32_e32 v3, 0x1fffff, v8
	s_delay_alu instid0(VALU_DEP_1) | instskip(NEXT) | instid1(VALU_DEP_1)
	v_dual_add_nc_u32 v8, 14, v5 :: v_dual_add_nc_u32 v24, v3, v6
                                        ; implicit-def: $vgpr6_vgpr7
                                        ; implicit-def: $vgpr3
	v_cmpx_ne_u32_e32 0, v8
	s_xor_b32 s7, exec_lo, s7
; %bb.12936:                            ;   in Loop: Header=BB6_12546 Depth=2
	s_delay_alu instid0(VALU_DEP_2) | instskip(SKIP_2) | instid1(VALU_DEP_2)
	v_cmp_lt_u64_e32 vcc_lo, 0xffffff, v[24:25]
	v_add_nc_u32_e32 v3, 15, v5
	v_cndmask_b32_e64 v5, 0, 1, vcc_lo
	v_cndmask_b32_e32 v3, v8, v3, vcc_lo
	s_delay_alu instid0(VALU_DEP_2)
	v_lshrrev_b64 v[6:7], v5, v[24:25]
; %bb.12937:                            ;   in Loop: Header=BB6_12546 Depth=2
	s_and_not1_saveexec_b32 s7, s7
; %bb.12938:                            ;   in Loop: Header=BB6_12546 Depth=2
	v_mov_b64_e32 v[6:7], v[24:25]
	v_bfe_u32 v3, v24, 23, 1
; %bb.12939:                            ;   in Loop: Header=BB6_12546 Depth=2
	s_or_b32 exec_lo, exec_lo, s7
	s_delay_alu instid0(VALU_DEP_2) | instskip(NEXT) | instid1(VALU_DEP_2)
	v_lshrrev_b64 v[6:7], 21, v[6:7]
	v_cmp_gt_i32_e32 vcc_lo, 32, v3
	v_cmp_ne_u32_e64 s7, 0, v3
                                        ; implicit-def: $vgpr8
	s_delay_alu instid0(VALU_DEP_3) | instskip(NEXT) | instid1(VALU_DEP_1)
	v_dual_cndmask_b32 v7, 0, v7 :: v_dual_cndmask_b32 v6, 3, v6
	v_cmp_ne_u64_e32 vcc_lo, 0, v[6:7]
	s_or_b32 s7, s7, vcc_lo
	s_delay_alu instid0(SALU_CYCLE_1) | instskip(NEXT) | instid1(SALU_CYCLE_1)
	s_and_saveexec_b32 s43, s7
	s_xor_b32 s7, exec_lo, s43
; %bb.12940:                            ;   in Loop: Header=BB6_12546 Depth=2
	v_min_i32_e32 v3, 31, v3
	s_delay_alu instid0(VALU_DEP_1) | instskip(NEXT) | instid1(VALU_DEP_1)
	v_lshl_or_b32 v1, v3, 2, v1
	v_and_or_b32 v8, v6, 3, v1
                                        ; implicit-def: $vgpr1
; %bb.12941:                            ;   in Loop: Header=BB6_12546 Depth=2
	s_and_not1_saveexec_b32 s7, s7
; %bb.12942:                            ;   in Loop: Header=BB6_12546 Depth=2
	v_mov_b32_e32 v8, v1
; %bb.12943:                            ;   in Loop: Header=BB6_12546 Depth=2
	s_or_b32 exec_lo, exec_lo, s7
.LBB6_12944:                            ;   in Loop: Header=BB6_12546 Depth=2
	s_delay_alu instid0(SALU_CYCLE_1)
	s_or_b32 exec_lo, exec_lo, s42
                                        ; implicit-def: $vgpr1
.LBB6_12945:                            ;   in Loop: Header=BB6_12546 Depth=2
	s_and_not1_saveexec_b32 s7, s41
; %bb.12946:                            ;   in Loop: Header=BB6_12546 Depth=2
	v_or_b32_e32 v8, 0x7b, v1
; %bb.12947:                            ;   in Loop: Header=BB6_12546 Depth=2
	s_or_b32 exec_lo, exec_lo, s7
                                        ; implicit-def: $vgpr3
.LBB6_12948:                            ;   in Loop: Header=BB6_12546 Depth=2
	s_and_not1_saveexec_b32 s7, s10
	s_cbranch_execz .LBB6_12954
; %bb.12949:                            ;   in Loop: Header=BB6_12546 Depth=2
	s_mov_b32 s10, exec_lo
                                        ; implicit-def: $vgpr8
	v_cmpx_ne_u64_e32 0, v[24:25]
	s_xor_b32 s10, exec_lo, s10
; %bb.12950:                            ;   in Loop: Header=BB6_12546 Depth=2
	v_lshrrev_b32_e32 v1, 24, v3
                                        ; implicit-def: $vgpr3
	s_delay_alu instid0(VALU_DEP_1)
	v_or_b32_e32 v8, 0x7f, v1
; %bb.12951:                            ;   in Loop: Header=BB6_12546 Depth=2
	s_and_not1_saveexec_b32 s10, s10
; %bb.12952:                            ;   in Loop: Header=BB6_12546 Depth=2
	v_cmp_lt_i32_e32 vcc_lo, -1, v3
	v_cndmask_b32_e64 v8, -4, 0x7c, vcc_lo
; %bb.12953:                            ;   in Loop: Header=BB6_12546 Depth=2
	s_or_b32 exec_lo, exec_lo, s10
.LBB6_12954:                            ;   in Loop: Header=BB6_12546 Depth=2
	s_delay_alu instid0(SALU_CYCLE_1)
	s_or_b32 exec_lo, exec_lo, s7
	v_and_b32_e32 v1, 0xff, v82
	v_cmp_ne_u16_e64 s7, 0, v82
	s_and_not1_b32 vcc_lo, exec_lo, s14
	s_mov_b32 s10, -1
                                        ; implicit-def: $vgpr3
	s_cbranch_vccnz .LBB6_12976
; %bb.12955:                            ;   in Loop: Header=BB6_12546 Depth=2
	v_dual_mov_b32 v5, 0 :: v_dual_mov_b32 v3, 0
	s_and_saveexec_b32 s10, s7
	s_cbranch_execz .LBB6_12965
; %bb.12956:                            ;   in Loop: Header=BB6_12546 Depth=2
	v_bfrev_b32_e32 v3, 1
	s_mov_b32 s41, exec_lo
	v_cmpx_ne_u16_e32 0xff80, v82
	s_cbranch_execz .LBB6_12964
; %bb.12957:                            ;   in Loop: Header=BB6_12546 Depth=2
	v_and_b32_e32 v3, 0x7c, v1
	v_and_b32_e32 v6, 3, v1
	s_delay_alu instid0(VALU_DEP_2) | instskip(SKIP_1) | instid1(SALU_CYCLE_1)
	v_cmp_ne_u32_e32 vcc_lo, 0x7c, v3
                                        ; implicit-def: $vgpr3
	s_and_saveexec_b32 s42, vcc_lo
	s_xor_b32 s42, exec_lo, s42
	s_cbranch_execz .LBB6_12961
; %bb.12958:                            ;   in Loop: Header=BB6_12546 Depth=2
	v_bfe_u32 v3, v1, 2, 5
	s_mov_b32 s43, exec_lo
	s_delay_alu instid0(VALU_DEP_1)
	v_cmpx_eq_u32_e32 0, v3
	s_cbranch_execz .LBB6_12960
; %bb.12959:                            ;   in Loop: Header=BB6_12546 Depth=2
	v_clz_i32_u32_e32 v3, v6
	s_delay_alu instid0(VALU_DEP_1) | instskip(SKIP_1) | instid1(VALU_DEP_2)
	v_min_u32_e32 v3, 32, v3
	v_mov_b32_e32 v83, v25
	v_subrev_nc_u32_e32 v6, 29, v3
	v_sub_nc_u32_e32 v3, 30, v3
	s_delay_alu instid0(VALU_DEP_2) | instskip(NEXT) | instid1(VALU_DEP_1)
	v_lshlrev_b64_e32 v[6:7], v6, v[82:83]
	v_and_b32_e32 v6, 3, v6
.LBB6_12960:                            ;   in Loop: Header=BB6_12546 Depth=2
	s_or_b32 exec_lo, exec_lo, s43
	v_bfe_i32 v7, v82, 0, 16
	s_delay_alu instid0(VALU_DEP_1) | instskip(NEXT) | instid1(VALU_DEP_1)
	v_and_b32_e32 v7, 0x80000000, v7
	v_lshl_add_u32 v3, v3, 23, v7
	s_delay_alu instid0(VALU_DEP_1) | instskip(NEXT) | instid1(VALU_DEP_1)
	v_lshl_or_b32 v3, v6, 21, v3
                                        ; implicit-def: $vgpr6
	v_add_nc_u32_e32 v3, 0x38000000, v3
.LBB6_12961:                            ;   in Loop: Header=BB6_12546 Depth=2
	s_and_not1_saveexec_b32 s42, s42
; %bb.12962:                            ;   in Loop: Header=BB6_12546 Depth=2
	v_cmp_lt_i16_e32 vcc_lo, -1, v82
	v_cndmask_b32_e32 v3, 0xff800000, v40, vcc_lo
	v_cmp_eq_u32_e32 vcc_lo, 0, v6
	s_delay_alu instid0(VALU_DEP_2)
	v_cndmask_b32_e32 v3, 0x7f800001, v3, vcc_lo
; %bb.12963:                            ;   in Loop: Header=BB6_12546 Depth=2
	s_or_b32 exec_lo, exec_lo, s42
.LBB6_12964:                            ;   in Loop: Header=BB6_12546 Depth=2
	s_delay_alu instid0(SALU_CYCLE_1)
	s_or_b32 exec_lo, exec_lo, s41
.LBB6_12965:                            ;   in Loop: Header=BB6_12546 Depth=2
	s_delay_alu instid0(SALU_CYCLE_1) | instskip(NEXT) | instid1(SALU_CYCLE_1)
	s_or_b32 exec_lo, exec_lo, s10
	s_mov_b32 s10, exec_lo
	v_cmpx_ne_u16_e32 0, v4
	s_cbranch_execz .LBB6_12975
; %bb.12966:                            ;   in Loop: Header=BB6_12546 Depth=2
	v_bfrev_b32_e32 v5, 1
	s_mov_b32 s41, exec_lo
	v_cmpx_ne_u16_e32 0xff80, v4
	s_cbranch_execz .LBB6_12974
; %bb.12967:                            ;   in Loop: Header=BB6_12546 Depth=2
	v_and_b32_e32 v5, 0x7c, v4
	v_and_b32_e32 v6, 3, v4
	s_delay_alu instid0(VALU_DEP_2) | instskip(SKIP_1) | instid1(SALU_CYCLE_1)
	v_cmp_ne_u32_e32 vcc_lo, 0x7c, v5
                                        ; implicit-def: $vgpr5
	s_and_saveexec_b32 s42, vcc_lo
	s_xor_b32 s42, exec_lo, s42
	s_cbranch_execz .LBB6_12971
; %bb.12968:                            ;   in Loop: Header=BB6_12546 Depth=2
	v_and_b32_e32 v5, 0xff, v4
	s_mov_b32 s43, exec_lo
	s_delay_alu instid0(VALU_DEP_1) | instskip(NEXT) | instid1(VALU_DEP_1)
	v_bfe_u32 v5, v5, 2, 5
	v_cmpx_eq_u32_e32 0, v5
; %bb.12969:                            ;   in Loop: Header=BB6_12546 Depth=2
	v_clz_i32_u32_e32 v5, v6
	s_delay_alu instid0(VALU_DEP_1) | instskip(SKIP_1) | instid1(VALU_DEP_2)
	v_min_u32_e32 v9, 32, v5
	v_mov_b32_e32 v5, v25
	v_subrev_nc_u32_e32 v6, 29, v9
	s_delay_alu instid0(VALU_DEP_1) | instskip(NEXT) | instid1(VALU_DEP_1)
	v_lshlrev_b64_e32 v[6:7], v6, v[4:5]
	v_dual_sub_nc_u32 v5, 30, v9 :: v_dual_bitop2_b32 v6, 3, v6 bitop3:0x40
; %bb.12970:                            ;   in Loop: Header=BB6_12546 Depth=2
	s_or_b32 exec_lo, exec_lo, s43
	v_bfe_i32 v7, v4, 0, 16
	s_delay_alu instid0(VALU_DEP_1) | instskip(NEXT) | instid1(VALU_DEP_1)
	v_and_b32_e32 v7, 0x80000000, v7
	v_lshl_add_u32 v5, v5, 23, v7
	s_delay_alu instid0(VALU_DEP_1) | instskip(NEXT) | instid1(VALU_DEP_1)
	v_lshl_or_b32 v5, v6, 21, v5
                                        ; implicit-def: $vgpr6
	v_add_nc_u32_e32 v5, 0x38000000, v5
.LBB6_12971:                            ;   in Loop: Header=BB6_12546 Depth=2
	s_and_not1_saveexec_b32 s42, s42
; %bb.12972:                            ;   in Loop: Header=BB6_12546 Depth=2
	v_cmp_lt_i16_e32 vcc_lo, -1, v4
	v_cndmask_b32_e32 v5, 0xff800000, v40, vcc_lo
	v_cmp_eq_u32_e32 vcc_lo, 0, v6
	s_delay_alu instid0(VALU_DEP_2)
	v_cndmask_b32_e32 v5, 0x7f800001, v5, vcc_lo
; %bb.12973:                            ;   in Loop: Header=BB6_12546 Depth=2
	s_or_b32 exec_lo, exec_lo, s42
.LBB6_12974:                            ;   in Loop: Header=BB6_12546 Depth=2
	s_delay_alu instid0(SALU_CYCLE_1)
	s_or_b32 exec_lo, exec_lo, s41
.LBB6_12975:                            ;   in Loop: Header=BB6_12546 Depth=2
	s_delay_alu instid0(SALU_CYCLE_1) | instskip(NEXT) | instid1(VALU_DEP_1)
	s_or_b32 exec_lo, exec_lo, s10
	v_dual_max_num_f32 v5, v5, v5 :: v_dual_max_num_f32 v3, v3, v3
	s_mov_b32 s10, 0
	s_delay_alu instid0(VALU_DEP_1)
	v_max_num_f32_e32 v3, v3, v5
.LBB6_12976:                            ;   in Loop: Header=BB6_12546 Depth=2
	s_and_b32 vcc_lo, exec_lo, s10
	s_cbranch_vccz .LBB6_12998
; %bb.12977:                            ;   in Loop: Header=BB6_12546 Depth=2
	v_dual_mov_b32 v5, 0 :: v_dual_mov_b32 v3, 0
	s_and_saveexec_b32 s10, s7
	s_cbranch_execz .LBB6_12987
; %bb.12978:                            ;   in Loop: Header=BB6_12546 Depth=2
	v_bfrev_b32_e32 v3, 1
	s_mov_b32 s7, exec_lo
	v_cmpx_ne_u16_e32 0xff80, v82
	s_cbranch_execz .LBB6_12986
; %bb.12979:                            ;   in Loop: Header=BB6_12546 Depth=2
	v_and_b32_e32 v3, 0x7c, v1
	v_and_b32_e32 v6, 3, v1
	s_delay_alu instid0(VALU_DEP_2) | instskip(SKIP_1) | instid1(SALU_CYCLE_1)
	v_cmp_ne_u32_e32 vcc_lo, 0x7c, v3
                                        ; implicit-def: $vgpr3
	s_and_saveexec_b32 s41, vcc_lo
	s_xor_b32 s41, exec_lo, s41
	s_cbranch_execz .LBB6_12983
; %bb.12980:                            ;   in Loop: Header=BB6_12546 Depth=2
	v_bfe_u32 v1, v1, 2, 5
	s_mov_b32 s42, exec_lo
	s_delay_alu instid0(VALU_DEP_1)
	v_cmpx_eq_u32_e32 0, v1
	s_cbranch_execz .LBB6_12982
; %bb.12981:                            ;   in Loop: Header=BB6_12546 Depth=2
	v_clz_i32_u32_e32 v1, v6
	s_delay_alu instid0(VALU_DEP_1) | instskip(SKIP_1) | instid1(VALU_DEP_2)
	v_min_u32_e32 v1, 32, v1
	v_mov_b32_e32 v83, v25
	v_subrev_nc_u32_e32 v3, 29, v1
	v_sub_nc_u32_e32 v1, 30, v1
	s_delay_alu instid0(VALU_DEP_2) | instskip(NEXT) | instid1(VALU_DEP_1)
	v_lshlrev_b64_e32 v[6:7], v3, v[82:83]
	v_and_b32_e32 v6, 3, v6
.LBB6_12982:                            ;   in Loop: Header=BB6_12546 Depth=2
	s_or_b32 exec_lo, exec_lo, s42
	v_bfe_i32 v3, v82, 0, 16
                                        ; implicit-def: $vgpr82
	s_delay_alu instid0(VALU_DEP_1) | instskip(NEXT) | instid1(VALU_DEP_1)
	v_and_b32_e32 v3, 0x80000000, v3
	v_lshl_add_u32 v1, v1, 23, v3
	s_delay_alu instid0(VALU_DEP_1) | instskip(NEXT) | instid1(VALU_DEP_1)
	v_lshl_or_b32 v1, v6, 21, v1
                                        ; implicit-def: $vgpr6
	v_add_nc_u32_e32 v3, 0x38000000, v1
.LBB6_12983:                            ;   in Loop: Header=BB6_12546 Depth=2
	s_and_not1_saveexec_b32 s41, s41
; %bb.12984:                            ;   in Loop: Header=BB6_12546 Depth=2
	v_cmp_lt_i16_e32 vcc_lo, -1, v82
	v_cndmask_b32_e32 v1, 0xff800000, v40, vcc_lo
	v_cmp_eq_u32_e32 vcc_lo, 0, v6
	s_delay_alu instid0(VALU_DEP_2)
	v_cndmask_b32_e32 v3, 0x7f800001, v1, vcc_lo
; %bb.12985:                            ;   in Loop: Header=BB6_12546 Depth=2
	s_or_b32 exec_lo, exec_lo, s41
.LBB6_12986:                            ;   in Loop: Header=BB6_12546 Depth=2
	s_delay_alu instid0(SALU_CYCLE_1)
	s_or_b32 exec_lo, exec_lo, s7
.LBB6_12987:                            ;   in Loop: Header=BB6_12546 Depth=2
	s_delay_alu instid0(SALU_CYCLE_1) | instskip(NEXT) | instid1(SALU_CYCLE_1)
	s_or_b32 exec_lo, exec_lo, s10
	s_mov_b32 s7, exec_lo
	v_cmpx_ne_u16_e32 0, v4
	s_cbranch_execz .LBB6_12997
; %bb.12988:                            ;   in Loop: Header=BB6_12546 Depth=2
	v_bfrev_b32_e32 v5, 1
	s_mov_b32 s10, exec_lo
	v_cmpx_ne_u16_e32 0xff80, v4
	s_cbranch_execz .LBB6_12996
; %bb.12989:                            ;   in Loop: Header=BB6_12546 Depth=2
	v_and_b32_e32 v5, 0x7c, v4
	v_and_b32_e32 v1, 3, v4
	s_delay_alu instid0(VALU_DEP_2) | instskip(SKIP_1) | instid1(SALU_CYCLE_1)
	v_cmp_ne_u32_e32 vcc_lo, 0x7c, v5
                                        ; implicit-def: $vgpr5
	s_and_saveexec_b32 s41, vcc_lo
	s_xor_b32 s41, exec_lo, s41
	s_cbranch_execz .LBB6_12993
; %bb.12990:                            ;   in Loop: Header=BB6_12546 Depth=2
	v_and_b32_e32 v5, 0xff, v4
	s_mov_b32 s42, exec_lo
	s_delay_alu instid0(VALU_DEP_1) | instskip(NEXT) | instid1(VALU_DEP_1)
	v_bfe_u32 v5, v5, 2, 5
	v_cmpx_eq_u32_e32 0, v5
; %bb.12991:                            ;   in Loop: Header=BB6_12546 Depth=2
	v_clz_i32_u32_e32 v1, v1
	v_mov_b32_e32 v5, v25
	s_delay_alu instid0(VALU_DEP_2) | instskip(NEXT) | instid1(VALU_DEP_1)
	v_min_u32_e32 v1, 32, v1
	v_subrev_nc_u32_e32 v6, 29, v1
	s_delay_alu instid0(VALU_DEP_1) | instskip(NEXT) | instid1(VALU_DEP_1)
	v_lshlrev_b64_e32 v[6:7], v6, v[4:5]
	v_dual_sub_nc_u32 v5, 30, v1 :: v_dual_bitop2_b32 v1, 3, v6 bitop3:0x40
; %bb.12992:                            ;   in Loop: Header=BB6_12546 Depth=2
	s_or_b32 exec_lo, exec_lo, s42
	v_bfe_i32 v4, v4, 0, 16
	s_delay_alu instid0(VALU_DEP_1) | instskip(NEXT) | instid1(VALU_DEP_1)
	v_and_b32_e32 v4, 0x80000000, v4
	v_lshl_add_u32 v4, v5, 23, v4
	s_delay_alu instid0(VALU_DEP_1) | instskip(NEXT) | instid1(VALU_DEP_1)
	v_lshl_or_b32 v1, v1, 21, v4
                                        ; implicit-def: $vgpr4
	v_add_nc_u32_e32 v5, 0x38000000, v1
                                        ; implicit-def: $vgpr1
.LBB6_12993:                            ;   in Loop: Header=BB6_12546 Depth=2
	s_and_not1_saveexec_b32 s41, s41
; %bb.12994:                            ;   in Loop: Header=BB6_12546 Depth=2
	v_cmp_lt_i16_e32 vcc_lo, -1, v4
	v_cndmask_b32_e32 v4, 0xff800000, v40, vcc_lo
	v_cmp_eq_u32_e32 vcc_lo, 0, v1
	s_delay_alu instid0(VALU_DEP_2)
	v_cndmask_b32_e32 v5, 0x7f800001, v4, vcc_lo
; %bb.12995:                            ;   in Loop: Header=BB6_12546 Depth=2
	s_or_b32 exec_lo, exec_lo, s41
.LBB6_12996:                            ;   in Loop: Header=BB6_12546 Depth=2
	s_delay_alu instid0(SALU_CYCLE_1)
	s_or_b32 exec_lo, exec_lo, s10
.LBB6_12997:                            ;   in Loop: Header=BB6_12546 Depth=2
	s_delay_alu instid0(SALU_CYCLE_1) | instskip(NEXT) | instid1(VALU_DEP_1)
	s_or_b32 exec_lo, exec_lo, s7
	v_dual_max_num_f32 v1, v5, v5 :: v_dual_max_num_f32 v3, v3, v3
	s_delay_alu instid0(VALU_DEP_1)
	v_min_num_f32_e32 v3, v3, v1
.LBB6_12998:                            ;   in Loop: Header=BB6_12546 Depth=2
	s_delay_alu instid0(VALU_DEP_1) | instskip(SKIP_2) | instid1(VALU_DEP_2)
	v_and_b32_e32 v4, 0x7f800000, v3
	v_mov_b32_e32 v5, v25
	v_and_b32_e32 v24, 0x7fffff, v3
                                        ; implicit-def: $vgpr9
	v_cmp_ne_u64_e32 vcc_lo, 0x7f800000, v[4:5]
	s_mov_b32 s7, exec_lo
	v_dual_mov_b32 v70, v26 :: v_dual_mov_b32 v82, v38
	s_and_b32 s41, s7, vcc_lo
	s_delay_alu instid0(SALU_CYCLE_1)
	s_xor_b32 s10, s41, s7
	s_mov_b32 exec_lo, s41
	s_cbranch_execz .LBB6_13016
; %bb.12999:                            ;   in Loop: Header=BB6_12546 Depth=2
	v_dual_mov_b32 v5, v25 :: v_dual_lshrrev_b32 v1, 24, v3
	v_and_b32_e32 v4, 0x7fffffff, v3
                                        ; implicit-def: $vgpr9
	s_mov_b32 s7, exec_lo
	s_delay_alu instid0(VALU_DEP_2) | instskip(NEXT) | instid1(VALU_DEP_2)
	v_and_b32_e32 v1, 0x80, v1
	v_cmpx_gt_u64_e32 0x47600001, v[4:5]
	s_xor_b32 s41, exec_lo, s7
	s_cbranch_execz .LBB6_13013
; %bb.13000:                            ;   in Loop: Header=BB6_12546 Depth=2
	v_mov_b32_e32 v9, 0
	s_mov_b32 s42, exec_lo
	v_cmpx_ne_u32_e32 0, v3
	s_cbranch_execz .LBB6_13012
; %bb.13001:                            ;   in Loop: Header=BB6_12546 Depth=2
	v_bfe_u32 v3, v3, 23, 8
	v_or_b32_e32 v5, 0x800000, v24
	s_delay_alu instid0(VALU_DEP_2) | instskip(SKIP_2) | instid1(VALU_DEP_2)
	v_cmp_gt_u32_e64 s7, 0x72, v3
	v_sub_nc_u32_e32 v4, 0x71, v3
	v_cmp_eq_u32_e32 vcc_lo, 0, v3
	v_cndmask_b32_e64 v4, 0, v4, s7
	s_delay_alu instid0(VALU_DEP_1) | instskip(NEXT) | instid1(VALU_DEP_1)
	v_cndmask_b32_e64 v9, v4, 0x70, vcc_lo
	v_dual_cndmask_b32 v24, v5, v24, vcc_lo :: v_dual_add_nc_u32 v4, 21, v9
	v_add_nc_u32_e32 v6, 20, v9
	s_delay_alu instid0(VALU_DEP_2) | instskip(NEXT) | instid1(VALU_DEP_2)
	v_lshlrev_b64_e64 v[4:5], v4, -1
	v_lshlrev_b64_e64 v[6:7], v6, 1
	s_delay_alu instid0(VALU_DEP_2) | instskip(NEXT) | instid1(VALU_DEP_3)
	v_bfi_b32 v5, v5, 0, 0
	v_bfi_b32 v4, v4, 0, v24
	s_delay_alu instid0(VALU_DEP_1) | instskip(SKIP_1) | instid1(VALU_DEP_1)
	v_cmp_eq_u64_e64 s7, v[4:5], v[6:7]
	v_lshrrev_b64 v[4:5], v9, v[24:25]
	v_mov_b64_e32 v[6:7], v[4:5]
	s_and_saveexec_b32 s43, s7
; %bb.13002:                            ;   in Loop: Header=BB6_12546 Depth=2
	v_bfe_u32 v24, v4, 21, 1
	s_delay_alu instid0(VALU_DEP_1) | instskip(NEXT) | instid1(VALU_DEP_1)
	v_add_nc_u64_e32 v[6:7], v[4:5], v[24:25]
	v_add_nc_u64_e32 v[6:7], -1, v[6:7]
; %bb.13003:                            ;   in Loop: Header=BB6_12546 Depth=2
	s_or_b32 exec_lo, exec_lo, s43
	v_add_nc_u32_e32 v3, 0xffffff81, v3
	v_lshrrev_b32_e32 v5, 23, v4
	s_mov_b32 s7, exec_lo
	s_delay_alu instid0(VALU_DEP_2) | instskip(NEXT) | instid1(VALU_DEP_1)
	v_cndmask_b32_e64 v3, v3, 0xffffff82, vcc_lo
	v_add3_u32 v7, v9, v3, v5
	v_and_b32_e32 v3, 0x1fffff, v6
	s_delay_alu instid0(VALU_DEP_1) | instskip(NEXT) | instid1(VALU_DEP_1)
	v_dual_add_nc_u32 v6, 14, v7 :: v_dual_add_nc_u32 v24, v3, v4
                                        ; implicit-def: $vgpr4_vgpr5
                                        ; implicit-def: $vgpr3
	v_cmpx_ne_u32_e32 0, v6
	s_xor_b32 s7, exec_lo, s7
; %bb.13004:                            ;   in Loop: Header=BB6_12546 Depth=2
	s_delay_alu instid0(VALU_DEP_2) | instskip(SKIP_2) | instid1(VALU_DEP_2)
	v_cmp_lt_u64_e32 vcc_lo, 0xffffff, v[24:25]
	v_add_nc_u32_e32 v3, 15, v7
	v_cndmask_b32_e64 v4, 0, 1, vcc_lo
	v_cndmask_b32_e32 v3, v6, v3, vcc_lo
	s_delay_alu instid0(VALU_DEP_2)
	v_lshrrev_b64 v[4:5], v4, v[24:25]
; %bb.13005:                            ;   in Loop: Header=BB6_12546 Depth=2
	s_and_not1_saveexec_b32 s7, s7
; %bb.13006:                            ;   in Loop: Header=BB6_12546 Depth=2
	v_mov_b64_e32 v[4:5], v[24:25]
	v_bfe_u32 v3, v24, 23, 1
; %bb.13007:                            ;   in Loop: Header=BB6_12546 Depth=2
	s_or_b32 exec_lo, exec_lo, s7
	s_delay_alu instid0(VALU_DEP_2) | instskip(NEXT) | instid1(VALU_DEP_2)
	v_lshrrev_b64 v[4:5], 21, v[4:5]
	v_cmp_gt_i32_e32 vcc_lo, 32, v3
	v_cmp_ne_u32_e64 s7, 0, v3
                                        ; implicit-def: $vgpr9
	s_delay_alu instid0(VALU_DEP_3) | instskip(NEXT) | instid1(VALU_DEP_1)
	v_dual_cndmask_b32 v5, 0, v5 :: v_dual_cndmask_b32 v4, 3, v4
	v_cmp_ne_u64_e32 vcc_lo, 0, v[4:5]
	s_or_b32 s7, s7, vcc_lo
	s_delay_alu instid0(SALU_CYCLE_1) | instskip(NEXT) | instid1(SALU_CYCLE_1)
	s_and_saveexec_b32 s43, s7
	s_xor_b32 s7, exec_lo, s43
; %bb.13008:                            ;   in Loop: Header=BB6_12546 Depth=2
	v_min_i32_e32 v3, 31, v3
	s_delay_alu instid0(VALU_DEP_1) | instskip(NEXT) | instid1(VALU_DEP_1)
	v_lshl_or_b32 v1, v3, 2, v1
	v_and_or_b32 v9, v4, 3, v1
                                        ; implicit-def: $vgpr1
; %bb.13009:                            ;   in Loop: Header=BB6_12546 Depth=2
	s_and_not1_saveexec_b32 s7, s7
; %bb.13010:                            ;   in Loop: Header=BB6_12546 Depth=2
	v_mov_b32_e32 v9, v1
; %bb.13011:                            ;   in Loop: Header=BB6_12546 Depth=2
	s_or_b32 exec_lo, exec_lo, s7
.LBB6_13012:                            ;   in Loop: Header=BB6_12546 Depth=2
	s_delay_alu instid0(SALU_CYCLE_1)
	s_or_b32 exec_lo, exec_lo, s42
                                        ; implicit-def: $vgpr1
.LBB6_13013:                            ;   in Loop: Header=BB6_12546 Depth=2
	s_and_not1_saveexec_b32 s7, s41
; %bb.13014:                            ;   in Loop: Header=BB6_12546 Depth=2
	v_or_b32_e32 v9, 0x7b, v1
; %bb.13015:                            ;   in Loop: Header=BB6_12546 Depth=2
	s_or_b32 exec_lo, exec_lo, s7
                                        ; implicit-def: $vgpr3
.LBB6_13016:                            ;   in Loop: Header=BB6_12546 Depth=2
	s_and_not1_saveexec_b32 s7, s10
	s_cbranch_execz .LBB6_13022
; %bb.13017:                            ;   in Loop: Header=BB6_12546 Depth=2
	s_mov_b32 s10, exec_lo
                                        ; implicit-def: $vgpr9
	v_cmpx_ne_u64_e32 0, v[24:25]
	s_xor_b32 s10, exec_lo, s10
; %bb.13018:                            ;   in Loop: Header=BB6_12546 Depth=2
	v_lshrrev_b32_e32 v1, 24, v3
                                        ; implicit-def: $vgpr3
	s_delay_alu instid0(VALU_DEP_1)
	v_or_b32_e32 v9, 0x7f, v1
; %bb.13019:                            ;   in Loop: Header=BB6_12546 Depth=2
	s_and_not1_saveexec_b32 s10, s10
; %bb.13020:                            ;   in Loop: Header=BB6_12546 Depth=2
	v_cmp_lt_i32_e32 vcc_lo, -1, v3
	v_cndmask_b32_e64 v9, -4, 0x7c, vcc_lo
; %bb.13021:                            ;   in Loop: Header=BB6_12546 Depth=2
	s_or_b32 exec_lo, exec_lo, s10
.LBB6_13022:                            ;   in Loop: Header=BB6_12546 Depth=2
	s_delay_alu instid0(SALU_CYCLE_1)
	s_or_b32 exec_lo, exec_lo, s7
	v_and_b32_e32 v1, 0xff, v116
	v_cmp_ne_u16_e64 s7, 0, v116
	s_and_not1_b32 vcc_lo, exec_lo, s14
	s_mov_b32 s10, -1
                                        ; implicit-def: $vgpr3
	s_cbranch_vccnz .LBB6_13044
; %bb.13023:                            ;   in Loop: Header=BB6_12546 Depth=2
	v_dual_mov_b32 v4, 0 :: v_dual_mov_b32 v3, 0
	s_and_saveexec_b32 s10, s7
	s_cbranch_execz .LBB6_13033
; %bb.13024:                            ;   in Loop: Header=BB6_12546 Depth=2
	v_bfrev_b32_e32 v3, 1
	s_mov_b32 s41, exec_lo
	v_cmpx_ne_u16_e32 0xff80, v116
	s_cbranch_execz .LBB6_13032
; %bb.13025:                            ;   in Loop: Header=BB6_12546 Depth=2
	v_and_b32_e32 v3, 0x7c, v1
	v_and_b32_e32 v5, 3, v1
	s_delay_alu instid0(VALU_DEP_2) | instskip(SKIP_1) | instid1(SALU_CYCLE_1)
	v_cmp_ne_u32_e32 vcc_lo, 0x7c, v3
                                        ; implicit-def: $vgpr3
	s_and_saveexec_b32 s42, vcc_lo
	s_xor_b32 s42, exec_lo, s42
	s_cbranch_execz .LBB6_13029
; %bb.13026:                            ;   in Loop: Header=BB6_12546 Depth=2
	v_bfe_u32 v3, v1, 2, 5
	s_mov_b32 s43, exec_lo
	s_delay_alu instid0(VALU_DEP_1)
	v_cmpx_eq_u32_e32 0, v3
	s_cbranch_execz .LBB6_13028
; %bb.13027:                            ;   in Loop: Header=BB6_12546 Depth=2
	v_clz_i32_u32_e32 v3, v5
	s_delay_alu instid0(VALU_DEP_1) | instskip(SKIP_1) | instid1(VALU_DEP_2)
	v_min_u32_e32 v3, 32, v3
	v_mov_b32_e32 v117, v25
	v_subrev_nc_u32_e32 v5, 29, v3
	v_sub_nc_u32_e32 v3, 30, v3
	s_delay_alu instid0(VALU_DEP_2) | instskip(NEXT) | instid1(VALU_DEP_1)
	v_lshlrev_b64_e32 v[6:7], v5, v[116:117]
	v_and_b32_e32 v5, 3, v6
.LBB6_13028:                            ;   in Loop: Header=BB6_12546 Depth=2
	s_or_b32 exec_lo, exec_lo, s43
	v_bfe_i32 v6, v116, 0, 16
	s_delay_alu instid0(VALU_DEP_1) | instskip(NEXT) | instid1(VALU_DEP_1)
	v_and_b32_e32 v6, 0x80000000, v6
	v_lshl_add_u32 v3, v3, 23, v6
	s_delay_alu instid0(VALU_DEP_1) | instskip(NEXT) | instid1(VALU_DEP_1)
	v_lshl_or_b32 v3, v5, 21, v3
                                        ; implicit-def: $vgpr5
	v_add_nc_u32_e32 v3, 0x38000000, v3
.LBB6_13029:                            ;   in Loop: Header=BB6_12546 Depth=2
	s_and_not1_saveexec_b32 s42, s42
; %bb.13030:                            ;   in Loop: Header=BB6_12546 Depth=2
	v_cmp_lt_i16_e32 vcc_lo, -1, v116
	v_cndmask_b32_e32 v3, 0xff800000, v40, vcc_lo
	v_cmp_eq_u32_e32 vcc_lo, 0, v5
	s_delay_alu instid0(VALU_DEP_2)
	v_cndmask_b32_e32 v3, 0x7f800001, v3, vcc_lo
; %bb.13031:                            ;   in Loop: Header=BB6_12546 Depth=2
	s_or_b32 exec_lo, exec_lo, s42
.LBB6_13032:                            ;   in Loop: Header=BB6_12546 Depth=2
	s_delay_alu instid0(SALU_CYCLE_1)
	s_or_b32 exec_lo, exec_lo, s41
.LBB6_13033:                            ;   in Loop: Header=BB6_12546 Depth=2
	s_delay_alu instid0(SALU_CYCLE_1) | instskip(NEXT) | instid1(SALU_CYCLE_1)
	s_or_b32 exec_lo, exec_lo, s10
	s_mov_b32 s10, exec_lo
	v_cmpx_ne_u16_e32 0, v86
	s_cbranch_execz .LBB6_13043
; %bb.13034:                            ;   in Loop: Header=BB6_12546 Depth=2
	v_bfrev_b32_e32 v4, 1
	s_mov_b32 s41, exec_lo
	v_cmpx_ne_u16_e32 0xff80, v86
	s_cbranch_execz .LBB6_13042
; %bb.13035:                            ;   in Loop: Header=BB6_12546 Depth=2
	v_and_b32_e32 v4, 0x7c, v86
	v_and_b32_e32 v5, 3, v86
	s_delay_alu instid0(VALU_DEP_2) | instskip(SKIP_1) | instid1(SALU_CYCLE_1)
	v_cmp_ne_u32_e32 vcc_lo, 0x7c, v4
                                        ; implicit-def: $vgpr4
	s_and_saveexec_b32 s42, vcc_lo
	s_xor_b32 s42, exec_lo, s42
	s_cbranch_execz .LBB6_13039
; %bb.13036:                            ;   in Loop: Header=BB6_12546 Depth=2
	v_and_b32_e32 v4, 0xff, v86
	s_mov_b32 s43, exec_lo
	s_delay_alu instid0(VALU_DEP_1) | instskip(NEXT) | instid1(VALU_DEP_1)
	v_bfe_u32 v4, v4, 2, 5
	v_cmpx_eq_u32_e32 0, v4
	s_cbranch_execz .LBB6_13038
; %bb.13037:                            ;   in Loop: Header=BB6_12546 Depth=2
	v_clz_i32_u32_e32 v4, v5
	s_delay_alu instid0(VALU_DEP_1) | instskip(SKIP_1) | instid1(VALU_DEP_2)
	v_min_u32_e32 v4, 32, v4
	v_mov_b32_e32 v87, v25
	v_subrev_nc_u32_e32 v5, 29, v4
	v_sub_nc_u32_e32 v4, 30, v4
	s_delay_alu instid0(VALU_DEP_2) | instskip(NEXT) | instid1(VALU_DEP_1)
	v_lshlrev_b64_e32 v[6:7], v5, v[86:87]
	v_and_b32_e32 v5, 3, v6
.LBB6_13038:                            ;   in Loop: Header=BB6_12546 Depth=2
	s_or_b32 exec_lo, exec_lo, s43
	v_bfe_i32 v6, v86, 0, 16
	s_delay_alu instid0(VALU_DEP_1) | instskip(NEXT) | instid1(VALU_DEP_1)
	v_and_b32_e32 v6, 0x80000000, v6
	v_lshl_add_u32 v4, v4, 23, v6
	s_delay_alu instid0(VALU_DEP_1) | instskip(NEXT) | instid1(VALU_DEP_1)
	v_lshl_or_b32 v4, v5, 21, v4
                                        ; implicit-def: $vgpr5
	v_add_nc_u32_e32 v4, 0x38000000, v4
.LBB6_13039:                            ;   in Loop: Header=BB6_12546 Depth=2
	s_and_not1_saveexec_b32 s42, s42
; %bb.13040:                            ;   in Loop: Header=BB6_12546 Depth=2
	v_cmp_lt_i16_e32 vcc_lo, -1, v86
	v_cndmask_b32_e32 v4, 0xff800000, v40, vcc_lo
	v_cmp_eq_u32_e32 vcc_lo, 0, v5
	s_delay_alu instid0(VALU_DEP_2)
	v_cndmask_b32_e32 v4, 0x7f800001, v4, vcc_lo
; %bb.13041:                            ;   in Loop: Header=BB6_12546 Depth=2
	s_or_b32 exec_lo, exec_lo, s42
.LBB6_13042:                            ;   in Loop: Header=BB6_12546 Depth=2
	s_delay_alu instid0(SALU_CYCLE_1)
	s_or_b32 exec_lo, exec_lo, s41
.LBB6_13043:                            ;   in Loop: Header=BB6_12546 Depth=2
	s_delay_alu instid0(SALU_CYCLE_1) | instskip(NEXT) | instid1(VALU_DEP_1)
	s_or_b32 exec_lo, exec_lo, s10
	v_dual_max_num_f32 v4, v4, v4 :: v_dual_max_num_f32 v3, v3, v3
	s_mov_b32 s10, 0
	s_delay_alu instid0(VALU_DEP_1)
	v_max_num_f32_e32 v3, v3, v4
.LBB6_13044:                            ;   in Loop: Header=BB6_12546 Depth=2
	s_and_b32 vcc_lo, exec_lo, s10
	s_cbranch_vccz .LBB6_13066
; %bb.13045:                            ;   in Loop: Header=BB6_12546 Depth=2
	v_dual_mov_b32 v4, 0 :: v_dual_mov_b32 v3, 0
	s_and_saveexec_b32 s10, s7
	s_cbranch_execz .LBB6_13055
; %bb.13046:                            ;   in Loop: Header=BB6_12546 Depth=2
	v_bfrev_b32_e32 v3, 1
	s_mov_b32 s7, exec_lo
	v_cmpx_ne_u16_e32 0xff80, v116
	s_cbranch_execz .LBB6_13054
; %bb.13047:                            ;   in Loop: Header=BB6_12546 Depth=2
	v_and_b32_e32 v3, 0x7c, v1
	v_and_b32_e32 v5, 3, v1
	s_delay_alu instid0(VALU_DEP_2) | instskip(SKIP_1) | instid1(SALU_CYCLE_1)
	v_cmp_ne_u32_e32 vcc_lo, 0x7c, v3
                                        ; implicit-def: $vgpr3
	s_and_saveexec_b32 s41, vcc_lo
	s_xor_b32 s41, exec_lo, s41
	s_cbranch_execz .LBB6_13051
; %bb.13048:                            ;   in Loop: Header=BB6_12546 Depth=2
	v_bfe_u32 v1, v1, 2, 5
	s_mov_b32 s42, exec_lo
	s_delay_alu instid0(VALU_DEP_1)
	v_cmpx_eq_u32_e32 0, v1
	s_cbranch_execz .LBB6_13050
; %bb.13049:                            ;   in Loop: Header=BB6_12546 Depth=2
	v_clz_i32_u32_e32 v1, v5
	s_delay_alu instid0(VALU_DEP_1) | instskip(SKIP_1) | instid1(VALU_DEP_2)
	v_min_u32_e32 v1, 32, v1
	v_mov_b32_e32 v117, v25
	v_subrev_nc_u32_e32 v3, 29, v1
	v_sub_nc_u32_e32 v1, 30, v1
	s_delay_alu instid0(VALU_DEP_2) | instskip(NEXT) | instid1(VALU_DEP_1)
	v_lshlrev_b64_e32 v[6:7], v3, v[116:117]
	v_and_b32_e32 v5, 3, v6
.LBB6_13050:                            ;   in Loop: Header=BB6_12546 Depth=2
	s_or_b32 exec_lo, exec_lo, s42
	v_bfe_i32 v3, v116, 0, 16
                                        ; implicit-def: $vgpr116
	s_delay_alu instid0(VALU_DEP_1) | instskip(NEXT) | instid1(VALU_DEP_1)
	v_and_b32_e32 v3, 0x80000000, v3
	v_lshl_add_u32 v1, v1, 23, v3
	s_delay_alu instid0(VALU_DEP_1) | instskip(NEXT) | instid1(VALU_DEP_1)
	v_lshl_or_b32 v1, v5, 21, v1
                                        ; implicit-def: $vgpr5
	v_add_nc_u32_e32 v3, 0x38000000, v1
.LBB6_13051:                            ;   in Loop: Header=BB6_12546 Depth=2
	s_and_not1_saveexec_b32 s41, s41
; %bb.13052:                            ;   in Loop: Header=BB6_12546 Depth=2
	v_cmp_lt_i16_e32 vcc_lo, -1, v116
	v_cndmask_b32_e32 v1, 0xff800000, v40, vcc_lo
	v_cmp_eq_u32_e32 vcc_lo, 0, v5
	s_delay_alu instid0(VALU_DEP_2)
	v_cndmask_b32_e32 v3, 0x7f800001, v1, vcc_lo
; %bb.13053:                            ;   in Loop: Header=BB6_12546 Depth=2
	s_or_b32 exec_lo, exec_lo, s41
.LBB6_13054:                            ;   in Loop: Header=BB6_12546 Depth=2
	s_delay_alu instid0(SALU_CYCLE_1)
	s_or_b32 exec_lo, exec_lo, s7
.LBB6_13055:                            ;   in Loop: Header=BB6_12546 Depth=2
	s_delay_alu instid0(SALU_CYCLE_1) | instskip(NEXT) | instid1(SALU_CYCLE_1)
	s_or_b32 exec_lo, exec_lo, s10
	s_mov_b32 s7, exec_lo
	v_cmpx_ne_u16_e32 0, v86
	s_cbranch_execz .LBB6_13065
; %bb.13056:                            ;   in Loop: Header=BB6_12546 Depth=2
	v_bfrev_b32_e32 v4, 1
	s_mov_b32 s10, exec_lo
	v_cmpx_ne_u16_e32 0xff80, v86
	s_cbranch_execz .LBB6_13064
; %bb.13057:                            ;   in Loop: Header=BB6_12546 Depth=2
	v_and_b32_e32 v4, 0x7c, v86
	v_and_b32_e32 v1, 3, v86
	s_delay_alu instid0(VALU_DEP_2) | instskip(SKIP_1) | instid1(SALU_CYCLE_1)
	v_cmp_ne_u32_e32 vcc_lo, 0x7c, v4
                                        ; implicit-def: $vgpr4
	s_and_saveexec_b32 s41, vcc_lo
	s_xor_b32 s41, exec_lo, s41
	s_cbranch_execz .LBB6_13061
; %bb.13058:                            ;   in Loop: Header=BB6_12546 Depth=2
	v_and_b32_e32 v4, 0xff, v86
	s_mov_b32 s42, exec_lo
	s_delay_alu instid0(VALU_DEP_1) | instskip(NEXT) | instid1(VALU_DEP_1)
	v_bfe_u32 v4, v4, 2, 5
	v_cmpx_eq_u32_e32 0, v4
; %bb.13059:                            ;   in Loop: Header=BB6_12546 Depth=2
	v_clz_i32_u32_e32 v1, v1
	s_delay_alu instid0(VALU_DEP_1) | instskip(SKIP_1) | instid1(VALU_DEP_2)
	v_min_u32_e32 v1, 32, v1
	v_mov_b32_e32 v87, v25
	v_subrev_nc_u32_e32 v4, 29, v1
	s_delay_alu instid0(VALU_DEP_1) | instskip(NEXT) | instid1(VALU_DEP_1)
	v_lshlrev_b64_e32 v[6:7], v4, v[86:87]
	v_dual_sub_nc_u32 v4, 30, v1 :: v_dual_bitop2_b32 v1, 3, v6 bitop3:0x40
; %bb.13060:                            ;   in Loop: Header=BB6_12546 Depth=2
	s_or_b32 exec_lo, exec_lo, s42
	v_bfe_i32 v5, v86, 0, 16
                                        ; implicit-def: $vgpr86
	s_delay_alu instid0(VALU_DEP_1) | instskip(NEXT) | instid1(VALU_DEP_1)
	v_and_b32_e32 v5, 0x80000000, v5
	v_lshl_add_u32 v4, v4, 23, v5
	s_delay_alu instid0(VALU_DEP_1) | instskip(NEXT) | instid1(VALU_DEP_1)
	v_lshl_or_b32 v1, v1, 21, v4
	v_add_nc_u32_e32 v4, 0x38000000, v1
                                        ; implicit-def: $vgpr1
.LBB6_13061:                            ;   in Loop: Header=BB6_12546 Depth=2
	s_and_not1_saveexec_b32 s41, s41
; %bb.13062:                            ;   in Loop: Header=BB6_12546 Depth=2
	v_cmp_lt_i16_e32 vcc_lo, -1, v86
	v_cndmask_b32_e32 v4, 0xff800000, v40, vcc_lo
	v_cmp_eq_u32_e32 vcc_lo, 0, v1
	s_delay_alu instid0(VALU_DEP_2)
	v_cndmask_b32_e32 v4, 0x7f800001, v4, vcc_lo
; %bb.13063:                            ;   in Loop: Header=BB6_12546 Depth=2
	s_or_b32 exec_lo, exec_lo, s41
.LBB6_13064:                            ;   in Loop: Header=BB6_12546 Depth=2
	s_delay_alu instid0(SALU_CYCLE_1)
	s_or_b32 exec_lo, exec_lo, s10
.LBB6_13065:                            ;   in Loop: Header=BB6_12546 Depth=2
	s_delay_alu instid0(SALU_CYCLE_1) | instskip(NEXT) | instid1(VALU_DEP_1)
	s_or_b32 exec_lo, exec_lo, s7
	v_dual_max_num_f32 v1, v4, v4 :: v_dual_max_num_f32 v3, v3, v3
	s_delay_alu instid0(VALU_DEP_1)
	v_min_num_f32_e32 v3, v3, v1
.LBB6_13066:                            ;   in Loop: Header=BB6_12546 Depth=2
	s_delay_alu instid0(VALU_DEP_1) | instskip(SKIP_3) | instid1(VALU_DEP_2)
	v_and_b32_e32 v4, 0x7f800000, v3
	v_mov_b32_e32 v5, v25
	v_and_b32_e32 v24, 0x7fffff, v3
                                        ; implicit-def: $vgpr18
	s_mov_b32 s7, exec_lo
	v_cmpx_ne_u64_e32 0x7f800000, v[4:5]
	s_xor_b32 s10, exec_lo, s7
	s_cbranch_execz .LBB6_13084
; %bb.13067:                            ;   in Loop: Header=BB6_12546 Depth=2
	v_dual_mov_b32 v5, v25 :: v_dual_lshrrev_b32 v1, 24, v3
	v_and_b32_e32 v4, 0x7fffffff, v3
                                        ; implicit-def: $vgpr18
	s_mov_b32 s7, exec_lo
	s_delay_alu instid0(VALU_DEP_2) | instskip(NEXT) | instid1(VALU_DEP_2)
	v_and_b32_e32 v1, 0x80, v1
	v_cmpx_gt_u64_e32 0x47600001, v[4:5]
	s_xor_b32 s41, exec_lo, s7
	s_cbranch_execz .LBB6_13081
; %bb.13068:                            ;   in Loop: Header=BB6_12546 Depth=2
	v_mov_b32_e32 v18, 0
	s_mov_b32 s42, exec_lo
	v_cmpx_ne_u32_e32 0, v3
	s_cbranch_execz .LBB6_13080
; %bb.13069:                            ;   in Loop: Header=BB6_12546 Depth=2
	v_bfe_u32 v3, v3, 23, 8
	v_or_b32_e32 v5, 0x800000, v24
	s_delay_alu instid0(VALU_DEP_2) | instskip(SKIP_2) | instid1(VALU_DEP_2)
	v_cmp_gt_u32_e64 s7, 0x72, v3
	v_sub_nc_u32_e32 v4, 0x71, v3
	v_cmp_eq_u32_e32 vcc_lo, 0, v3
	v_cndmask_b32_e64 v4, 0, v4, s7
	s_delay_alu instid0(VALU_DEP_1) | instskip(NEXT) | instid1(VALU_DEP_1)
	v_cndmask_b32_e64 v18, v4, 0x70, vcc_lo
	v_dual_cndmask_b32 v24, v5, v24, vcc_lo :: v_dual_add_nc_u32 v4, 21, v18
	v_add_nc_u32_e32 v6, 20, v18
	s_delay_alu instid0(VALU_DEP_2) | instskip(NEXT) | instid1(VALU_DEP_2)
	v_lshlrev_b64_e64 v[4:5], v4, -1
	v_lshlrev_b64_e64 v[6:7], v6, 1
	s_delay_alu instid0(VALU_DEP_2) | instskip(NEXT) | instid1(VALU_DEP_3)
	v_bfi_b32 v5, v5, 0, 0
	v_bfi_b32 v4, v4, 0, v24
	s_delay_alu instid0(VALU_DEP_1) | instskip(SKIP_1) | instid1(VALU_DEP_1)
	v_cmp_eq_u64_e64 s7, v[4:5], v[6:7]
	v_lshrrev_b64 v[4:5], v18, v[24:25]
	v_mov_b64_e32 v[6:7], v[4:5]
	s_and_saveexec_b32 s43, s7
; %bb.13070:                            ;   in Loop: Header=BB6_12546 Depth=2
	v_bfe_u32 v24, v4, 21, 1
	s_delay_alu instid0(VALU_DEP_1) | instskip(NEXT) | instid1(VALU_DEP_1)
	v_add_nc_u64_e32 v[6:7], v[4:5], v[24:25]
	v_add_nc_u64_e32 v[6:7], -1, v[6:7]
; %bb.13071:                            ;   in Loop: Header=BB6_12546 Depth=2
	s_or_b32 exec_lo, exec_lo, s43
	v_add_nc_u32_e32 v3, 0xffffff81, v3
	v_lshrrev_b32_e32 v5, 23, v4
	s_mov_b32 s7, exec_lo
	s_delay_alu instid0(VALU_DEP_2) | instskip(NEXT) | instid1(VALU_DEP_1)
	v_cndmask_b32_e64 v3, v3, 0xffffff82, vcc_lo
	v_add3_u32 v7, v18, v3, v5
	v_and_b32_e32 v3, 0x1fffff, v6
	s_delay_alu instid0(VALU_DEP_1) | instskip(NEXT) | instid1(VALU_DEP_1)
	v_dual_add_nc_u32 v6, 14, v7 :: v_dual_add_nc_u32 v24, v3, v4
                                        ; implicit-def: $vgpr4_vgpr5
                                        ; implicit-def: $vgpr3
	v_cmpx_ne_u32_e32 0, v6
	s_xor_b32 s7, exec_lo, s7
; %bb.13072:                            ;   in Loop: Header=BB6_12546 Depth=2
	s_delay_alu instid0(VALU_DEP_2) | instskip(SKIP_2) | instid1(VALU_DEP_2)
	v_cmp_lt_u64_e32 vcc_lo, 0xffffff, v[24:25]
	v_add_nc_u32_e32 v3, 15, v7
	v_cndmask_b32_e64 v4, 0, 1, vcc_lo
	v_cndmask_b32_e32 v3, v6, v3, vcc_lo
	s_delay_alu instid0(VALU_DEP_2)
	v_lshrrev_b64 v[4:5], v4, v[24:25]
; %bb.13073:                            ;   in Loop: Header=BB6_12546 Depth=2
	s_and_not1_saveexec_b32 s7, s7
; %bb.13074:                            ;   in Loop: Header=BB6_12546 Depth=2
	v_mov_b64_e32 v[4:5], v[24:25]
	v_bfe_u32 v3, v24, 23, 1
; %bb.13075:                            ;   in Loop: Header=BB6_12546 Depth=2
	s_or_b32 exec_lo, exec_lo, s7
	s_delay_alu instid0(VALU_DEP_2) | instskip(NEXT) | instid1(VALU_DEP_2)
	v_lshrrev_b64 v[4:5], 21, v[4:5]
	v_cmp_gt_i32_e32 vcc_lo, 32, v3
	v_cmp_ne_u32_e64 s7, 0, v3
                                        ; implicit-def: $vgpr18
	s_delay_alu instid0(VALU_DEP_3) | instskip(NEXT) | instid1(VALU_DEP_1)
	v_dual_cndmask_b32 v5, 0, v5 :: v_dual_cndmask_b32 v4, 3, v4
	v_cmp_ne_u64_e32 vcc_lo, 0, v[4:5]
	s_or_b32 s7, s7, vcc_lo
	s_delay_alu instid0(SALU_CYCLE_1) | instskip(NEXT) | instid1(SALU_CYCLE_1)
	s_and_saveexec_b32 s43, s7
	s_xor_b32 s7, exec_lo, s43
; %bb.13076:                            ;   in Loop: Header=BB6_12546 Depth=2
	v_min_i32_e32 v3, 31, v3
	s_delay_alu instid0(VALU_DEP_1) | instskip(NEXT) | instid1(VALU_DEP_1)
	v_lshl_or_b32 v1, v3, 2, v1
	v_and_or_b32 v18, v4, 3, v1
                                        ; implicit-def: $vgpr1
; %bb.13077:                            ;   in Loop: Header=BB6_12546 Depth=2
	s_and_not1_saveexec_b32 s7, s7
; %bb.13078:                            ;   in Loop: Header=BB6_12546 Depth=2
	v_mov_b32_e32 v18, v1
; %bb.13079:                            ;   in Loop: Header=BB6_12546 Depth=2
	s_or_b32 exec_lo, exec_lo, s7
.LBB6_13080:                            ;   in Loop: Header=BB6_12546 Depth=2
	s_delay_alu instid0(SALU_CYCLE_1)
	s_or_b32 exec_lo, exec_lo, s42
                                        ; implicit-def: $vgpr1
.LBB6_13081:                            ;   in Loop: Header=BB6_12546 Depth=2
	s_and_not1_saveexec_b32 s7, s41
; %bb.13082:                            ;   in Loop: Header=BB6_12546 Depth=2
	v_or_b32_e32 v18, 0x7b, v1
; %bb.13083:                            ;   in Loop: Header=BB6_12546 Depth=2
	s_or_b32 exec_lo, exec_lo, s7
                                        ; implicit-def: $vgpr3
.LBB6_13084:                            ;   in Loop: Header=BB6_12546 Depth=2
	s_and_not1_saveexec_b32 s7, s10
	s_cbranch_execz .LBB6_13090
; %bb.13085:                            ;   in Loop: Header=BB6_12546 Depth=2
	s_mov_b32 s10, exec_lo
                                        ; implicit-def: $vgpr18
	v_cmpx_ne_u64_e32 0, v[24:25]
	s_xor_b32 s10, exec_lo, s10
; %bb.13086:                            ;   in Loop: Header=BB6_12546 Depth=2
	v_lshrrev_b32_e32 v1, 24, v3
                                        ; implicit-def: $vgpr3
	s_delay_alu instid0(VALU_DEP_1)
	v_or_b32_e32 v18, 0x7f, v1
; %bb.13087:                            ;   in Loop: Header=BB6_12546 Depth=2
	s_and_not1_saveexec_b32 s10, s10
; %bb.13088:                            ;   in Loop: Header=BB6_12546 Depth=2
	v_cmp_lt_i32_e32 vcc_lo, -1, v3
	v_cndmask_b32_e64 v18, -4, 0x7c, vcc_lo
; %bb.13089:                            ;   in Loop: Header=BB6_12546 Depth=2
	s_or_b32 exec_lo, exec_lo, s10
.LBB6_13090:                            ;   in Loop: Header=BB6_12546 Depth=2
	s_delay_alu instid0(SALU_CYCLE_1)
	s_or_b32 exec_lo, exec_lo, s7
	v_and_b32_e32 v1, 0xff, v98
	v_cmp_ne_u16_e64 s7, 0, v98
	s_and_not1_b32 vcc_lo, exec_lo, s14
	s_mov_b32 s10, -1
                                        ; implicit-def: $vgpr3
	s_cbranch_vccnz .LBB6_13112
; %bb.13091:                            ;   in Loop: Header=BB6_12546 Depth=2
	v_dual_mov_b32 v4, 0 :: v_dual_mov_b32 v3, 0
	s_and_saveexec_b32 s10, s7
	s_cbranch_execz .LBB6_13101
; %bb.13092:                            ;   in Loop: Header=BB6_12546 Depth=2
	v_bfrev_b32_e32 v3, 1
	s_mov_b32 s41, exec_lo
	v_cmpx_ne_u16_e32 0xff80, v98
	s_cbranch_execz .LBB6_13100
; %bb.13093:                            ;   in Loop: Header=BB6_12546 Depth=2
	v_and_b32_e32 v3, 0x7c, v1
	v_and_b32_e32 v5, 3, v1
	s_delay_alu instid0(VALU_DEP_2) | instskip(SKIP_1) | instid1(SALU_CYCLE_1)
	v_cmp_ne_u32_e32 vcc_lo, 0x7c, v3
                                        ; implicit-def: $vgpr3
	s_and_saveexec_b32 s42, vcc_lo
	s_xor_b32 s42, exec_lo, s42
	s_cbranch_execz .LBB6_13097
; %bb.13094:                            ;   in Loop: Header=BB6_12546 Depth=2
	v_bfe_u32 v3, v1, 2, 5
	s_mov_b32 s43, exec_lo
	s_delay_alu instid0(VALU_DEP_1)
	v_cmpx_eq_u32_e32 0, v3
	s_cbranch_execz .LBB6_13096
; %bb.13095:                            ;   in Loop: Header=BB6_12546 Depth=2
	v_clz_i32_u32_e32 v3, v5
	s_delay_alu instid0(VALU_DEP_1) | instskip(SKIP_1) | instid1(VALU_DEP_2)
	v_min_u32_e32 v3, 32, v3
	v_mov_b32_e32 v99, v25
	v_subrev_nc_u32_e32 v5, 29, v3
	v_sub_nc_u32_e32 v3, 30, v3
	s_delay_alu instid0(VALU_DEP_2) | instskip(NEXT) | instid1(VALU_DEP_1)
	v_lshlrev_b64_e32 v[6:7], v5, v[98:99]
	v_and_b32_e32 v5, 3, v6
.LBB6_13096:                            ;   in Loop: Header=BB6_12546 Depth=2
	s_or_b32 exec_lo, exec_lo, s43
	v_bfe_i32 v6, v98, 0, 16
	s_delay_alu instid0(VALU_DEP_1) | instskip(NEXT) | instid1(VALU_DEP_1)
	v_and_b32_e32 v6, 0x80000000, v6
	v_lshl_add_u32 v3, v3, 23, v6
	s_delay_alu instid0(VALU_DEP_1) | instskip(NEXT) | instid1(VALU_DEP_1)
	v_lshl_or_b32 v3, v5, 21, v3
                                        ; implicit-def: $vgpr5
	v_add_nc_u32_e32 v3, 0x38000000, v3
.LBB6_13097:                            ;   in Loop: Header=BB6_12546 Depth=2
	s_and_not1_saveexec_b32 s42, s42
; %bb.13098:                            ;   in Loop: Header=BB6_12546 Depth=2
	v_cmp_lt_i16_e32 vcc_lo, -1, v98
	v_cndmask_b32_e32 v3, 0xff800000, v40, vcc_lo
	v_cmp_eq_u32_e32 vcc_lo, 0, v5
	s_delay_alu instid0(VALU_DEP_2)
	v_cndmask_b32_e32 v3, 0x7f800001, v3, vcc_lo
; %bb.13099:                            ;   in Loop: Header=BB6_12546 Depth=2
	s_or_b32 exec_lo, exec_lo, s42
.LBB6_13100:                            ;   in Loop: Header=BB6_12546 Depth=2
	s_delay_alu instid0(SALU_CYCLE_1)
	s_or_b32 exec_lo, exec_lo, s41
.LBB6_13101:                            ;   in Loop: Header=BB6_12546 Depth=2
	s_delay_alu instid0(SALU_CYCLE_1) | instskip(NEXT) | instid1(SALU_CYCLE_1)
	s_or_b32 exec_lo, exec_lo, s10
	s_mov_b32 s10, exec_lo
	v_cmpx_ne_u16_e32 0, v112
	s_cbranch_execz .LBB6_13111
; %bb.13102:                            ;   in Loop: Header=BB6_12546 Depth=2
	v_bfrev_b32_e32 v4, 1
	s_mov_b32 s41, exec_lo
	v_cmpx_ne_u16_e32 0xff80, v112
	s_cbranch_execz .LBB6_13110
; %bb.13103:                            ;   in Loop: Header=BB6_12546 Depth=2
	v_and_b32_e32 v4, 0x7c, v112
	v_and_b32_e32 v5, 3, v112
	s_delay_alu instid0(VALU_DEP_2) | instskip(SKIP_1) | instid1(SALU_CYCLE_1)
	v_cmp_ne_u32_e32 vcc_lo, 0x7c, v4
                                        ; implicit-def: $vgpr4
	s_and_saveexec_b32 s42, vcc_lo
	s_xor_b32 s42, exec_lo, s42
	s_cbranch_execz .LBB6_13107
; %bb.13104:                            ;   in Loop: Header=BB6_12546 Depth=2
	v_and_b32_e32 v4, 0xff, v112
	s_mov_b32 s43, exec_lo
	s_delay_alu instid0(VALU_DEP_1) | instskip(NEXT) | instid1(VALU_DEP_1)
	v_bfe_u32 v4, v4, 2, 5
	v_cmpx_eq_u32_e32 0, v4
	s_cbranch_execz .LBB6_13106
; %bb.13105:                            ;   in Loop: Header=BB6_12546 Depth=2
	v_clz_i32_u32_e32 v4, v5
	s_delay_alu instid0(VALU_DEP_1) | instskip(SKIP_1) | instid1(VALU_DEP_2)
	v_min_u32_e32 v4, 32, v4
	v_mov_b32_e32 v113, v25
	v_subrev_nc_u32_e32 v5, 29, v4
	v_sub_nc_u32_e32 v4, 30, v4
	s_delay_alu instid0(VALU_DEP_2) | instskip(NEXT) | instid1(VALU_DEP_1)
	v_lshlrev_b64_e32 v[6:7], v5, v[112:113]
	v_and_b32_e32 v5, 3, v6
.LBB6_13106:                            ;   in Loop: Header=BB6_12546 Depth=2
	s_or_b32 exec_lo, exec_lo, s43
	v_bfe_i32 v6, v112, 0, 16
	s_delay_alu instid0(VALU_DEP_1) | instskip(NEXT) | instid1(VALU_DEP_1)
	v_and_b32_e32 v6, 0x80000000, v6
	v_lshl_add_u32 v4, v4, 23, v6
	s_delay_alu instid0(VALU_DEP_1) | instskip(NEXT) | instid1(VALU_DEP_1)
	v_lshl_or_b32 v4, v5, 21, v4
                                        ; implicit-def: $vgpr5
	v_add_nc_u32_e32 v4, 0x38000000, v4
.LBB6_13107:                            ;   in Loop: Header=BB6_12546 Depth=2
	s_and_not1_saveexec_b32 s42, s42
; %bb.13108:                            ;   in Loop: Header=BB6_12546 Depth=2
	v_cmp_lt_i16_e32 vcc_lo, -1, v112
	v_cndmask_b32_e32 v4, 0xff800000, v40, vcc_lo
	v_cmp_eq_u32_e32 vcc_lo, 0, v5
	s_delay_alu instid0(VALU_DEP_2)
	v_cndmask_b32_e32 v4, 0x7f800001, v4, vcc_lo
; %bb.13109:                            ;   in Loop: Header=BB6_12546 Depth=2
	s_or_b32 exec_lo, exec_lo, s42
.LBB6_13110:                            ;   in Loop: Header=BB6_12546 Depth=2
	s_delay_alu instid0(SALU_CYCLE_1)
	s_or_b32 exec_lo, exec_lo, s41
.LBB6_13111:                            ;   in Loop: Header=BB6_12546 Depth=2
	s_delay_alu instid0(SALU_CYCLE_1) | instskip(NEXT) | instid1(VALU_DEP_1)
	s_or_b32 exec_lo, exec_lo, s10
	v_dual_max_num_f32 v4, v4, v4 :: v_dual_max_num_f32 v3, v3, v3
	s_mov_b32 s10, 0
	s_delay_alu instid0(VALU_DEP_1)
	v_max_num_f32_e32 v3, v3, v4
.LBB6_13112:                            ;   in Loop: Header=BB6_12546 Depth=2
	s_and_b32 vcc_lo, exec_lo, s10
	s_cbranch_vccz .LBB6_13134
; %bb.13113:                            ;   in Loop: Header=BB6_12546 Depth=2
	v_dual_mov_b32 v4, 0 :: v_dual_mov_b32 v3, 0
	s_and_saveexec_b32 s10, s7
	s_cbranch_execz .LBB6_13123
; %bb.13114:                            ;   in Loop: Header=BB6_12546 Depth=2
	v_bfrev_b32_e32 v3, 1
	s_mov_b32 s7, exec_lo
	v_cmpx_ne_u16_e32 0xff80, v98
	s_cbranch_execz .LBB6_13122
; %bb.13115:                            ;   in Loop: Header=BB6_12546 Depth=2
	v_and_b32_e32 v3, 0x7c, v1
	v_and_b32_e32 v5, 3, v1
	s_delay_alu instid0(VALU_DEP_2) | instskip(SKIP_1) | instid1(SALU_CYCLE_1)
	v_cmp_ne_u32_e32 vcc_lo, 0x7c, v3
                                        ; implicit-def: $vgpr3
	s_and_saveexec_b32 s41, vcc_lo
	s_xor_b32 s41, exec_lo, s41
	s_cbranch_execz .LBB6_13119
; %bb.13116:                            ;   in Loop: Header=BB6_12546 Depth=2
	v_bfe_u32 v1, v1, 2, 5
	s_mov_b32 s42, exec_lo
	s_delay_alu instid0(VALU_DEP_1)
	v_cmpx_eq_u32_e32 0, v1
	s_cbranch_execz .LBB6_13118
; %bb.13117:                            ;   in Loop: Header=BB6_12546 Depth=2
	v_clz_i32_u32_e32 v1, v5
	s_delay_alu instid0(VALU_DEP_1) | instskip(SKIP_1) | instid1(VALU_DEP_2)
	v_min_u32_e32 v1, 32, v1
	v_mov_b32_e32 v99, v25
	v_subrev_nc_u32_e32 v3, 29, v1
	v_sub_nc_u32_e32 v1, 30, v1
	s_delay_alu instid0(VALU_DEP_2) | instskip(NEXT) | instid1(VALU_DEP_1)
	v_lshlrev_b64_e32 v[6:7], v3, v[98:99]
	v_and_b32_e32 v5, 3, v6
.LBB6_13118:                            ;   in Loop: Header=BB6_12546 Depth=2
	s_or_b32 exec_lo, exec_lo, s42
	v_bfe_i32 v3, v98, 0, 16
                                        ; implicit-def: $vgpr98
	s_delay_alu instid0(VALU_DEP_1) | instskip(NEXT) | instid1(VALU_DEP_1)
	v_and_b32_e32 v3, 0x80000000, v3
	v_lshl_add_u32 v1, v1, 23, v3
	s_delay_alu instid0(VALU_DEP_1) | instskip(NEXT) | instid1(VALU_DEP_1)
	v_lshl_or_b32 v1, v5, 21, v1
                                        ; implicit-def: $vgpr5
	v_add_nc_u32_e32 v3, 0x38000000, v1
.LBB6_13119:                            ;   in Loop: Header=BB6_12546 Depth=2
	s_and_not1_saveexec_b32 s41, s41
; %bb.13120:                            ;   in Loop: Header=BB6_12546 Depth=2
	v_cmp_lt_i16_e32 vcc_lo, -1, v98
	v_cndmask_b32_e32 v1, 0xff800000, v40, vcc_lo
	v_cmp_eq_u32_e32 vcc_lo, 0, v5
	s_delay_alu instid0(VALU_DEP_2)
	v_cndmask_b32_e32 v3, 0x7f800001, v1, vcc_lo
; %bb.13121:                            ;   in Loop: Header=BB6_12546 Depth=2
	s_or_b32 exec_lo, exec_lo, s41
.LBB6_13122:                            ;   in Loop: Header=BB6_12546 Depth=2
	s_delay_alu instid0(SALU_CYCLE_1)
	s_or_b32 exec_lo, exec_lo, s7
.LBB6_13123:                            ;   in Loop: Header=BB6_12546 Depth=2
	s_delay_alu instid0(SALU_CYCLE_1) | instskip(NEXT) | instid1(SALU_CYCLE_1)
	s_or_b32 exec_lo, exec_lo, s10
	s_mov_b32 s7, exec_lo
	v_cmpx_ne_u16_e32 0, v112
	s_cbranch_execz .LBB6_13133
; %bb.13124:                            ;   in Loop: Header=BB6_12546 Depth=2
	v_bfrev_b32_e32 v4, 1
	s_mov_b32 s10, exec_lo
	v_cmpx_ne_u16_e32 0xff80, v112
	s_cbranch_execz .LBB6_13132
; %bb.13125:                            ;   in Loop: Header=BB6_12546 Depth=2
	v_and_b32_e32 v4, 0x7c, v112
	v_and_b32_e32 v1, 3, v112
	s_delay_alu instid0(VALU_DEP_2) | instskip(SKIP_1) | instid1(SALU_CYCLE_1)
	v_cmp_ne_u32_e32 vcc_lo, 0x7c, v4
                                        ; implicit-def: $vgpr4
	s_and_saveexec_b32 s41, vcc_lo
	s_xor_b32 s41, exec_lo, s41
	s_cbranch_execz .LBB6_13129
; %bb.13126:                            ;   in Loop: Header=BB6_12546 Depth=2
	v_and_b32_e32 v4, 0xff, v112
	s_mov_b32 s42, exec_lo
	s_delay_alu instid0(VALU_DEP_1) | instskip(NEXT) | instid1(VALU_DEP_1)
	v_bfe_u32 v4, v4, 2, 5
	v_cmpx_eq_u32_e32 0, v4
; %bb.13127:                            ;   in Loop: Header=BB6_12546 Depth=2
	v_clz_i32_u32_e32 v1, v1
	s_delay_alu instid0(VALU_DEP_1) | instskip(SKIP_1) | instid1(VALU_DEP_2)
	v_min_u32_e32 v1, 32, v1
	v_mov_b32_e32 v113, v25
	v_subrev_nc_u32_e32 v4, 29, v1
	s_delay_alu instid0(VALU_DEP_1) | instskip(NEXT) | instid1(VALU_DEP_1)
	v_lshlrev_b64_e32 v[6:7], v4, v[112:113]
	v_dual_sub_nc_u32 v4, 30, v1 :: v_dual_bitop2_b32 v1, 3, v6 bitop3:0x40
; %bb.13128:                            ;   in Loop: Header=BB6_12546 Depth=2
	s_or_b32 exec_lo, exec_lo, s42
	v_bfe_i32 v5, v112, 0, 16
                                        ; implicit-def: $vgpr112
	s_delay_alu instid0(VALU_DEP_1) | instskip(NEXT) | instid1(VALU_DEP_1)
	v_and_b32_e32 v5, 0x80000000, v5
	v_lshl_add_u32 v4, v4, 23, v5
	s_delay_alu instid0(VALU_DEP_1) | instskip(NEXT) | instid1(VALU_DEP_1)
	v_lshl_or_b32 v1, v1, 21, v4
	v_add_nc_u32_e32 v4, 0x38000000, v1
                                        ; implicit-def: $vgpr1
.LBB6_13129:                            ;   in Loop: Header=BB6_12546 Depth=2
	s_and_not1_saveexec_b32 s41, s41
; %bb.13130:                            ;   in Loop: Header=BB6_12546 Depth=2
	v_cmp_lt_i16_e32 vcc_lo, -1, v112
	v_cndmask_b32_e32 v4, 0xff800000, v40, vcc_lo
	v_cmp_eq_u32_e32 vcc_lo, 0, v1
	s_delay_alu instid0(VALU_DEP_2)
	v_cndmask_b32_e32 v4, 0x7f800001, v4, vcc_lo
; %bb.13131:                            ;   in Loop: Header=BB6_12546 Depth=2
	s_or_b32 exec_lo, exec_lo, s41
.LBB6_13132:                            ;   in Loop: Header=BB6_12546 Depth=2
	s_delay_alu instid0(SALU_CYCLE_1)
	s_or_b32 exec_lo, exec_lo, s10
.LBB6_13133:                            ;   in Loop: Header=BB6_12546 Depth=2
	s_delay_alu instid0(SALU_CYCLE_1) | instskip(NEXT) | instid1(VALU_DEP_1)
	s_or_b32 exec_lo, exec_lo, s7
	v_dual_max_num_f32 v1, v4, v4 :: v_dual_max_num_f32 v3, v3, v3
	s_delay_alu instid0(VALU_DEP_1)
	v_min_num_f32_e32 v3, v3, v1
.LBB6_13134:                            ;   in Loop: Header=BB6_12546 Depth=2
	s_delay_alu instid0(VALU_DEP_1) | instskip(SKIP_2) | instid1(VALU_DEP_2)
	v_and_b32_e32 v4, 0x7f800000, v3
	v_mov_b32_e32 v5, v25
	v_and_b32_e32 v24, 0x7fffff, v3
                                        ; implicit-def: $vgpr19
	v_cmp_ne_u64_e32 vcc_lo, 0x7f800000, v[4:5]
	s_mov_b32 s7, exec_lo
	v_dual_mov_b32 v22, v32 :: v_dual_mov_b32 v86, v50
	v_dual_mov_b32 v26, v36 :: v_dual_mov_b32 v98, v34
	v_dual_mov_b32 v34, v44 :: v_dual_mov_b32 v36, v118
	v_mov_b32_e32 v64, v48
	s_and_b32 s41, s7, vcc_lo
	s_delay_alu instid0(SALU_CYCLE_1)
	s_xor_b32 s10, s41, s7
	s_mov_b32 exec_lo, s41
	s_cbranch_execz .LBB6_13152
; %bb.13135:                            ;   in Loop: Header=BB6_12546 Depth=2
	v_dual_mov_b32 v5, v25 :: v_dual_lshrrev_b32 v1, 24, v3
	v_and_b32_e32 v4, 0x7fffffff, v3
                                        ; implicit-def: $vgpr19
	s_mov_b32 s7, exec_lo
	s_delay_alu instid0(VALU_DEP_2) | instskip(NEXT) | instid1(VALU_DEP_2)
	v_and_b32_e32 v1, 0x80, v1
	v_cmpx_gt_u64_e32 0x47600001, v[4:5]
	s_xor_b32 s41, exec_lo, s7
	s_cbranch_execz .LBB6_13149
; %bb.13136:                            ;   in Loop: Header=BB6_12546 Depth=2
	v_mov_b32_e32 v19, 0
	s_mov_b32 s42, exec_lo
	v_cmpx_ne_u32_e32 0, v3
	s_cbranch_execz .LBB6_13148
; %bb.13137:                            ;   in Loop: Header=BB6_12546 Depth=2
	v_bfe_u32 v3, v3, 23, 8
	v_or_b32_e32 v6, 0x800000, v24
	s_delay_alu instid0(VALU_DEP_2) | instskip(SKIP_1) | instid1(VALU_DEP_2)
	v_sub_nc_u32_e32 v4, 0x71, v3
	v_cmp_gt_u32_e32 vcc_lo, 0x72, v3
	v_cndmask_b32_e32 v4, 0, v4, vcc_lo
	v_cmp_eq_u32_e32 vcc_lo, 0, v3
	s_delay_alu instid0(VALU_DEP_2) | instskip(NEXT) | instid1(VALU_DEP_1)
	v_cndmask_b32_e64 v19, v4, 0x70, vcc_lo
	v_dual_cndmask_b32 v24, v6, v24, vcc_lo :: v_dual_add_nc_u32 v4, 21, v19
	v_add_nc_u32_e32 v7, 20, v19
	s_delay_alu instid0(VALU_DEP_2) | instskip(NEXT) | instid1(VALU_DEP_2)
	v_lshlrev_b64_e64 v[4:5], v4, -1
	v_lshlrev_b64_e64 v[6:7], v7, 1
	s_delay_alu instid0(VALU_DEP_2) | instskip(NEXT) | instid1(VALU_DEP_3)
	v_bfi_b32 v29, v5, 0, 0
	v_bfi_b32 v28, v4, 0, v24
	v_lshrrev_b64 v[4:5], v19, v[24:25]
	s_delay_alu instid0(VALU_DEP_2) | instskip(NEXT) | instid1(VALU_DEP_2)
	v_cmp_eq_u64_e64 s7, v[28:29], v[6:7]
	v_mov_b64_e32 v[6:7], v[4:5]
	s_and_saveexec_b32 s43, s7
; %bb.13138:                            ;   in Loop: Header=BB6_12546 Depth=2
	v_bfe_u32 v24, v4, 21, 1
	s_delay_alu instid0(VALU_DEP_1) | instskip(NEXT) | instid1(VALU_DEP_1)
	v_add_nc_u64_e32 v[6:7], v[4:5], v[24:25]
	v_add_nc_u64_e32 v[6:7], -1, v[6:7]
; %bb.13139:                            ;   in Loop: Header=BB6_12546 Depth=2
	s_or_b32 exec_lo, exec_lo, s43
	v_add_nc_u32_e32 v3, 0xffffff81, v3
	v_lshrrev_b32_e32 v5, 23, v4
	s_mov_b32 s7, exec_lo
	s_delay_alu instid0(VALU_DEP_2) | instskip(NEXT) | instid1(VALU_DEP_1)
	v_cndmask_b32_e64 v3, v3, 0xffffff82, vcc_lo
	v_add3_u32 v7, v19, v3, v5
	v_and_b32_e32 v3, 0x1fffff, v6
	s_delay_alu instid0(VALU_DEP_1) | instskip(NEXT) | instid1(VALU_DEP_1)
	v_dual_add_nc_u32 v6, 14, v7 :: v_dual_add_nc_u32 v24, v3, v4
                                        ; implicit-def: $vgpr4_vgpr5
                                        ; implicit-def: $vgpr3
	v_cmpx_ne_u32_e32 0, v6
	s_xor_b32 s7, exec_lo, s7
; %bb.13140:                            ;   in Loop: Header=BB6_12546 Depth=2
	s_delay_alu instid0(VALU_DEP_2) | instskip(SKIP_2) | instid1(VALU_DEP_2)
	v_cmp_lt_u64_e32 vcc_lo, 0xffffff, v[24:25]
	v_add_nc_u32_e32 v3, 15, v7
	v_cndmask_b32_e64 v4, 0, 1, vcc_lo
	v_cndmask_b32_e32 v3, v6, v3, vcc_lo
	s_delay_alu instid0(VALU_DEP_2)
	v_lshrrev_b64 v[4:5], v4, v[24:25]
; %bb.13141:                            ;   in Loop: Header=BB6_12546 Depth=2
	s_and_not1_saveexec_b32 s7, s7
; %bb.13142:                            ;   in Loop: Header=BB6_12546 Depth=2
	v_mov_b64_e32 v[4:5], v[24:25]
	v_bfe_u32 v3, v24, 23, 1
; %bb.13143:                            ;   in Loop: Header=BB6_12546 Depth=2
	s_or_b32 exec_lo, exec_lo, s7
	s_delay_alu instid0(VALU_DEP_2) | instskip(NEXT) | instid1(VALU_DEP_2)
	v_lshrrev_b64 v[4:5], 21, v[4:5]
	v_cmp_gt_i32_e32 vcc_lo, 32, v3
	v_cmp_ne_u32_e64 s7, 0, v3
                                        ; implicit-def: $vgpr19
	s_delay_alu instid0(VALU_DEP_3) | instskip(NEXT) | instid1(VALU_DEP_1)
	v_dual_cndmask_b32 v5, 0, v5 :: v_dual_cndmask_b32 v4, 3, v4
	v_cmp_ne_u64_e32 vcc_lo, 0, v[4:5]
	s_or_b32 s7, s7, vcc_lo
	s_delay_alu instid0(SALU_CYCLE_1) | instskip(NEXT) | instid1(SALU_CYCLE_1)
	s_and_saveexec_b32 s43, s7
	s_xor_b32 s7, exec_lo, s43
; %bb.13144:                            ;   in Loop: Header=BB6_12546 Depth=2
	v_min_i32_e32 v3, 31, v3
	s_delay_alu instid0(VALU_DEP_1) | instskip(NEXT) | instid1(VALU_DEP_1)
	v_lshl_or_b32 v1, v3, 2, v1
	v_and_or_b32 v19, v4, 3, v1
                                        ; implicit-def: $vgpr1
; %bb.13145:                            ;   in Loop: Header=BB6_12546 Depth=2
	s_and_not1_saveexec_b32 s7, s7
; %bb.13146:                            ;   in Loop: Header=BB6_12546 Depth=2
	v_mov_b32_e32 v19, v1
; %bb.13147:                            ;   in Loop: Header=BB6_12546 Depth=2
	s_or_b32 exec_lo, exec_lo, s7
.LBB6_13148:                            ;   in Loop: Header=BB6_12546 Depth=2
	s_delay_alu instid0(SALU_CYCLE_1)
	s_or_b32 exec_lo, exec_lo, s42
                                        ; implicit-def: $vgpr1
.LBB6_13149:                            ;   in Loop: Header=BB6_12546 Depth=2
	s_and_not1_saveexec_b32 s7, s41
; %bb.13150:                            ;   in Loop: Header=BB6_12546 Depth=2
	v_or_b32_e32 v19, 0x7b, v1
; %bb.13151:                            ;   in Loop: Header=BB6_12546 Depth=2
	s_or_b32 exec_lo, exec_lo, s7
                                        ; implicit-def: $vgpr3
.LBB6_13152:                            ;   in Loop: Header=BB6_12546 Depth=2
	s_and_not1_saveexec_b32 s7, s10
	s_cbranch_execz .LBB6_13158
; %bb.13153:                            ;   in Loop: Header=BB6_12546 Depth=2
	s_mov_b32 s10, exec_lo
                                        ; implicit-def: $vgpr19
	v_cmpx_ne_u64_e32 0, v[24:25]
	s_xor_b32 s10, exec_lo, s10
; %bb.13154:                            ;   in Loop: Header=BB6_12546 Depth=2
	v_lshrrev_b32_e32 v1, 24, v3
                                        ; implicit-def: $vgpr3
	s_delay_alu instid0(VALU_DEP_1)
	v_or_b32_e32 v19, 0x7f, v1
; %bb.13155:                            ;   in Loop: Header=BB6_12546 Depth=2
	s_and_not1_saveexec_b32 s10, s10
; %bb.13156:                            ;   in Loop: Header=BB6_12546 Depth=2
	v_cmp_lt_i32_e32 vcc_lo, -1, v3
	v_cndmask_b32_e64 v19, -4, 0x7c, vcc_lo
; %bb.13157:                            ;   in Loop: Header=BB6_12546 Depth=2
	s_or_b32 exec_lo, exec_lo, s10
.LBB6_13158:                            ;   in Loop: Header=BB6_12546 Depth=2
	s_delay_alu instid0(SALU_CYCLE_1)
	s_or_b32 exec_lo, exec_lo, s7
	v_and_b32_e32 v1, 0xff, v100
	v_cmp_ne_u16_e64 s7, 0, v100
	s_and_not1_b32 vcc_lo, exec_lo, s14
	s_mov_b32 s10, -1
                                        ; implicit-def: $vgpr3
	s_cbranch_vccnz .LBB6_13180
; %bb.13159:                            ;   in Loop: Header=BB6_12546 Depth=2
	v_dual_mov_b32 v4, 0 :: v_dual_mov_b32 v3, 0
	s_and_saveexec_b32 s10, s7
	s_cbranch_execz .LBB6_13169
; %bb.13160:                            ;   in Loop: Header=BB6_12546 Depth=2
	v_bfrev_b32_e32 v3, 1
	s_mov_b32 s41, exec_lo
	v_cmpx_ne_u16_e32 0xff80, v100
	s_cbranch_execz .LBB6_13168
; %bb.13161:                            ;   in Loop: Header=BB6_12546 Depth=2
	v_and_b32_e32 v3, 0x7c, v1
	v_and_b32_e32 v5, 3, v1
	s_delay_alu instid0(VALU_DEP_2) | instskip(SKIP_1) | instid1(SALU_CYCLE_1)
	v_cmp_ne_u32_e32 vcc_lo, 0x7c, v3
                                        ; implicit-def: $vgpr3
	s_and_saveexec_b32 s42, vcc_lo
	s_xor_b32 s42, exec_lo, s42
	s_cbranch_execz .LBB6_13165
; %bb.13162:                            ;   in Loop: Header=BB6_12546 Depth=2
	v_bfe_u32 v3, v1, 2, 5
	s_mov_b32 s43, exec_lo
	s_delay_alu instid0(VALU_DEP_1)
	v_cmpx_eq_u32_e32 0, v3
	s_cbranch_execz .LBB6_13164
; %bb.13163:                            ;   in Loop: Header=BB6_12546 Depth=2
	v_clz_i32_u32_e32 v3, v5
	s_delay_alu instid0(VALU_DEP_1) | instskip(SKIP_1) | instid1(VALU_DEP_2)
	v_min_u32_e32 v3, 32, v3
	v_mov_b32_e32 v101, v25
	v_subrev_nc_u32_e32 v5, 29, v3
	v_sub_nc_u32_e32 v3, 30, v3
	s_delay_alu instid0(VALU_DEP_2) | instskip(NEXT) | instid1(VALU_DEP_1)
	v_lshlrev_b64_e32 v[6:7], v5, v[100:101]
	v_and_b32_e32 v5, 3, v6
.LBB6_13164:                            ;   in Loop: Header=BB6_12546 Depth=2
	s_or_b32 exec_lo, exec_lo, s43
	v_bfe_i32 v6, v100, 0, 16
	s_delay_alu instid0(VALU_DEP_1) | instskip(NEXT) | instid1(VALU_DEP_1)
	v_and_b32_e32 v6, 0x80000000, v6
	v_lshl_add_u32 v3, v3, 23, v6
	s_delay_alu instid0(VALU_DEP_1) | instskip(NEXT) | instid1(VALU_DEP_1)
	v_lshl_or_b32 v3, v5, 21, v3
                                        ; implicit-def: $vgpr5
	v_add_nc_u32_e32 v3, 0x38000000, v3
.LBB6_13165:                            ;   in Loop: Header=BB6_12546 Depth=2
	s_and_not1_saveexec_b32 s42, s42
; %bb.13166:                            ;   in Loop: Header=BB6_12546 Depth=2
	v_cmp_lt_i16_e32 vcc_lo, -1, v100
	v_cndmask_b32_e32 v3, 0xff800000, v40, vcc_lo
	v_cmp_eq_u32_e32 vcc_lo, 0, v5
	s_delay_alu instid0(VALU_DEP_2)
	v_cndmask_b32_e32 v3, 0x7f800001, v3, vcc_lo
; %bb.13167:                            ;   in Loop: Header=BB6_12546 Depth=2
	s_or_b32 exec_lo, exec_lo, s42
.LBB6_13168:                            ;   in Loop: Header=BB6_12546 Depth=2
	s_delay_alu instid0(SALU_CYCLE_1)
	s_or_b32 exec_lo, exec_lo, s41
.LBB6_13169:                            ;   in Loop: Header=BB6_12546 Depth=2
	s_delay_alu instid0(SALU_CYCLE_1) | instskip(NEXT) | instid1(SALU_CYCLE_1)
	s_or_b32 exec_lo, exec_lo, s10
	s_mov_b32 s10, exec_lo
	v_cmpx_ne_u16_e32 0, v96
	s_cbranch_execz .LBB6_13179
; %bb.13170:                            ;   in Loop: Header=BB6_12546 Depth=2
	v_bfrev_b32_e32 v4, 1
	s_mov_b32 s41, exec_lo
	v_cmpx_ne_u16_e32 0xff80, v96
	s_cbranch_execz .LBB6_13178
; %bb.13171:                            ;   in Loop: Header=BB6_12546 Depth=2
	v_and_b32_e32 v4, 0x7c, v96
	v_and_b32_e32 v5, 3, v96
	s_delay_alu instid0(VALU_DEP_2) | instskip(SKIP_1) | instid1(SALU_CYCLE_1)
	v_cmp_ne_u32_e32 vcc_lo, 0x7c, v4
                                        ; implicit-def: $vgpr4
	s_and_saveexec_b32 s42, vcc_lo
	s_xor_b32 s42, exec_lo, s42
	s_cbranch_execz .LBB6_13175
; %bb.13172:                            ;   in Loop: Header=BB6_12546 Depth=2
	v_and_b32_e32 v4, 0xff, v96
	s_mov_b32 s43, exec_lo
	s_delay_alu instid0(VALU_DEP_1) | instskip(NEXT) | instid1(VALU_DEP_1)
	v_bfe_u32 v4, v4, 2, 5
	v_cmpx_eq_u32_e32 0, v4
	s_cbranch_execz .LBB6_13174
; %bb.13173:                            ;   in Loop: Header=BB6_12546 Depth=2
	v_clz_i32_u32_e32 v4, v5
	s_delay_alu instid0(VALU_DEP_1) | instskip(SKIP_1) | instid1(VALU_DEP_2)
	v_min_u32_e32 v4, 32, v4
	v_mov_b32_e32 v97, v25
	v_subrev_nc_u32_e32 v5, 29, v4
	v_sub_nc_u32_e32 v4, 30, v4
	s_delay_alu instid0(VALU_DEP_2) | instskip(NEXT) | instid1(VALU_DEP_1)
	v_lshlrev_b64_e32 v[6:7], v5, v[96:97]
	v_and_b32_e32 v5, 3, v6
.LBB6_13174:                            ;   in Loop: Header=BB6_12546 Depth=2
	s_or_b32 exec_lo, exec_lo, s43
	v_bfe_i32 v6, v96, 0, 16
	s_delay_alu instid0(VALU_DEP_1) | instskip(NEXT) | instid1(VALU_DEP_1)
	v_and_b32_e32 v6, 0x80000000, v6
	v_lshl_add_u32 v4, v4, 23, v6
	s_delay_alu instid0(VALU_DEP_1) | instskip(NEXT) | instid1(VALU_DEP_1)
	v_lshl_or_b32 v4, v5, 21, v4
                                        ; implicit-def: $vgpr5
	v_add_nc_u32_e32 v4, 0x38000000, v4
.LBB6_13175:                            ;   in Loop: Header=BB6_12546 Depth=2
	s_and_not1_saveexec_b32 s42, s42
; %bb.13176:                            ;   in Loop: Header=BB6_12546 Depth=2
	v_cmp_lt_i16_e32 vcc_lo, -1, v96
	v_cndmask_b32_e32 v4, 0xff800000, v40, vcc_lo
	v_cmp_eq_u32_e32 vcc_lo, 0, v5
	s_delay_alu instid0(VALU_DEP_2)
	v_cndmask_b32_e32 v4, 0x7f800001, v4, vcc_lo
; %bb.13177:                            ;   in Loop: Header=BB6_12546 Depth=2
	s_or_b32 exec_lo, exec_lo, s42
.LBB6_13178:                            ;   in Loop: Header=BB6_12546 Depth=2
	s_delay_alu instid0(SALU_CYCLE_1)
	s_or_b32 exec_lo, exec_lo, s41
.LBB6_13179:                            ;   in Loop: Header=BB6_12546 Depth=2
	s_delay_alu instid0(SALU_CYCLE_1) | instskip(NEXT) | instid1(VALU_DEP_1)
	s_or_b32 exec_lo, exec_lo, s10
	v_dual_max_num_f32 v4, v4, v4 :: v_dual_max_num_f32 v3, v3, v3
	s_mov_b32 s10, 0
	s_delay_alu instid0(VALU_DEP_1)
	v_max_num_f32_e32 v3, v3, v4
.LBB6_13180:                            ;   in Loop: Header=BB6_12546 Depth=2
	s_and_b32 vcc_lo, exec_lo, s10
	s_cbranch_vccz .LBB6_13202
; %bb.13181:                            ;   in Loop: Header=BB6_12546 Depth=2
	v_dual_mov_b32 v4, 0 :: v_dual_mov_b32 v3, 0
	s_and_saveexec_b32 s10, s7
	s_cbranch_execz .LBB6_13191
; %bb.13182:                            ;   in Loop: Header=BB6_12546 Depth=2
	v_bfrev_b32_e32 v3, 1
	s_mov_b32 s7, exec_lo
	v_cmpx_ne_u16_e32 0xff80, v100
	s_cbranch_execz .LBB6_13190
; %bb.13183:                            ;   in Loop: Header=BB6_12546 Depth=2
	v_and_b32_e32 v3, 0x7c, v1
	v_and_b32_e32 v5, 3, v1
	s_delay_alu instid0(VALU_DEP_2) | instskip(SKIP_1) | instid1(SALU_CYCLE_1)
	v_cmp_ne_u32_e32 vcc_lo, 0x7c, v3
                                        ; implicit-def: $vgpr3
	s_and_saveexec_b32 s41, vcc_lo
	s_xor_b32 s41, exec_lo, s41
	s_cbranch_execz .LBB6_13187
; %bb.13184:                            ;   in Loop: Header=BB6_12546 Depth=2
	v_bfe_u32 v1, v1, 2, 5
	s_mov_b32 s42, exec_lo
	s_delay_alu instid0(VALU_DEP_1)
	v_cmpx_eq_u32_e32 0, v1
	s_cbranch_execz .LBB6_13186
; %bb.13185:                            ;   in Loop: Header=BB6_12546 Depth=2
	v_clz_i32_u32_e32 v1, v5
	s_delay_alu instid0(VALU_DEP_1) | instskip(SKIP_1) | instid1(VALU_DEP_2)
	v_min_u32_e32 v1, 32, v1
	v_mov_b32_e32 v101, v25
	v_subrev_nc_u32_e32 v3, 29, v1
	v_sub_nc_u32_e32 v1, 30, v1
	s_delay_alu instid0(VALU_DEP_2) | instskip(NEXT) | instid1(VALU_DEP_1)
	v_lshlrev_b64_e32 v[6:7], v3, v[100:101]
	v_and_b32_e32 v5, 3, v6
.LBB6_13186:                            ;   in Loop: Header=BB6_12546 Depth=2
	s_or_b32 exec_lo, exec_lo, s42
	v_bfe_i32 v3, v100, 0, 16
                                        ; implicit-def: $vgpr100
	s_delay_alu instid0(VALU_DEP_1) | instskip(NEXT) | instid1(VALU_DEP_1)
	v_and_b32_e32 v3, 0x80000000, v3
	v_lshl_add_u32 v1, v1, 23, v3
	s_delay_alu instid0(VALU_DEP_1) | instskip(NEXT) | instid1(VALU_DEP_1)
	v_lshl_or_b32 v1, v5, 21, v1
                                        ; implicit-def: $vgpr5
	v_add_nc_u32_e32 v3, 0x38000000, v1
.LBB6_13187:                            ;   in Loop: Header=BB6_12546 Depth=2
	s_and_not1_saveexec_b32 s41, s41
; %bb.13188:                            ;   in Loop: Header=BB6_12546 Depth=2
	v_cmp_lt_i16_e32 vcc_lo, -1, v100
	v_cndmask_b32_e32 v1, 0xff800000, v40, vcc_lo
	v_cmp_eq_u32_e32 vcc_lo, 0, v5
	s_delay_alu instid0(VALU_DEP_2)
	v_cndmask_b32_e32 v3, 0x7f800001, v1, vcc_lo
; %bb.13189:                            ;   in Loop: Header=BB6_12546 Depth=2
	s_or_b32 exec_lo, exec_lo, s41
.LBB6_13190:                            ;   in Loop: Header=BB6_12546 Depth=2
	s_delay_alu instid0(SALU_CYCLE_1)
	s_or_b32 exec_lo, exec_lo, s7
.LBB6_13191:                            ;   in Loop: Header=BB6_12546 Depth=2
	s_delay_alu instid0(SALU_CYCLE_1) | instskip(NEXT) | instid1(SALU_CYCLE_1)
	s_or_b32 exec_lo, exec_lo, s10
	s_mov_b32 s7, exec_lo
	v_cmpx_ne_u16_e32 0, v96
	s_cbranch_execz .LBB6_13201
; %bb.13192:                            ;   in Loop: Header=BB6_12546 Depth=2
	v_bfrev_b32_e32 v4, 1
	s_mov_b32 s10, exec_lo
	v_cmpx_ne_u16_e32 0xff80, v96
	s_cbranch_execz .LBB6_13200
; %bb.13193:                            ;   in Loop: Header=BB6_12546 Depth=2
	v_and_b32_e32 v4, 0x7c, v96
	v_and_b32_e32 v1, 3, v96
	s_delay_alu instid0(VALU_DEP_2) | instskip(SKIP_1) | instid1(SALU_CYCLE_1)
	v_cmp_ne_u32_e32 vcc_lo, 0x7c, v4
                                        ; implicit-def: $vgpr4
	s_and_saveexec_b32 s41, vcc_lo
	s_xor_b32 s41, exec_lo, s41
	s_cbranch_execz .LBB6_13197
; %bb.13194:                            ;   in Loop: Header=BB6_12546 Depth=2
	v_and_b32_e32 v4, 0xff, v96
	s_mov_b32 s42, exec_lo
	s_delay_alu instid0(VALU_DEP_1) | instskip(NEXT) | instid1(VALU_DEP_1)
	v_bfe_u32 v4, v4, 2, 5
	v_cmpx_eq_u32_e32 0, v4
; %bb.13195:                            ;   in Loop: Header=BB6_12546 Depth=2
	v_clz_i32_u32_e32 v1, v1
	s_delay_alu instid0(VALU_DEP_1) | instskip(SKIP_1) | instid1(VALU_DEP_2)
	v_min_u32_e32 v1, 32, v1
	v_mov_b32_e32 v97, v25
	v_subrev_nc_u32_e32 v4, 29, v1
	s_delay_alu instid0(VALU_DEP_1) | instskip(NEXT) | instid1(VALU_DEP_1)
	v_lshlrev_b64_e32 v[6:7], v4, v[96:97]
	v_dual_sub_nc_u32 v4, 30, v1 :: v_dual_bitop2_b32 v1, 3, v6 bitop3:0x40
; %bb.13196:                            ;   in Loop: Header=BB6_12546 Depth=2
	s_or_b32 exec_lo, exec_lo, s42
	v_bfe_i32 v5, v96, 0, 16
                                        ; implicit-def: $vgpr96
	s_delay_alu instid0(VALU_DEP_1) | instskip(NEXT) | instid1(VALU_DEP_1)
	v_and_b32_e32 v5, 0x80000000, v5
	v_lshl_add_u32 v4, v4, 23, v5
	s_delay_alu instid0(VALU_DEP_1) | instskip(NEXT) | instid1(VALU_DEP_1)
	v_lshl_or_b32 v1, v1, 21, v4
	v_add_nc_u32_e32 v4, 0x38000000, v1
                                        ; implicit-def: $vgpr1
.LBB6_13197:                            ;   in Loop: Header=BB6_12546 Depth=2
	s_and_not1_saveexec_b32 s41, s41
; %bb.13198:                            ;   in Loop: Header=BB6_12546 Depth=2
	v_cmp_lt_i16_e32 vcc_lo, -1, v96
	v_cndmask_b32_e32 v4, 0xff800000, v40, vcc_lo
	v_cmp_eq_u32_e32 vcc_lo, 0, v1
	s_delay_alu instid0(VALU_DEP_2)
	v_cndmask_b32_e32 v4, 0x7f800001, v4, vcc_lo
; %bb.13199:                            ;   in Loop: Header=BB6_12546 Depth=2
	s_or_b32 exec_lo, exec_lo, s41
.LBB6_13200:                            ;   in Loop: Header=BB6_12546 Depth=2
	s_delay_alu instid0(SALU_CYCLE_1)
	s_or_b32 exec_lo, exec_lo, s10
.LBB6_13201:                            ;   in Loop: Header=BB6_12546 Depth=2
	s_delay_alu instid0(SALU_CYCLE_1) | instskip(NEXT) | instid1(VALU_DEP_1)
	s_or_b32 exec_lo, exec_lo, s7
	v_dual_max_num_f32 v1, v4, v4 :: v_dual_max_num_f32 v3, v3, v3
	s_delay_alu instid0(VALU_DEP_1)
	v_min_num_f32_e32 v3, v3, v1
.LBB6_13202:                            ;   in Loop: Header=BB6_12546 Depth=2
	s_delay_alu instid0(VALU_DEP_1) | instskip(SKIP_2) | instid1(VALU_DEP_2)
	v_and_b32_e32 v4, 0x7f800000, v3
	v_mov_b32_e32 v5, v25
	v_and_b32_e32 v24, 0x7fffff, v3
                                        ; implicit-def: $vgpr6
	v_cmp_ne_u64_e32 vcc_lo, 0x7f800000, v[4:5]
	s_mov_b32 s7, exec_lo
	s_clause 0x2
	scratch_load_b64 v[32:33], off, s33 offset:252
	scratch_load_b64 v[48:49], off, s33 offset:244
	;; [unrolled: 1-line block ×3, first 2 shown]
	v_mov_b32_e32 v100, v42
	scratch_load_b64 v[42:43], off, s33 offset:260 ; 8-byte Folded Reload
	s_and_b32 s41, s7, vcc_lo
	s_delay_alu instid0(SALU_CYCLE_1)
	s_xor_b32 s10, s41, s7
	s_wait_xcnt 0x0
	s_mov_b32 exec_lo, s41
	s_cbranch_execz .LBB6_13220
; %bb.13203:                            ;   in Loop: Header=BB6_12546 Depth=2
	v_dual_mov_b32 v5, v25 :: v_dual_lshrrev_b32 v1, 24, v3
	v_and_b32_e32 v4, 0x7fffffff, v3
                                        ; implicit-def: $vgpr6
	s_mov_b32 s7, exec_lo
	s_delay_alu instid0(VALU_DEP_2) | instskip(NEXT) | instid1(VALU_DEP_2)
	v_and_b32_e32 v1, 0x80, v1
	v_cmpx_gt_u64_e32 0x47600001, v[4:5]
	s_xor_b32 s41, exec_lo, s7
	s_cbranch_execz .LBB6_13217
; %bb.13204:                            ;   in Loop: Header=BB6_12546 Depth=2
	v_mov_b32_e32 v6, 0
	s_mov_b32 s42, exec_lo
	v_cmpx_ne_u32_e32 0, v3
	s_cbranch_execz .LBB6_13216
; %bb.13205:                            ;   in Loop: Header=BB6_12546 Depth=2
	v_bfe_u32 v3, v3, 23, 8
	v_or_b32_e32 v6, 0x800000, v24
	s_delay_alu instid0(VALU_DEP_2) | instskip(SKIP_1) | instid1(VALU_DEP_2)
	v_sub_nc_u32_e32 v4, 0x71, v3
	v_cmp_gt_u32_e32 vcc_lo, 0x72, v3
	v_cndmask_b32_e32 v4, 0, v4, vcc_lo
	v_cmp_eq_u32_e32 vcc_lo, 0, v3
	s_delay_alu instid0(VALU_DEP_2) | instskip(NEXT) | instid1(VALU_DEP_1)
	v_cndmask_b32_e64 v23, v4, 0x70, vcc_lo
	v_dual_cndmask_b32 v24, v6, v24, vcc_lo :: v_dual_add_nc_u32 v4, 21, v23
	v_add_nc_u32_e32 v7, 20, v23
	s_delay_alu instid0(VALU_DEP_2) | instskip(NEXT) | instid1(VALU_DEP_2)
	v_lshlrev_b64_e64 v[4:5], v4, -1
	v_lshlrev_b64_e64 v[6:7], v7, 1
	s_delay_alu instid0(VALU_DEP_2) | instskip(NEXT) | instid1(VALU_DEP_3)
	v_bfi_b32 v29, v5, 0, 0
	v_bfi_b32 v28, v4, 0, v24
	v_lshrrev_b64 v[4:5], v23, v[24:25]
	s_delay_alu instid0(VALU_DEP_2) | instskip(NEXT) | instid1(VALU_DEP_2)
	v_cmp_eq_u64_e64 s7, v[28:29], v[6:7]
	v_mov_b64_e32 v[6:7], v[4:5]
	s_and_saveexec_b32 s43, s7
; %bb.13206:                            ;   in Loop: Header=BB6_12546 Depth=2
	v_bfe_u32 v24, v4, 21, 1
	s_delay_alu instid0(VALU_DEP_1) | instskip(NEXT) | instid1(VALU_DEP_1)
	v_add_nc_u64_e32 v[6:7], v[4:5], v[24:25]
	v_add_nc_u64_e32 v[6:7], -1, v[6:7]
; %bb.13207:                            ;   in Loop: Header=BB6_12546 Depth=2
	s_or_b32 exec_lo, exec_lo, s43
	v_add_nc_u32_e32 v3, 0xffffff81, v3
	v_lshrrev_b32_e32 v5, 23, v4
	s_mov_b32 s7, exec_lo
	s_delay_alu instid0(VALU_DEP_2) | instskip(NEXT) | instid1(VALU_DEP_1)
	v_cndmask_b32_e64 v3, v3, 0xffffff82, vcc_lo
	v_add3_u32 v7, v23, v3, v5
	v_and_b32_e32 v3, 0x1fffff, v6
	s_delay_alu instid0(VALU_DEP_1) | instskip(NEXT) | instid1(VALU_DEP_1)
	v_dual_add_nc_u32 v6, 14, v7 :: v_dual_add_nc_u32 v24, v3, v4
                                        ; implicit-def: $vgpr4_vgpr5
                                        ; implicit-def: $vgpr3
	v_cmpx_ne_u32_e32 0, v6
	s_xor_b32 s7, exec_lo, s7
; %bb.13208:                            ;   in Loop: Header=BB6_12546 Depth=2
	s_delay_alu instid0(VALU_DEP_2) | instskip(SKIP_2) | instid1(VALU_DEP_2)
	v_cmp_lt_u64_e32 vcc_lo, 0xffffff, v[24:25]
	v_add_nc_u32_e32 v3, 15, v7
	v_cndmask_b32_e64 v4, 0, 1, vcc_lo
	v_cndmask_b32_e32 v3, v6, v3, vcc_lo
	s_delay_alu instid0(VALU_DEP_2)
	v_lshrrev_b64 v[4:5], v4, v[24:25]
; %bb.13209:                            ;   in Loop: Header=BB6_12546 Depth=2
	s_and_not1_saveexec_b32 s7, s7
; %bb.13210:                            ;   in Loop: Header=BB6_12546 Depth=2
	v_mov_b64_e32 v[4:5], v[24:25]
	v_bfe_u32 v3, v24, 23, 1
; %bb.13211:                            ;   in Loop: Header=BB6_12546 Depth=2
	s_or_b32 exec_lo, exec_lo, s7
	s_delay_alu instid0(VALU_DEP_2) | instskip(NEXT) | instid1(VALU_DEP_2)
	v_lshrrev_b64 v[4:5], 21, v[4:5]
	v_cmp_gt_i32_e32 vcc_lo, 32, v3
	v_cmp_ne_u32_e64 s7, 0, v3
                                        ; implicit-def: $vgpr6
	s_delay_alu instid0(VALU_DEP_3) | instskip(NEXT) | instid1(VALU_DEP_1)
	v_dual_cndmask_b32 v5, 0, v5 :: v_dual_cndmask_b32 v4, 3, v4
	v_cmp_ne_u64_e32 vcc_lo, 0, v[4:5]
	s_or_b32 s7, s7, vcc_lo
	s_delay_alu instid0(SALU_CYCLE_1) | instskip(NEXT) | instid1(SALU_CYCLE_1)
	s_and_saveexec_b32 s43, s7
	s_xor_b32 s7, exec_lo, s43
; %bb.13212:                            ;   in Loop: Header=BB6_12546 Depth=2
	v_min_i32_e32 v3, 31, v3
	s_delay_alu instid0(VALU_DEP_1) | instskip(NEXT) | instid1(VALU_DEP_1)
	v_lshl_or_b32 v1, v3, 2, v1
	v_and_or_b32 v6, v4, 3, v1
                                        ; implicit-def: $vgpr1
; %bb.13213:                            ;   in Loop: Header=BB6_12546 Depth=2
	s_and_not1_saveexec_b32 s7, s7
; %bb.13214:                            ;   in Loop: Header=BB6_12546 Depth=2
	v_mov_b32_e32 v6, v1
; %bb.13215:                            ;   in Loop: Header=BB6_12546 Depth=2
	s_or_b32 exec_lo, exec_lo, s7
.LBB6_13216:                            ;   in Loop: Header=BB6_12546 Depth=2
	s_delay_alu instid0(SALU_CYCLE_1)
	s_or_b32 exec_lo, exec_lo, s42
                                        ; implicit-def: $vgpr1
.LBB6_13217:                            ;   in Loop: Header=BB6_12546 Depth=2
	s_and_not1_saveexec_b32 s7, s41
; %bb.13218:                            ;   in Loop: Header=BB6_12546 Depth=2
	v_or_b32_e32 v6, 0x7b, v1
; %bb.13219:                            ;   in Loop: Header=BB6_12546 Depth=2
	s_or_b32 exec_lo, exec_lo, s7
                                        ; implicit-def: $vgpr3
.LBB6_13220:                            ;   in Loop: Header=BB6_12546 Depth=2
	s_and_not1_saveexec_b32 s7, s10
	s_cbranch_execz .LBB6_13226
; %bb.13221:                            ;   in Loop: Header=BB6_12546 Depth=2
	s_mov_b32 s10, exec_lo
                                        ; implicit-def: $vgpr6
	v_cmpx_ne_u64_e32 0, v[24:25]
	s_xor_b32 s10, exec_lo, s10
; %bb.13222:                            ;   in Loop: Header=BB6_12546 Depth=2
	v_lshrrev_b32_e32 v1, 24, v3
                                        ; implicit-def: $vgpr3
	s_delay_alu instid0(VALU_DEP_1)
	v_or_b32_e32 v6, 0x7f, v1
; %bb.13223:                            ;   in Loop: Header=BB6_12546 Depth=2
	s_and_not1_saveexec_b32 s10, s10
; %bb.13224:                            ;   in Loop: Header=BB6_12546 Depth=2
	v_cmp_lt_i32_e32 vcc_lo, -1, v3
	v_cndmask_b32_e64 v6, -4, 0x7c, vcc_lo
; %bb.13225:                            ;   in Loop: Header=BB6_12546 Depth=2
	s_or_b32 exec_lo, exec_lo, s10
.LBB6_13226:                            ;   in Loop: Header=BB6_12546 Depth=2
	s_delay_alu instid0(SALU_CYCLE_1)
	s_or_b32 exec_lo, exec_lo, s7
	v_and_b32_e32 v3, 0xff, v124
	v_cmp_ne_u16_e64 s7, 0, v124
	s_and_not1_b32 vcc_lo, exec_lo, s14
	s_mov_b32 s10, -1
                                        ; implicit-def: $vgpr1
	s_cbranch_vccnz .LBB6_13248
; %bb.13227:                            ;   in Loop: Header=BB6_12546 Depth=2
	v_dual_mov_b32 v1, 0 :: v_dual_mov_b32 v4, 0
	s_and_saveexec_b32 s10, s7
	s_cbranch_execz .LBB6_13237
; %bb.13228:                            ;   in Loop: Header=BB6_12546 Depth=2
	v_bfrev_b32_e32 v4, 1
	s_mov_b32 s41, exec_lo
	v_cmpx_ne_u16_e32 0xff80, v124
	s_cbranch_execz .LBB6_13236
; %bb.13229:                            ;   in Loop: Header=BB6_12546 Depth=2
	v_and_b32_e32 v4, 0x7c, v3
	v_and_b32_e32 v5, 3, v3
	s_delay_alu instid0(VALU_DEP_2) | instskip(SKIP_1) | instid1(SALU_CYCLE_1)
	v_cmp_ne_u32_e32 vcc_lo, 0x7c, v4
                                        ; implicit-def: $vgpr4
	s_and_saveexec_b32 s42, vcc_lo
	s_xor_b32 s42, exec_lo, s42
	s_cbranch_execz .LBB6_13233
; %bb.13230:                            ;   in Loop: Header=BB6_12546 Depth=2
	v_bfe_u32 v4, v3, 2, 5
	s_mov_b32 s43, exec_lo
	s_delay_alu instid0(VALU_DEP_1)
	v_cmpx_eq_u32_e32 0, v4
	s_cbranch_execz .LBB6_13232
; %bb.13231:                            ;   in Loop: Header=BB6_12546 Depth=2
	v_clz_i32_u32_e32 v4, v5
	s_delay_alu instid0(VALU_DEP_1) | instskip(SKIP_1) | instid1(VALU_DEP_2)
	v_min_u32_e32 v4, 32, v4
	v_mov_b32_e32 v125, v25
	v_subrev_nc_u32_e32 v5, 29, v4
	v_sub_nc_u32_e32 v4, 30, v4
	s_delay_alu instid0(VALU_DEP_2) | instskip(NEXT) | instid1(VALU_DEP_1)
	v_lshlrev_b64_e32 v[28:29], v5, v[124:125]
	v_and_b32_e32 v5, 3, v28
.LBB6_13232:                            ;   in Loop: Header=BB6_12546 Depth=2
	s_or_b32 exec_lo, exec_lo, s43
	v_bfe_i32 v7, v124, 0, 16
	s_delay_alu instid0(VALU_DEP_1) | instskip(NEXT) | instid1(VALU_DEP_1)
	v_and_b32_e32 v7, 0x80000000, v7
	v_lshl_add_u32 v4, v4, 23, v7
	s_delay_alu instid0(VALU_DEP_1) | instskip(NEXT) | instid1(VALU_DEP_1)
	v_lshl_or_b32 v4, v5, 21, v4
                                        ; implicit-def: $vgpr5
	v_add_nc_u32_e32 v4, 0x38000000, v4
.LBB6_13233:                            ;   in Loop: Header=BB6_12546 Depth=2
	s_and_not1_saveexec_b32 s42, s42
; %bb.13234:                            ;   in Loop: Header=BB6_12546 Depth=2
	v_cmp_lt_i16_e32 vcc_lo, -1, v124
	v_cndmask_b32_e32 v4, 0xff800000, v40, vcc_lo
	v_cmp_eq_u32_e32 vcc_lo, 0, v5
	s_delay_alu instid0(VALU_DEP_2)
	v_cndmask_b32_e32 v4, 0x7f800001, v4, vcc_lo
; %bb.13235:                            ;   in Loop: Header=BB6_12546 Depth=2
	s_or_b32 exec_lo, exec_lo, s42
.LBB6_13236:                            ;   in Loop: Header=BB6_12546 Depth=2
	s_delay_alu instid0(SALU_CYCLE_1)
	s_or_b32 exec_lo, exec_lo, s41
.LBB6_13237:                            ;   in Loop: Header=BB6_12546 Depth=2
	s_delay_alu instid0(SALU_CYCLE_1) | instskip(NEXT) | instid1(SALU_CYCLE_1)
	s_or_b32 exec_lo, exec_lo, s10
	s_mov_b32 s10, exec_lo
	v_cmpx_ne_u16_e32 0, v0
	s_cbranch_execz .LBB6_13247
; %bb.13238:                            ;   in Loop: Header=BB6_12546 Depth=2
	v_bfrev_b32_e32 v1, 1
	s_mov_b32 s41, exec_lo
	v_cmpx_ne_u16_e32 0xff80, v0
	s_cbranch_execz .LBB6_13246
; %bb.13239:                            ;   in Loop: Header=BB6_12546 Depth=2
	v_and_b32_e32 v1, 0x7c, v0
	v_and_b32_e32 v5, 3, v0
	s_delay_alu instid0(VALU_DEP_2) | instskip(SKIP_1) | instid1(SALU_CYCLE_1)
	v_cmp_ne_u32_e32 vcc_lo, 0x7c, v1
                                        ; implicit-def: $vgpr1
	s_and_saveexec_b32 s42, vcc_lo
	s_xor_b32 s42, exec_lo, s42
	s_cbranch_execz .LBB6_13243
; %bb.13240:                            ;   in Loop: Header=BB6_12546 Depth=2
	v_and_b32_e32 v1, 0xff, v0
	s_mov_b32 s43, exec_lo
	s_delay_alu instid0(VALU_DEP_1) | instskip(NEXT) | instid1(VALU_DEP_1)
	v_bfe_u32 v1, v1, 2, 5
	v_cmpx_eq_u32_e32 0, v1
; %bb.13241:                            ;   in Loop: Header=BB6_12546 Depth=2
	v_clz_i32_u32_e32 v1, v5
	s_delay_alu instid0(VALU_DEP_1) | instskip(SKIP_1) | instid1(VALU_DEP_2)
	v_min_u32_e32 v5, 32, v1
	v_mov_b32_e32 v1, v25
	v_subrev_nc_u32_e32 v7, 29, v5
	s_delay_alu instid0(VALU_DEP_1) | instskip(NEXT) | instid1(VALU_DEP_1)
	v_lshlrev_b64_e32 v[28:29], v7, v[0:1]
	v_dual_sub_nc_u32 v1, 30, v5 :: v_dual_bitop2_b32 v5, 3, v28 bitop3:0x40
; %bb.13242:                            ;   in Loop: Header=BB6_12546 Depth=2
	s_or_b32 exec_lo, exec_lo, s43
	v_bfe_i32 v7, v0, 0, 16
	s_delay_alu instid0(VALU_DEP_1) | instskip(NEXT) | instid1(VALU_DEP_1)
	v_and_b32_e32 v7, 0x80000000, v7
	v_lshl_add_u32 v1, v1, 23, v7
	s_delay_alu instid0(VALU_DEP_1) | instskip(NEXT) | instid1(VALU_DEP_1)
	v_lshl_or_b32 v1, v5, 21, v1
                                        ; implicit-def: $vgpr5
	v_add_nc_u32_e32 v1, 0x38000000, v1
.LBB6_13243:                            ;   in Loop: Header=BB6_12546 Depth=2
	s_and_not1_saveexec_b32 s42, s42
; %bb.13244:                            ;   in Loop: Header=BB6_12546 Depth=2
	v_cmp_lt_i16_e32 vcc_lo, -1, v0
	v_cndmask_b32_e32 v1, 0xff800000, v40, vcc_lo
	v_cmp_eq_u32_e32 vcc_lo, 0, v5
	s_delay_alu instid0(VALU_DEP_2)
	v_cndmask_b32_e32 v1, 0x7f800001, v1, vcc_lo
; %bb.13245:                            ;   in Loop: Header=BB6_12546 Depth=2
	s_or_b32 exec_lo, exec_lo, s42
.LBB6_13246:                            ;   in Loop: Header=BB6_12546 Depth=2
	s_delay_alu instid0(SALU_CYCLE_1)
	s_or_b32 exec_lo, exec_lo, s41
.LBB6_13247:                            ;   in Loop: Header=BB6_12546 Depth=2
	s_delay_alu instid0(SALU_CYCLE_1) | instskip(NEXT) | instid1(VALU_DEP_1)
	s_or_b32 exec_lo, exec_lo, s10
	v_dual_max_num_f32 v1, v1, v1 :: v_dual_max_num_f32 v4, v4, v4
	s_mov_b32 s10, 0
	s_delay_alu instid0(VALU_DEP_1)
	v_max_num_f32_e32 v1, v4, v1
.LBB6_13248:                            ;   in Loop: Header=BB6_12546 Depth=2
	s_and_b32 vcc_lo, exec_lo, s10
	s_cbranch_vccz .LBB6_13270
; %bb.13249:                            ;   in Loop: Header=BB6_12546 Depth=2
	v_dual_mov_b32 v1, 0 :: v_dual_mov_b32 v4, 0
	s_and_saveexec_b32 s10, s7
	s_cbranch_execz .LBB6_13259
; %bb.13250:                            ;   in Loop: Header=BB6_12546 Depth=2
	v_bfrev_b32_e32 v4, 1
	s_mov_b32 s7, exec_lo
	v_cmpx_ne_u16_e32 0xff80, v124
	s_cbranch_execz .LBB6_13258
; %bb.13251:                            ;   in Loop: Header=BB6_12546 Depth=2
	v_and_b32_e32 v4, 0x7c, v3
	v_and_b32_e32 v5, 3, v3
	s_delay_alu instid0(VALU_DEP_2) | instskip(SKIP_1) | instid1(SALU_CYCLE_1)
	v_cmp_ne_u32_e32 vcc_lo, 0x7c, v4
                                        ; implicit-def: $vgpr4
	s_and_saveexec_b32 s41, vcc_lo
	s_xor_b32 s41, exec_lo, s41
	s_cbranch_execz .LBB6_13255
; %bb.13252:                            ;   in Loop: Header=BB6_12546 Depth=2
	v_bfe_u32 v3, v3, 2, 5
	s_mov_b32 s42, exec_lo
	s_delay_alu instid0(VALU_DEP_1)
	v_cmpx_eq_u32_e32 0, v3
	s_cbranch_execz .LBB6_13254
; %bb.13253:                            ;   in Loop: Header=BB6_12546 Depth=2
	v_clz_i32_u32_e32 v3, v5
	s_delay_alu instid0(VALU_DEP_1) | instskip(SKIP_1) | instid1(VALU_DEP_2)
	v_min_u32_e32 v3, 32, v3
	v_mov_b32_e32 v125, v25
	v_subrev_nc_u32_e32 v4, 29, v3
	v_sub_nc_u32_e32 v3, 30, v3
	s_delay_alu instid0(VALU_DEP_2) | instskip(NEXT) | instid1(VALU_DEP_1)
	v_lshlrev_b64_e32 v[4:5], v4, v[124:125]
	v_and_b32_e32 v5, 3, v4
.LBB6_13254:                            ;   in Loop: Header=BB6_12546 Depth=2
	s_or_b32 exec_lo, exec_lo, s42
	v_bfe_i32 v4, v124, 0, 16
                                        ; implicit-def: $vgpr124
	s_delay_alu instid0(VALU_DEP_1) | instskip(NEXT) | instid1(VALU_DEP_1)
	v_and_b32_e32 v4, 0x80000000, v4
	v_lshl_add_u32 v3, v3, 23, v4
	s_delay_alu instid0(VALU_DEP_1) | instskip(NEXT) | instid1(VALU_DEP_1)
	v_lshl_or_b32 v3, v5, 21, v3
                                        ; implicit-def: $vgpr5
	v_add_nc_u32_e32 v4, 0x38000000, v3
.LBB6_13255:                            ;   in Loop: Header=BB6_12546 Depth=2
	s_and_not1_saveexec_b32 s41, s41
; %bb.13256:                            ;   in Loop: Header=BB6_12546 Depth=2
	v_cmp_lt_i16_e32 vcc_lo, -1, v124
	v_cndmask_b32_e32 v3, 0xff800000, v40, vcc_lo
	v_cmp_eq_u32_e32 vcc_lo, 0, v5
	s_delay_alu instid0(VALU_DEP_2)
	v_cndmask_b32_e32 v4, 0x7f800001, v3, vcc_lo
; %bb.13257:                            ;   in Loop: Header=BB6_12546 Depth=2
	s_or_b32 exec_lo, exec_lo, s41
.LBB6_13258:                            ;   in Loop: Header=BB6_12546 Depth=2
	s_delay_alu instid0(SALU_CYCLE_1)
	s_or_b32 exec_lo, exec_lo, s7
.LBB6_13259:                            ;   in Loop: Header=BB6_12546 Depth=2
	s_delay_alu instid0(SALU_CYCLE_1) | instskip(NEXT) | instid1(SALU_CYCLE_1)
	s_or_b32 exec_lo, exec_lo, s10
	s_mov_b32 s7, exec_lo
	v_cmpx_ne_u16_e32 0, v0
	s_cbranch_execz .LBB6_13269
; %bb.13260:                            ;   in Loop: Header=BB6_12546 Depth=2
	v_bfrev_b32_e32 v1, 1
	s_mov_b32 s10, exec_lo
	v_cmpx_ne_u16_e32 0xff80, v0
	s_cbranch_execz .LBB6_13268
; %bb.13261:                            ;   in Loop: Header=BB6_12546 Depth=2
	v_and_b32_e32 v1, 0x7c, v0
	v_and_b32_e32 v3, 3, v0
	s_delay_alu instid0(VALU_DEP_2) | instskip(SKIP_1) | instid1(SALU_CYCLE_1)
	v_cmp_ne_u32_e32 vcc_lo, 0x7c, v1
                                        ; implicit-def: $vgpr1
	s_and_saveexec_b32 s41, vcc_lo
	s_xor_b32 s41, exec_lo, s41
	s_cbranch_execz .LBB6_13265
; %bb.13262:                            ;   in Loop: Header=BB6_12546 Depth=2
	v_and_b32_e32 v1, 0xff, v0
	s_mov_b32 s42, exec_lo
	s_delay_alu instid0(VALU_DEP_1) | instskip(NEXT) | instid1(VALU_DEP_1)
	v_bfe_u32 v1, v1, 2, 5
	v_cmpx_eq_u32_e32 0, v1
; %bb.13263:                            ;   in Loop: Header=BB6_12546 Depth=2
	v_clz_i32_u32_e32 v1, v3
	s_delay_alu instid0(VALU_DEP_1) | instskip(SKIP_1) | instid1(VALU_DEP_2)
	v_min_u32_e32 v3, 32, v1
	v_mov_b32_e32 v1, v25
	v_subrev_nc_u32_e32 v5, 29, v3
	s_delay_alu instid0(VALU_DEP_1) | instskip(NEXT) | instid1(VALU_DEP_1)
	v_lshlrev_b64_e32 v[28:29], v5, v[0:1]
	v_dual_sub_nc_u32 v1, 30, v3 :: v_dual_bitop2_b32 v3, 3, v28 bitop3:0x40
; %bb.13264:                            ;   in Loop: Header=BB6_12546 Depth=2
	s_or_b32 exec_lo, exec_lo, s42
	v_bfe_i32 v0, v0, 0, 16
	s_delay_alu instid0(VALU_DEP_1) | instskip(NEXT) | instid1(VALU_DEP_1)
	v_and_b32_e32 v0, 0x80000000, v0
	v_lshl_add_u32 v0, v1, 23, v0
	s_delay_alu instid0(VALU_DEP_1) | instskip(NEXT) | instid1(VALU_DEP_1)
	v_lshl_or_b32 v0, v3, 21, v0
                                        ; implicit-def: $vgpr3
	v_add_nc_u32_e32 v1, 0x38000000, v0
                                        ; implicit-def: $vgpr0
.LBB6_13265:                            ;   in Loop: Header=BB6_12546 Depth=2
	s_and_not1_saveexec_b32 s41, s41
; %bb.13266:                            ;   in Loop: Header=BB6_12546 Depth=2
	v_cmp_lt_i16_e32 vcc_lo, -1, v0
	v_cndmask_b32_e32 v0, 0xff800000, v40, vcc_lo
	v_cmp_eq_u32_e32 vcc_lo, 0, v3
	s_delay_alu instid0(VALU_DEP_2)
	v_cndmask_b32_e32 v1, 0x7f800001, v0, vcc_lo
; %bb.13267:                            ;   in Loop: Header=BB6_12546 Depth=2
	s_or_b32 exec_lo, exec_lo, s41
.LBB6_13268:                            ;   in Loop: Header=BB6_12546 Depth=2
	s_delay_alu instid0(SALU_CYCLE_1)
	s_or_b32 exec_lo, exec_lo, s10
.LBB6_13269:                            ;   in Loop: Header=BB6_12546 Depth=2
	s_delay_alu instid0(SALU_CYCLE_1) | instskip(NEXT) | instid1(VALU_DEP_1)
	s_or_b32 exec_lo, exec_lo, s7
	v_dual_max_num_f32 v0, v1, v1 :: v_dual_max_num_f32 v1, v4, v4
	s_delay_alu instid0(VALU_DEP_1)
	v_min_num_f32_e32 v1, v1, v0
.LBB6_13270:                            ;   in Loop: Header=BB6_12546 Depth=2
	s_delay_alu instid0(VALU_DEP_1) | instskip(SKIP_3) | instid1(VALU_DEP_2)
	v_and_b32_e32 v4, 0x7f800000, v1
	v_mov_b32_e32 v5, v25
	v_and_b32_e32 v24, 0x7fffff, v1
                                        ; implicit-def: $vgpr7
	s_mov_b32 s7, exec_lo
	v_cmpx_ne_u64_e32 0x7f800000, v[4:5]
	s_xor_b32 s10, exec_lo, s7
	s_cbranch_execz .LBB6_13288
; %bb.13271:                            ;   in Loop: Header=BB6_12546 Depth=2
	v_dual_mov_b32 v5, v25 :: v_dual_lshrrev_b32 v0, 24, v1
	v_and_b32_e32 v4, 0x7fffffff, v1
                                        ; implicit-def: $vgpr7
	s_mov_b32 s7, exec_lo
	s_delay_alu instid0(VALU_DEP_2) | instskip(NEXT) | instid1(VALU_DEP_2)
	v_and_b32_e32 v3, 0x80, v0
	v_cmpx_gt_u64_e32 0x47600001, v[4:5]
	s_xor_b32 s41, exec_lo, s7
	s_cbranch_execz .LBB6_13285
; %bb.13272:                            ;   in Loop: Header=BB6_12546 Depth=2
	v_mov_b32_e32 v7, 0
	s_mov_b32 s42, exec_lo
	v_cmpx_ne_u32_e32 0, v1
	s_cbranch_execz .LBB6_13284
; %bb.13273:                            ;   in Loop: Header=BB6_12546 Depth=2
	v_bfe_u32 v7, v1, 23, 8
	v_or_b32_e32 v4, 0x800000, v24
	s_delay_alu instid0(VALU_DEP_2) | instskip(SKIP_1) | instid1(VALU_DEP_2)
	v_sub_nc_u32_e32 v0, 0x71, v7
	v_cmp_gt_u32_e32 vcc_lo, 0x72, v7
	v_cndmask_b32_e32 v0, 0, v0, vcc_lo
	v_cmp_eq_u32_e32 vcc_lo, 0, v7
	s_delay_alu instid0(VALU_DEP_2) | instskip(NEXT) | instid1(VALU_DEP_1)
	v_cndmask_b32_e64 v23, v0, 0x70, vcc_lo
	v_dual_cndmask_b32 v24, v4, v24, vcc_lo :: v_dual_add_nc_u32 v0, 21, v23
	v_add_nc_u32_e32 v5, 20, v23
	s_delay_alu instid0(VALU_DEP_2) | instskip(NEXT) | instid1(VALU_DEP_2)
	v_lshlrev_b64_e64 v[0:1], v0, -1
	v_lshlrev_b64_e64 v[4:5], v5, 1
	s_delay_alu instid0(VALU_DEP_2) | instskip(NEXT) | instid1(VALU_DEP_3)
	v_bfi_b32 v29, v1, 0, 0
	v_bfi_b32 v28, v0, 0, v24
	v_lshrrev_b64 v[0:1], v23, v[24:25]
	s_delay_alu instid0(VALU_DEP_2) | instskip(NEXT) | instid1(VALU_DEP_2)
	v_cmp_eq_u64_e64 s7, v[28:29], v[4:5]
	v_mov_b64_e32 v[4:5], v[0:1]
	s_and_saveexec_b32 s43, s7
; %bb.13274:                            ;   in Loop: Header=BB6_12546 Depth=2
	v_bfe_u32 v24, v0, 21, 1
	s_delay_alu instid0(VALU_DEP_1) | instskip(NEXT) | instid1(VALU_DEP_1)
	v_add_nc_u64_e32 v[4:5], v[0:1], v[24:25]
	v_add_nc_u64_e32 v[4:5], -1, v[4:5]
; %bb.13275:                            ;   in Loop: Header=BB6_12546 Depth=2
	s_or_b32 exec_lo, exec_lo, s43
	v_add_nc_u32_e32 v1, 0xffffff81, v7
	v_lshrrev_b32_e32 v5, 23, v0
	s_mov_b32 s7, exec_lo
	s_delay_alu instid0(VALU_DEP_2) | instskip(NEXT) | instid1(VALU_DEP_1)
	v_cndmask_b32_e64 v1, v1, 0xffffff82, vcc_lo
	v_add3_u32 v5, v23, v1, v5
	v_and_b32_e32 v1, 0x1fffff, v4
                                        ; implicit-def: $vgpr4
	s_delay_alu instid0(VALU_DEP_1) | instskip(NEXT) | instid1(VALU_DEP_1)
	v_dual_add_nc_u32 v7, 14, v5 :: v_dual_add_nc_u32 v24, v1, v0
                                        ; implicit-def: $vgpr0_vgpr1
	v_cmpx_ne_u32_e32 0, v7
	s_xor_b32 s7, exec_lo, s7
; %bb.13276:                            ;   in Loop: Header=BB6_12546 Depth=2
	s_delay_alu instid0(VALU_DEP_2) | instskip(SKIP_1) | instid1(VALU_DEP_1)
	v_cmp_lt_u64_e32 vcc_lo, 0xffffff, v[24:25]
	v_add_nc_u32_e32 v0, 15, v5
	v_cndmask_b32_e32 v4, v7, v0, vcc_lo
	v_cndmask_b32_e64 v0, 0, 1, vcc_lo
	s_delay_alu instid0(VALU_DEP_1)
	v_lshrrev_b64 v[0:1], v0, v[24:25]
; %bb.13277:                            ;   in Loop: Header=BB6_12546 Depth=2
	s_and_not1_saveexec_b32 s7, s7
; %bb.13278:                            ;   in Loop: Header=BB6_12546 Depth=2
	v_mov_b64_e32 v[0:1], v[24:25]
	v_bfe_u32 v4, v24, 23, 1
; %bb.13279:                            ;   in Loop: Header=BB6_12546 Depth=2
	s_or_b32 exec_lo, exec_lo, s7
	s_delay_alu instid0(VALU_DEP_2) | instskip(NEXT) | instid1(VALU_DEP_2)
	v_lshrrev_b64 v[0:1], 21, v[0:1]
	v_cmp_gt_i32_e32 vcc_lo, 32, v4
	v_cmp_ne_u32_e64 s7, 0, v4
                                        ; implicit-def: $vgpr7
	s_delay_alu instid0(VALU_DEP_3) | instskip(NEXT) | instid1(VALU_DEP_1)
	v_dual_cndmask_b32 v1, 0, v1 :: v_dual_cndmask_b32 v0, 3, v0
	v_cmp_ne_u64_e32 vcc_lo, 0, v[0:1]
	s_or_b32 s7, s7, vcc_lo
	s_delay_alu instid0(SALU_CYCLE_1) | instskip(NEXT) | instid1(SALU_CYCLE_1)
	s_and_saveexec_b32 s43, s7
	s_xor_b32 s7, exec_lo, s43
; %bb.13280:                            ;   in Loop: Header=BB6_12546 Depth=2
	v_min_i32_e32 v1, 31, v4
	s_delay_alu instid0(VALU_DEP_1) | instskip(NEXT) | instid1(VALU_DEP_1)
	v_lshl_or_b32 v1, v1, 2, v3
                                        ; implicit-def: $vgpr3
	v_and_or_b32 v7, v0, 3, v1
; %bb.13281:                            ;   in Loop: Header=BB6_12546 Depth=2
	s_and_not1_saveexec_b32 s7, s7
; %bb.13282:                            ;   in Loop: Header=BB6_12546 Depth=2
	v_mov_b32_e32 v7, v3
; %bb.13283:                            ;   in Loop: Header=BB6_12546 Depth=2
	s_or_b32 exec_lo, exec_lo, s7
.LBB6_13284:                            ;   in Loop: Header=BB6_12546 Depth=2
	s_delay_alu instid0(SALU_CYCLE_1)
	s_or_b32 exec_lo, exec_lo, s42
                                        ; implicit-def: $vgpr3
.LBB6_13285:                            ;   in Loop: Header=BB6_12546 Depth=2
	s_and_not1_saveexec_b32 s7, s41
; %bb.13286:                            ;   in Loop: Header=BB6_12546 Depth=2
	v_or_b32_e32 v7, 0x7b, v3
; %bb.13287:                            ;   in Loop: Header=BB6_12546 Depth=2
	s_or_b32 exec_lo, exec_lo, s7
                                        ; implicit-def: $vgpr1
.LBB6_13288:                            ;   in Loop: Header=BB6_12546 Depth=2
	s_and_not1_saveexec_b32 s7, s10
	s_cbranch_execz .LBB6_13294
; %bb.13289:                            ;   in Loop: Header=BB6_12546 Depth=2
	s_mov_b32 s10, exec_lo
                                        ; implicit-def: $vgpr7
	v_cmpx_ne_u64_e32 0, v[24:25]
	s_xor_b32 s10, exec_lo, s10
; %bb.13290:                            ;   in Loop: Header=BB6_12546 Depth=2
	v_lshrrev_b32_e32 v0, 24, v1
                                        ; implicit-def: $vgpr1
	s_delay_alu instid0(VALU_DEP_1)
	v_or_b32_e32 v7, 0x7f, v0
; %bb.13291:                            ;   in Loop: Header=BB6_12546 Depth=2
	s_and_not1_saveexec_b32 s10, s10
; %bb.13292:                            ;   in Loop: Header=BB6_12546 Depth=2
	v_cmp_lt_i32_e32 vcc_lo, -1, v1
	v_cndmask_b32_e64 v7, -4, 0x7c, vcc_lo
; %bb.13293:                            ;   in Loop: Header=BB6_12546 Depth=2
	s_or_b32 exec_lo, exec_lo, s10
.LBB6_13294:                            ;   in Loop: Header=BB6_12546 Depth=2
	s_delay_alu instid0(SALU_CYCLE_1)
	s_or_b32 exec_lo, exec_lo, s7
	v_and_b32_e32 v0, 0xff, v68
	v_cmp_ne_u16_e64 s7, 0, v68
	s_and_not1_b32 vcc_lo, exec_lo, s14
	s_mov_b32 s10, -1
                                        ; implicit-def: $vgpr1
	s_cbranch_vccnz .LBB6_13316
; %bb.13295:                            ;   in Loop: Header=BB6_12546 Depth=2
	v_dual_mov_b32 v3, 0 :: v_dual_mov_b32 v1, 0
	s_and_saveexec_b32 s10, s7
	s_cbranch_execz .LBB6_13305
; %bb.13296:                            ;   in Loop: Header=BB6_12546 Depth=2
	v_bfrev_b32_e32 v1, 1
	s_mov_b32 s41, exec_lo
	v_cmpx_ne_u16_e32 0xff80, v68
	s_cbranch_execz .LBB6_13304
; %bb.13297:                            ;   in Loop: Header=BB6_12546 Depth=2
	v_and_b32_e32 v1, 0x7c, v0
	v_and_b32_e32 v4, 3, v0
	s_delay_alu instid0(VALU_DEP_2) | instskip(SKIP_1) | instid1(SALU_CYCLE_1)
	v_cmp_ne_u32_e32 vcc_lo, 0x7c, v1
                                        ; implicit-def: $vgpr1
	s_and_saveexec_b32 s42, vcc_lo
	s_xor_b32 s42, exec_lo, s42
	s_cbranch_execz .LBB6_13301
; %bb.13298:                            ;   in Loop: Header=BB6_12546 Depth=2
	v_bfe_u32 v1, v0, 2, 5
	s_mov_b32 s43, exec_lo
	s_delay_alu instid0(VALU_DEP_1)
	v_cmpx_eq_u32_e32 0, v1
	s_cbranch_execz .LBB6_13300
; %bb.13299:                            ;   in Loop: Header=BB6_12546 Depth=2
	v_clz_i32_u32_e32 v1, v4
	s_delay_alu instid0(VALU_DEP_1) | instskip(SKIP_1) | instid1(VALU_DEP_2)
	v_min_u32_e32 v1, 32, v1
	v_mov_b32_e32 v69, v25
	v_subrev_nc_u32_e32 v4, 29, v1
	v_sub_nc_u32_e32 v1, 30, v1
	s_delay_alu instid0(VALU_DEP_2) | instskip(NEXT) | instid1(VALU_DEP_1)
	v_lshlrev_b64_e32 v[4:5], v4, v[68:69]
	v_and_b32_e32 v4, 3, v4
.LBB6_13300:                            ;   in Loop: Header=BB6_12546 Depth=2
	s_or_b32 exec_lo, exec_lo, s43
	v_bfe_i32 v5, v68, 0, 16
	s_delay_alu instid0(VALU_DEP_1) | instskip(NEXT) | instid1(VALU_DEP_1)
	v_and_b32_e32 v5, 0x80000000, v5
	v_lshl_add_u32 v1, v1, 23, v5
	s_delay_alu instid0(VALU_DEP_1) | instskip(NEXT) | instid1(VALU_DEP_1)
	v_lshl_or_b32 v1, v4, 21, v1
                                        ; implicit-def: $vgpr4
	v_add_nc_u32_e32 v1, 0x38000000, v1
.LBB6_13301:                            ;   in Loop: Header=BB6_12546 Depth=2
	s_and_not1_saveexec_b32 s42, s42
; %bb.13302:                            ;   in Loop: Header=BB6_12546 Depth=2
	v_cmp_lt_i16_e32 vcc_lo, -1, v68
	v_cndmask_b32_e32 v1, 0xff800000, v40, vcc_lo
	v_cmp_eq_u32_e32 vcc_lo, 0, v4
	s_delay_alu instid0(VALU_DEP_2)
	v_cndmask_b32_e32 v1, 0x7f800001, v1, vcc_lo
; %bb.13303:                            ;   in Loop: Header=BB6_12546 Depth=2
	s_or_b32 exec_lo, exec_lo, s42
.LBB6_13304:                            ;   in Loop: Header=BB6_12546 Depth=2
	s_delay_alu instid0(SALU_CYCLE_1)
	s_or_b32 exec_lo, exec_lo, s41
.LBB6_13305:                            ;   in Loop: Header=BB6_12546 Depth=2
	s_delay_alu instid0(SALU_CYCLE_1) | instskip(NEXT) | instid1(SALU_CYCLE_1)
	s_or_b32 exec_lo, exec_lo, s10
	s_mov_b32 s10, exec_lo
	v_cmpx_ne_u16_e32 0, v52
	s_cbranch_execz .LBB6_13315
; %bb.13306:                            ;   in Loop: Header=BB6_12546 Depth=2
	v_bfrev_b32_e32 v3, 1
	s_mov_b32 s41, exec_lo
	v_cmpx_ne_u16_e32 0xff80, v52
	s_cbranch_execz .LBB6_13314
; %bb.13307:                            ;   in Loop: Header=BB6_12546 Depth=2
	v_and_b32_e32 v3, 0x7c, v52
	v_and_b32_e32 v4, 3, v52
	s_delay_alu instid0(VALU_DEP_2) | instskip(SKIP_1) | instid1(SALU_CYCLE_1)
	v_cmp_ne_u32_e32 vcc_lo, 0x7c, v3
                                        ; implicit-def: $vgpr3
	s_and_saveexec_b32 s42, vcc_lo
	s_xor_b32 s42, exec_lo, s42
	s_cbranch_execz .LBB6_13311
; %bb.13308:                            ;   in Loop: Header=BB6_12546 Depth=2
	v_and_b32_e32 v3, 0xff, v52
	s_mov_b32 s43, exec_lo
	s_delay_alu instid0(VALU_DEP_1) | instskip(NEXT) | instid1(VALU_DEP_1)
	v_bfe_u32 v3, v3, 2, 5
	v_cmpx_eq_u32_e32 0, v3
	s_cbranch_execz .LBB6_13310
; %bb.13309:                            ;   in Loop: Header=BB6_12546 Depth=2
	v_clz_i32_u32_e32 v3, v4
	s_delay_alu instid0(VALU_DEP_1) | instskip(SKIP_1) | instid1(VALU_DEP_2)
	v_min_u32_e32 v3, 32, v3
	v_mov_b32_e32 v53, v25
	v_subrev_nc_u32_e32 v4, 29, v3
	v_sub_nc_u32_e32 v3, 30, v3
	s_delay_alu instid0(VALU_DEP_2) | instskip(NEXT) | instid1(VALU_DEP_1)
	v_lshlrev_b64_e32 v[4:5], v4, v[52:53]
	v_and_b32_e32 v4, 3, v4
.LBB6_13310:                            ;   in Loop: Header=BB6_12546 Depth=2
	s_or_b32 exec_lo, exec_lo, s43
	v_bfe_i32 v5, v52, 0, 16
	s_delay_alu instid0(VALU_DEP_1) | instskip(NEXT) | instid1(VALU_DEP_1)
	v_and_b32_e32 v5, 0x80000000, v5
	v_lshl_add_u32 v3, v3, 23, v5
	s_delay_alu instid0(VALU_DEP_1) | instskip(NEXT) | instid1(VALU_DEP_1)
	v_lshl_or_b32 v3, v4, 21, v3
                                        ; implicit-def: $vgpr4
	v_add_nc_u32_e32 v3, 0x38000000, v3
.LBB6_13311:                            ;   in Loop: Header=BB6_12546 Depth=2
	s_and_not1_saveexec_b32 s42, s42
; %bb.13312:                            ;   in Loop: Header=BB6_12546 Depth=2
	v_cmp_lt_i16_e32 vcc_lo, -1, v52
	v_cndmask_b32_e32 v3, 0xff800000, v40, vcc_lo
	v_cmp_eq_u32_e32 vcc_lo, 0, v4
	s_delay_alu instid0(VALU_DEP_2)
	v_cndmask_b32_e32 v3, 0x7f800001, v3, vcc_lo
; %bb.13313:                            ;   in Loop: Header=BB6_12546 Depth=2
	s_or_b32 exec_lo, exec_lo, s42
.LBB6_13314:                            ;   in Loop: Header=BB6_12546 Depth=2
	s_delay_alu instid0(SALU_CYCLE_1)
	s_or_b32 exec_lo, exec_lo, s41
.LBB6_13315:                            ;   in Loop: Header=BB6_12546 Depth=2
	s_delay_alu instid0(SALU_CYCLE_1) | instskip(NEXT) | instid1(VALU_DEP_1)
	s_or_b32 exec_lo, exec_lo, s10
	v_dual_max_num_f32 v3, v3, v3 :: v_dual_max_num_f32 v1, v1, v1
	s_mov_b32 s10, 0
	s_delay_alu instid0(VALU_DEP_1)
	v_max_num_f32_e32 v1, v1, v3
.LBB6_13316:                            ;   in Loop: Header=BB6_12546 Depth=2
	s_and_b32 vcc_lo, exec_lo, s10
	s_cbranch_vccz .LBB6_13338
; %bb.13317:                            ;   in Loop: Header=BB6_12546 Depth=2
	v_dual_mov_b32 v3, 0 :: v_dual_mov_b32 v1, 0
	s_and_saveexec_b32 s10, s7
	s_cbranch_execz .LBB6_13327
; %bb.13318:                            ;   in Loop: Header=BB6_12546 Depth=2
	v_bfrev_b32_e32 v1, 1
	s_mov_b32 s7, exec_lo
	v_cmpx_ne_u16_e32 0xff80, v68
	s_cbranch_execz .LBB6_13326
; %bb.13319:                            ;   in Loop: Header=BB6_12546 Depth=2
	v_and_b32_e32 v1, 0x7c, v0
	v_and_b32_e32 v4, 3, v0
	s_delay_alu instid0(VALU_DEP_2) | instskip(SKIP_1) | instid1(SALU_CYCLE_1)
	v_cmp_ne_u32_e32 vcc_lo, 0x7c, v1
                                        ; implicit-def: $vgpr1
	s_and_saveexec_b32 s41, vcc_lo
	s_xor_b32 s41, exec_lo, s41
	s_cbranch_execz .LBB6_13323
; %bb.13320:                            ;   in Loop: Header=BB6_12546 Depth=2
	v_bfe_u32 v0, v0, 2, 5
	s_mov_b32 s42, exec_lo
	s_delay_alu instid0(VALU_DEP_1)
	v_cmpx_eq_u32_e32 0, v0
	s_cbranch_execz .LBB6_13322
; %bb.13321:                            ;   in Loop: Header=BB6_12546 Depth=2
	v_clz_i32_u32_e32 v0, v4
	s_delay_alu instid0(VALU_DEP_1) | instskip(SKIP_1) | instid1(VALU_DEP_2)
	v_min_u32_e32 v0, 32, v0
	v_mov_b32_e32 v69, v25
	v_subrev_nc_u32_e32 v1, 29, v0
	v_sub_nc_u32_e32 v0, 30, v0
	s_delay_alu instid0(VALU_DEP_2) | instskip(NEXT) | instid1(VALU_DEP_1)
	v_lshlrev_b64_e32 v[4:5], v1, v[68:69]
	v_and_b32_e32 v4, 3, v4
.LBB6_13322:                            ;   in Loop: Header=BB6_12546 Depth=2
	s_or_b32 exec_lo, exec_lo, s42
	v_bfe_i32 v1, v68, 0, 16
                                        ; implicit-def: $vgpr68
	s_delay_alu instid0(VALU_DEP_1) | instskip(NEXT) | instid1(VALU_DEP_1)
	v_and_b32_e32 v1, 0x80000000, v1
	v_lshl_add_u32 v0, v0, 23, v1
	s_delay_alu instid0(VALU_DEP_1) | instskip(NEXT) | instid1(VALU_DEP_1)
	v_lshl_or_b32 v0, v4, 21, v0
                                        ; implicit-def: $vgpr4
	v_add_nc_u32_e32 v1, 0x38000000, v0
.LBB6_13323:                            ;   in Loop: Header=BB6_12546 Depth=2
	s_and_not1_saveexec_b32 s41, s41
; %bb.13324:                            ;   in Loop: Header=BB6_12546 Depth=2
	v_cmp_lt_i16_e32 vcc_lo, -1, v68
	v_cndmask_b32_e32 v0, 0xff800000, v40, vcc_lo
	v_cmp_eq_u32_e32 vcc_lo, 0, v4
	s_delay_alu instid0(VALU_DEP_2)
	v_cndmask_b32_e32 v1, 0x7f800001, v0, vcc_lo
; %bb.13325:                            ;   in Loop: Header=BB6_12546 Depth=2
	s_or_b32 exec_lo, exec_lo, s41
.LBB6_13326:                            ;   in Loop: Header=BB6_12546 Depth=2
	s_delay_alu instid0(SALU_CYCLE_1)
	s_or_b32 exec_lo, exec_lo, s7
.LBB6_13327:                            ;   in Loop: Header=BB6_12546 Depth=2
	s_delay_alu instid0(SALU_CYCLE_1) | instskip(NEXT) | instid1(SALU_CYCLE_1)
	s_or_b32 exec_lo, exec_lo, s10
	s_mov_b32 s7, exec_lo
	v_cmpx_ne_u16_e32 0, v52
	s_cbranch_execz .LBB6_13337
; %bb.13328:                            ;   in Loop: Header=BB6_12546 Depth=2
	v_bfrev_b32_e32 v3, 1
	s_mov_b32 s10, exec_lo
	v_cmpx_ne_u16_e32 0xff80, v52
	s_cbranch_execz .LBB6_13336
; %bb.13329:                            ;   in Loop: Header=BB6_12546 Depth=2
	v_and_b32_e32 v3, 0x7c, v52
	v_and_b32_e32 v0, 3, v52
	s_delay_alu instid0(VALU_DEP_2) | instskip(SKIP_1) | instid1(SALU_CYCLE_1)
	v_cmp_ne_u32_e32 vcc_lo, 0x7c, v3
                                        ; implicit-def: $vgpr3
	s_and_saveexec_b32 s41, vcc_lo
	s_xor_b32 s41, exec_lo, s41
	s_cbranch_execz .LBB6_13333
; %bb.13330:                            ;   in Loop: Header=BB6_12546 Depth=2
	v_and_b32_e32 v3, 0xff, v52
	s_mov_b32 s42, exec_lo
	s_delay_alu instid0(VALU_DEP_1) | instskip(NEXT) | instid1(VALU_DEP_1)
	v_bfe_u32 v3, v3, 2, 5
	v_cmpx_eq_u32_e32 0, v3
	s_cbranch_execz .LBB6_13332
; %bb.13331:                            ;   in Loop: Header=BB6_12546 Depth=2
	v_clz_i32_u32_e32 v0, v0
	s_delay_alu instid0(VALU_DEP_1) | instskip(SKIP_1) | instid1(VALU_DEP_2)
	v_min_u32_e32 v0, 32, v0
	v_mov_b32_e32 v53, v25
	v_subrev_nc_u32_e32 v3, 29, v0
	s_delay_alu instid0(VALU_DEP_1) | instskip(SKIP_1) | instid1(VALU_DEP_2)
	v_lshlrev_b64_e32 v[4:5], v3, v[52:53]
	v_sub_nc_u32_e32 v3, 30, v0
	v_and_b32_e32 v0, 3, v4
.LBB6_13332:                            ;   in Loop: Header=BB6_12546 Depth=2
	s_or_b32 exec_lo, exec_lo, s42
	v_bfe_i32 v4, v52, 0, 16
                                        ; implicit-def: $vgpr52
	s_delay_alu instid0(VALU_DEP_1) | instskip(NEXT) | instid1(VALU_DEP_1)
	v_and_b32_e32 v4, 0x80000000, v4
	v_lshl_add_u32 v3, v3, 23, v4
	s_delay_alu instid0(VALU_DEP_1) | instskip(NEXT) | instid1(VALU_DEP_1)
	v_lshl_or_b32 v0, v0, 21, v3
	v_add_nc_u32_e32 v3, 0x38000000, v0
                                        ; implicit-def: $vgpr0
.LBB6_13333:                            ;   in Loop: Header=BB6_12546 Depth=2
	s_and_not1_saveexec_b32 s41, s41
; %bb.13334:                            ;   in Loop: Header=BB6_12546 Depth=2
	v_cmp_lt_i16_e32 vcc_lo, -1, v52
	v_cndmask_b32_e32 v3, 0xff800000, v40, vcc_lo
	v_cmp_eq_u32_e32 vcc_lo, 0, v0
	s_delay_alu instid0(VALU_DEP_2)
	v_cndmask_b32_e32 v3, 0x7f800001, v3, vcc_lo
; %bb.13335:                            ;   in Loop: Header=BB6_12546 Depth=2
	s_or_b32 exec_lo, exec_lo, s41
.LBB6_13336:                            ;   in Loop: Header=BB6_12546 Depth=2
	s_delay_alu instid0(SALU_CYCLE_1)
	s_or_b32 exec_lo, exec_lo, s10
.LBB6_13337:                            ;   in Loop: Header=BB6_12546 Depth=2
	s_delay_alu instid0(SALU_CYCLE_1) | instskip(NEXT) | instid1(VALU_DEP_1)
	s_or_b32 exec_lo, exec_lo, s7
	v_dual_max_num_f32 v0, v3, v3 :: v_dual_max_num_f32 v1, v1, v1
	s_delay_alu instid0(VALU_DEP_1)
	v_min_num_f32_e32 v1, v1, v0
.LBB6_13338:                            ;   in Loop: Header=BB6_12546 Depth=2
	s_delay_alu instid0(VALU_DEP_1) | instskip(SKIP_2) | instid1(VALU_DEP_2)
	v_and_b32_e32 v4, 0x7f800000, v1
	v_mov_b32_e32 v5, v25
	v_and_b32_e32 v24, 0x7fffff, v1
                                        ; implicit-def: $vgpr28
	v_cmp_ne_u64_e32 vcc_lo, 0x7f800000, v[4:5]
	s_mov_b32 s7, exec_lo
	scratch_load_b64 v[68:69], off, s33 offset:220 ; 8-byte Folded Reload
	s_and_b32 s41, s7, vcc_lo
	s_delay_alu instid0(SALU_CYCLE_1)
	s_xor_b32 s10, s41, s7
	s_wait_xcnt 0x0
	s_mov_b32 exec_lo, s41
	s_cbranch_execz .LBB6_13356
; %bb.13339:                            ;   in Loop: Header=BB6_12546 Depth=2
	v_dual_mov_b32 v5, v25 :: v_dual_lshrrev_b32 v0, 24, v1
	v_and_b32_e32 v4, 0x7fffffff, v1
                                        ; implicit-def: $vgpr28
	s_mov_b32 s7, exec_lo
	s_delay_alu instid0(VALU_DEP_2) | instskip(NEXT) | instid1(VALU_DEP_2)
	v_and_b32_e32 v3, 0x80, v0
	v_cmpx_gt_u64_e32 0x47600001, v[4:5]
	s_xor_b32 s41, exec_lo, s7
	s_cbranch_execz .LBB6_13353
; %bb.13340:                            ;   in Loop: Header=BB6_12546 Depth=2
	v_mov_b32_e32 v28, 0
	s_mov_b32 s42, exec_lo
	v_cmpx_ne_u32_e32 0, v1
	s_cbranch_execz .LBB6_13352
; %bb.13341:                            ;   in Loop: Header=BB6_12546 Depth=2
	v_bfe_u32 v23, v1, 23, 8
	v_or_b32_e32 v4, 0x800000, v24
	s_delay_alu instid0(VALU_DEP_2) | instskip(SKIP_1) | instid1(VALU_DEP_2)
	v_sub_nc_u32_e32 v0, 0x71, v23
	v_cmp_gt_u32_e32 vcc_lo, 0x72, v23
	v_cndmask_b32_e32 v0, 0, v0, vcc_lo
	v_cmp_eq_u32_e32 vcc_lo, 0, v23
	s_delay_alu instid0(VALU_DEP_2) | instskip(NEXT) | instid1(VALU_DEP_1)
	v_cndmask_b32_e64 v27, v0, 0x70, vcc_lo
	v_dual_cndmask_b32 v24, v4, v24, vcc_lo :: v_dual_add_nc_u32 v0, 21, v27
	v_add_nc_u32_e32 v5, 20, v27
	s_delay_alu instid0(VALU_DEP_2) | instskip(NEXT) | instid1(VALU_DEP_2)
	v_lshlrev_b64_e64 v[0:1], v0, -1
	v_lshlrev_b64_e64 v[4:5], v5, 1
	s_delay_alu instid0(VALU_DEP_2) | instskip(NEXT) | instid1(VALU_DEP_3)
	v_bfi_b32 v29, v1, 0, 0
	v_bfi_b32 v28, v0, 0, v24
	v_lshrrev_b64 v[0:1], v27, v[24:25]
	s_delay_alu instid0(VALU_DEP_2) | instskip(NEXT) | instid1(VALU_DEP_2)
	v_cmp_eq_u64_e64 s7, v[28:29], v[4:5]
	v_mov_b64_e32 v[4:5], v[0:1]
	s_and_saveexec_b32 s43, s7
; %bb.13342:                            ;   in Loop: Header=BB6_12546 Depth=2
	v_bfe_u32 v24, v0, 21, 1
	s_delay_alu instid0(VALU_DEP_1) | instskip(NEXT) | instid1(VALU_DEP_1)
	v_add_nc_u64_e32 v[4:5], v[0:1], v[24:25]
	v_add_nc_u64_e32 v[4:5], -1, v[4:5]
; %bb.13343:                            ;   in Loop: Header=BB6_12546 Depth=2
	s_or_b32 exec_lo, exec_lo, s43
	v_add_nc_u32_e32 v1, 0xffffff81, v23
	v_lshrrev_b32_e32 v5, 23, v0
	s_mov_b32 s7, exec_lo
	s_delay_alu instid0(VALU_DEP_2) | instskip(NEXT) | instid1(VALU_DEP_1)
	v_cndmask_b32_e64 v1, v1, 0xffffff82, vcc_lo
	v_add3_u32 v5, v27, v1, v5
	v_and_b32_e32 v1, 0x1fffff, v4
                                        ; implicit-def: $vgpr4
	s_delay_alu instid0(VALU_DEP_1) | instskip(NEXT) | instid1(VALU_DEP_1)
	v_dual_add_nc_u32 v23, 14, v5 :: v_dual_add_nc_u32 v24, v1, v0
                                        ; implicit-def: $vgpr0_vgpr1
	v_cmpx_ne_u32_e32 0, v23
	s_xor_b32 s7, exec_lo, s7
; %bb.13344:                            ;   in Loop: Header=BB6_12546 Depth=2
	s_delay_alu instid0(VALU_DEP_2) | instskip(SKIP_1) | instid1(VALU_DEP_1)
	v_cmp_lt_u64_e32 vcc_lo, 0xffffff, v[24:25]
	v_add_nc_u32_e32 v0, 15, v5
	v_cndmask_b32_e32 v4, v23, v0, vcc_lo
	v_cndmask_b32_e64 v0, 0, 1, vcc_lo
	s_delay_alu instid0(VALU_DEP_1)
	v_lshrrev_b64 v[0:1], v0, v[24:25]
; %bb.13345:                            ;   in Loop: Header=BB6_12546 Depth=2
	s_and_not1_saveexec_b32 s7, s7
; %bb.13346:                            ;   in Loop: Header=BB6_12546 Depth=2
	v_mov_b64_e32 v[0:1], v[24:25]
	v_bfe_u32 v4, v24, 23, 1
; %bb.13347:                            ;   in Loop: Header=BB6_12546 Depth=2
	s_or_b32 exec_lo, exec_lo, s7
	s_delay_alu instid0(VALU_DEP_2) | instskip(NEXT) | instid1(VALU_DEP_2)
	v_lshrrev_b64 v[0:1], 21, v[0:1]
	v_cmp_gt_i32_e32 vcc_lo, 32, v4
	v_cmp_ne_u32_e64 s7, 0, v4
                                        ; implicit-def: $vgpr28
	s_delay_alu instid0(VALU_DEP_3) | instskip(NEXT) | instid1(VALU_DEP_1)
	v_dual_cndmask_b32 v1, 0, v1 :: v_dual_cndmask_b32 v0, 3, v0
	v_cmp_ne_u64_e32 vcc_lo, 0, v[0:1]
	s_or_b32 s7, s7, vcc_lo
	s_delay_alu instid0(SALU_CYCLE_1) | instskip(NEXT) | instid1(SALU_CYCLE_1)
	s_and_saveexec_b32 s43, s7
	s_xor_b32 s7, exec_lo, s43
; %bb.13348:                            ;   in Loop: Header=BB6_12546 Depth=2
	v_min_i32_e32 v1, 31, v4
	s_delay_alu instid0(VALU_DEP_1) | instskip(NEXT) | instid1(VALU_DEP_1)
	v_lshl_or_b32 v1, v1, 2, v3
                                        ; implicit-def: $vgpr3
	v_and_or_b32 v28, v0, 3, v1
; %bb.13349:                            ;   in Loop: Header=BB6_12546 Depth=2
	s_and_not1_saveexec_b32 s7, s7
; %bb.13350:                            ;   in Loop: Header=BB6_12546 Depth=2
	v_mov_b32_e32 v28, v3
; %bb.13351:                            ;   in Loop: Header=BB6_12546 Depth=2
	s_or_b32 exec_lo, exec_lo, s7
.LBB6_13352:                            ;   in Loop: Header=BB6_12546 Depth=2
	s_delay_alu instid0(SALU_CYCLE_1)
	s_or_b32 exec_lo, exec_lo, s42
                                        ; implicit-def: $vgpr3
.LBB6_13353:                            ;   in Loop: Header=BB6_12546 Depth=2
	s_and_not1_saveexec_b32 s7, s41
; %bb.13354:                            ;   in Loop: Header=BB6_12546 Depth=2
	v_or_b32_e32 v28, 0x7b, v3
; %bb.13355:                            ;   in Loop: Header=BB6_12546 Depth=2
	s_or_b32 exec_lo, exec_lo, s7
                                        ; implicit-def: $vgpr1
.LBB6_13356:                            ;   in Loop: Header=BB6_12546 Depth=2
	s_and_not1_saveexec_b32 s7, s10
	s_cbranch_execz .LBB6_13362
; %bb.13357:                            ;   in Loop: Header=BB6_12546 Depth=2
	s_mov_b32 s10, exec_lo
                                        ; implicit-def: $vgpr28
	v_cmpx_ne_u64_e32 0, v[24:25]
	s_xor_b32 s10, exec_lo, s10
; %bb.13358:                            ;   in Loop: Header=BB6_12546 Depth=2
	v_lshrrev_b32_e32 v0, 24, v1
                                        ; implicit-def: $vgpr1
	s_delay_alu instid0(VALU_DEP_1)
	v_or_b32_e32 v28, 0x7f, v0
; %bb.13359:                            ;   in Loop: Header=BB6_12546 Depth=2
	s_and_not1_saveexec_b32 s10, s10
; %bb.13360:                            ;   in Loop: Header=BB6_12546 Depth=2
	v_cmp_lt_i32_e32 vcc_lo, -1, v1
	v_cndmask_b32_e64 v28, -4, 0x7c, vcc_lo
; %bb.13361:                            ;   in Loop: Header=BB6_12546 Depth=2
	s_or_b32 exec_lo, exec_lo, s10
.LBB6_13362:                            ;   in Loop: Header=BB6_12546 Depth=2
	s_delay_alu instid0(SALU_CYCLE_1)
	s_or_b32 exec_lo, exec_lo, s7
	v_and_b32_e32 v0, 0xff, v66
	v_cmp_ne_u16_e64 s7, 0, v66
	s_and_not1_b32 vcc_lo, exec_lo, s14
	s_mov_b32 s10, -1
                                        ; implicit-def: $vgpr1
	s_cbranch_vccnz .LBB6_13384
; %bb.13363:                            ;   in Loop: Header=BB6_12546 Depth=2
	v_dual_mov_b32 v3, 0 :: v_dual_mov_b32 v1, 0
	s_and_saveexec_b32 s10, s7
	s_cbranch_execz .LBB6_13373
; %bb.13364:                            ;   in Loop: Header=BB6_12546 Depth=2
	v_bfrev_b32_e32 v1, 1
	s_mov_b32 s41, exec_lo
	v_cmpx_ne_u16_e32 0xff80, v66
	s_cbranch_execz .LBB6_13372
; %bb.13365:                            ;   in Loop: Header=BB6_12546 Depth=2
	v_and_b32_e32 v1, 0x7c, v0
	v_and_b32_e32 v4, 3, v0
	s_delay_alu instid0(VALU_DEP_2) | instskip(SKIP_1) | instid1(SALU_CYCLE_1)
	v_cmp_ne_u32_e32 vcc_lo, 0x7c, v1
                                        ; implicit-def: $vgpr1
	s_and_saveexec_b32 s42, vcc_lo
	s_xor_b32 s42, exec_lo, s42
	s_cbranch_execz .LBB6_13369
; %bb.13366:                            ;   in Loop: Header=BB6_12546 Depth=2
	v_bfe_u32 v1, v0, 2, 5
	s_mov_b32 s43, exec_lo
	s_delay_alu instid0(VALU_DEP_1)
	v_cmpx_eq_u32_e32 0, v1
	s_cbranch_execz .LBB6_13368
; %bb.13367:                            ;   in Loop: Header=BB6_12546 Depth=2
	v_clz_i32_u32_e32 v1, v4
	s_delay_alu instid0(VALU_DEP_1) | instskip(SKIP_1) | instid1(VALU_DEP_2)
	v_min_u32_e32 v1, 32, v1
	v_mov_b32_e32 v67, v25
	v_subrev_nc_u32_e32 v4, 29, v1
	v_sub_nc_u32_e32 v1, 30, v1
	s_delay_alu instid0(VALU_DEP_2) | instskip(NEXT) | instid1(VALU_DEP_1)
	v_lshlrev_b64_e32 v[4:5], v4, v[66:67]
	v_and_b32_e32 v4, 3, v4
.LBB6_13368:                            ;   in Loop: Header=BB6_12546 Depth=2
	s_or_b32 exec_lo, exec_lo, s43
	v_bfe_i32 v5, v66, 0, 16
	s_delay_alu instid0(VALU_DEP_1) | instskip(NEXT) | instid1(VALU_DEP_1)
	v_and_b32_e32 v5, 0x80000000, v5
	v_lshl_add_u32 v1, v1, 23, v5
	s_delay_alu instid0(VALU_DEP_1) | instskip(NEXT) | instid1(VALU_DEP_1)
	v_lshl_or_b32 v1, v4, 21, v1
                                        ; implicit-def: $vgpr4
	v_add_nc_u32_e32 v1, 0x38000000, v1
.LBB6_13369:                            ;   in Loop: Header=BB6_12546 Depth=2
	s_and_not1_saveexec_b32 s42, s42
; %bb.13370:                            ;   in Loop: Header=BB6_12546 Depth=2
	v_cmp_lt_i16_e32 vcc_lo, -1, v66
	v_cndmask_b32_e32 v1, 0xff800000, v40, vcc_lo
	v_cmp_eq_u32_e32 vcc_lo, 0, v4
	s_delay_alu instid0(VALU_DEP_2)
	v_cndmask_b32_e32 v1, 0x7f800001, v1, vcc_lo
; %bb.13371:                            ;   in Loop: Header=BB6_12546 Depth=2
	s_or_b32 exec_lo, exec_lo, s42
.LBB6_13372:                            ;   in Loop: Header=BB6_12546 Depth=2
	s_delay_alu instid0(SALU_CYCLE_1)
	s_or_b32 exec_lo, exec_lo, s41
.LBB6_13373:                            ;   in Loop: Header=BB6_12546 Depth=2
	s_delay_alu instid0(SALU_CYCLE_1) | instskip(NEXT) | instid1(SALU_CYCLE_1)
	s_or_b32 exec_lo, exec_lo, s10
	s_mov_b32 s10, exec_lo
	v_cmpx_ne_u16_e32 0, v30
	s_cbranch_execz .LBB6_13383
; %bb.13374:                            ;   in Loop: Header=BB6_12546 Depth=2
	v_bfrev_b32_e32 v3, 1
	s_mov_b32 s41, exec_lo
	v_cmpx_ne_u16_e32 0xff80, v30
	s_cbranch_execz .LBB6_13382
; %bb.13375:                            ;   in Loop: Header=BB6_12546 Depth=2
	v_and_b32_e32 v3, 0x7c, v30
	v_and_b32_e32 v4, 3, v30
	s_delay_alu instid0(VALU_DEP_2) | instskip(SKIP_1) | instid1(SALU_CYCLE_1)
	v_cmp_ne_u32_e32 vcc_lo, 0x7c, v3
                                        ; implicit-def: $vgpr3
	s_and_saveexec_b32 s42, vcc_lo
	s_xor_b32 s42, exec_lo, s42
	s_cbranch_execz .LBB6_13379
; %bb.13376:                            ;   in Loop: Header=BB6_12546 Depth=2
	v_and_b32_e32 v3, 0xff, v30
	s_mov_b32 s43, exec_lo
	s_delay_alu instid0(VALU_DEP_1) | instskip(NEXT) | instid1(VALU_DEP_1)
	v_bfe_u32 v3, v3, 2, 5
	v_cmpx_eq_u32_e32 0, v3
	s_cbranch_execz .LBB6_13378
; %bb.13377:                            ;   in Loop: Header=BB6_12546 Depth=2
	v_clz_i32_u32_e32 v3, v4
	s_delay_alu instid0(VALU_DEP_1) | instskip(SKIP_1) | instid1(VALU_DEP_2)
	v_min_u32_e32 v3, 32, v3
	v_mov_b32_e32 v31, v25
	v_subrev_nc_u32_e32 v4, 29, v3
	v_sub_nc_u32_e32 v3, 30, v3
	s_delay_alu instid0(VALU_DEP_2) | instskip(NEXT) | instid1(VALU_DEP_1)
	v_lshlrev_b64_e32 v[4:5], v4, v[30:31]
	v_and_b32_e32 v4, 3, v4
.LBB6_13378:                            ;   in Loop: Header=BB6_12546 Depth=2
	s_or_b32 exec_lo, exec_lo, s43
	v_bfe_i32 v5, v30, 0, 16
	s_delay_alu instid0(VALU_DEP_1) | instskip(NEXT) | instid1(VALU_DEP_1)
	v_and_b32_e32 v5, 0x80000000, v5
	v_lshl_add_u32 v3, v3, 23, v5
	s_delay_alu instid0(VALU_DEP_1) | instskip(NEXT) | instid1(VALU_DEP_1)
	v_lshl_or_b32 v3, v4, 21, v3
                                        ; implicit-def: $vgpr4
	v_add_nc_u32_e32 v3, 0x38000000, v3
.LBB6_13379:                            ;   in Loop: Header=BB6_12546 Depth=2
	s_and_not1_saveexec_b32 s42, s42
; %bb.13380:                            ;   in Loop: Header=BB6_12546 Depth=2
	v_cmp_lt_i16_e32 vcc_lo, -1, v30
	v_cndmask_b32_e32 v3, 0xff800000, v40, vcc_lo
	v_cmp_eq_u32_e32 vcc_lo, 0, v4
	s_delay_alu instid0(VALU_DEP_2)
	v_cndmask_b32_e32 v3, 0x7f800001, v3, vcc_lo
; %bb.13381:                            ;   in Loop: Header=BB6_12546 Depth=2
	s_or_b32 exec_lo, exec_lo, s42
.LBB6_13382:                            ;   in Loop: Header=BB6_12546 Depth=2
	s_delay_alu instid0(SALU_CYCLE_1)
	s_or_b32 exec_lo, exec_lo, s41
.LBB6_13383:                            ;   in Loop: Header=BB6_12546 Depth=2
	s_delay_alu instid0(SALU_CYCLE_1) | instskip(NEXT) | instid1(VALU_DEP_1)
	s_or_b32 exec_lo, exec_lo, s10
	v_dual_max_num_f32 v3, v3, v3 :: v_dual_max_num_f32 v1, v1, v1
	s_mov_b32 s10, 0
	s_delay_alu instid0(VALU_DEP_1)
	v_max_num_f32_e32 v1, v1, v3
.LBB6_13384:                            ;   in Loop: Header=BB6_12546 Depth=2
	s_and_b32 vcc_lo, exec_lo, s10
	s_cbranch_vccz .LBB6_13406
; %bb.13385:                            ;   in Loop: Header=BB6_12546 Depth=2
	v_dual_mov_b32 v3, 0 :: v_dual_mov_b32 v1, 0
	s_and_saveexec_b32 s10, s7
	s_cbranch_execz .LBB6_13395
; %bb.13386:                            ;   in Loop: Header=BB6_12546 Depth=2
	v_bfrev_b32_e32 v1, 1
	s_mov_b32 s7, exec_lo
	v_cmpx_ne_u16_e32 0xff80, v66
	s_cbranch_execz .LBB6_13394
; %bb.13387:                            ;   in Loop: Header=BB6_12546 Depth=2
	v_and_b32_e32 v1, 0x7c, v0
	v_and_b32_e32 v4, 3, v0
	s_delay_alu instid0(VALU_DEP_2) | instskip(SKIP_1) | instid1(SALU_CYCLE_1)
	v_cmp_ne_u32_e32 vcc_lo, 0x7c, v1
                                        ; implicit-def: $vgpr1
	s_and_saveexec_b32 s41, vcc_lo
	s_xor_b32 s41, exec_lo, s41
	s_cbranch_execz .LBB6_13391
; %bb.13388:                            ;   in Loop: Header=BB6_12546 Depth=2
	v_bfe_u32 v0, v0, 2, 5
	s_mov_b32 s42, exec_lo
	s_delay_alu instid0(VALU_DEP_1)
	v_cmpx_eq_u32_e32 0, v0
	s_cbranch_execz .LBB6_13390
; %bb.13389:                            ;   in Loop: Header=BB6_12546 Depth=2
	v_clz_i32_u32_e32 v0, v4
	s_delay_alu instid0(VALU_DEP_1) | instskip(SKIP_1) | instid1(VALU_DEP_2)
	v_min_u32_e32 v0, 32, v0
	v_mov_b32_e32 v67, v25
	v_subrev_nc_u32_e32 v1, 29, v0
	v_sub_nc_u32_e32 v0, 30, v0
	s_delay_alu instid0(VALU_DEP_2) | instskip(NEXT) | instid1(VALU_DEP_1)
	v_lshlrev_b64_e32 v[4:5], v1, v[66:67]
	v_and_b32_e32 v4, 3, v4
.LBB6_13390:                            ;   in Loop: Header=BB6_12546 Depth=2
	s_or_b32 exec_lo, exec_lo, s42
	v_bfe_i32 v1, v66, 0, 16
                                        ; implicit-def: $vgpr66
	s_delay_alu instid0(VALU_DEP_1) | instskip(NEXT) | instid1(VALU_DEP_1)
	v_and_b32_e32 v1, 0x80000000, v1
	v_lshl_add_u32 v0, v0, 23, v1
	s_delay_alu instid0(VALU_DEP_1) | instskip(NEXT) | instid1(VALU_DEP_1)
	v_lshl_or_b32 v0, v4, 21, v0
                                        ; implicit-def: $vgpr4
	v_add_nc_u32_e32 v1, 0x38000000, v0
.LBB6_13391:                            ;   in Loop: Header=BB6_12546 Depth=2
	s_and_not1_saveexec_b32 s41, s41
; %bb.13392:                            ;   in Loop: Header=BB6_12546 Depth=2
	v_cmp_lt_i16_e32 vcc_lo, -1, v66
	v_cndmask_b32_e32 v0, 0xff800000, v40, vcc_lo
	v_cmp_eq_u32_e32 vcc_lo, 0, v4
	s_delay_alu instid0(VALU_DEP_2)
	v_cndmask_b32_e32 v1, 0x7f800001, v0, vcc_lo
; %bb.13393:                            ;   in Loop: Header=BB6_12546 Depth=2
	s_or_b32 exec_lo, exec_lo, s41
.LBB6_13394:                            ;   in Loop: Header=BB6_12546 Depth=2
	s_delay_alu instid0(SALU_CYCLE_1)
	s_or_b32 exec_lo, exec_lo, s7
.LBB6_13395:                            ;   in Loop: Header=BB6_12546 Depth=2
	s_delay_alu instid0(SALU_CYCLE_1) | instskip(NEXT) | instid1(SALU_CYCLE_1)
	s_or_b32 exec_lo, exec_lo, s10
	s_mov_b32 s7, exec_lo
	v_cmpx_ne_u16_e32 0, v30
	s_cbranch_execz .LBB6_13405
; %bb.13396:                            ;   in Loop: Header=BB6_12546 Depth=2
	v_bfrev_b32_e32 v3, 1
	s_mov_b32 s10, exec_lo
	v_cmpx_ne_u16_e32 0xff80, v30
	s_cbranch_execz .LBB6_13404
; %bb.13397:                            ;   in Loop: Header=BB6_12546 Depth=2
	v_and_b32_e32 v3, 0x7c, v30
	v_and_b32_e32 v0, 3, v30
	s_delay_alu instid0(VALU_DEP_2) | instskip(SKIP_1) | instid1(SALU_CYCLE_1)
	v_cmp_ne_u32_e32 vcc_lo, 0x7c, v3
                                        ; implicit-def: $vgpr3
	s_and_saveexec_b32 s41, vcc_lo
	s_xor_b32 s41, exec_lo, s41
	s_cbranch_execz .LBB6_13401
; %bb.13398:                            ;   in Loop: Header=BB6_12546 Depth=2
	v_and_b32_e32 v3, 0xff, v30
	s_mov_b32 s42, exec_lo
	s_delay_alu instid0(VALU_DEP_1) | instskip(NEXT) | instid1(VALU_DEP_1)
	v_bfe_u32 v3, v3, 2, 5
	v_cmpx_eq_u32_e32 0, v3
	s_cbranch_execz .LBB6_13400
; %bb.13399:                            ;   in Loop: Header=BB6_12546 Depth=2
	v_clz_i32_u32_e32 v0, v0
	s_delay_alu instid0(VALU_DEP_1) | instskip(SKIP_1) | instid1(VALU_DEP_2)
	v_min_u32_e32 v0, 32, v0
	v_mov_b32_e32 v31, v25
	v_subrev_nc_u32_e32 v3, 29, v0
	s_delay_alu instid0(VALU_DEP_1) | instskip(SKIP_1) | instid1(VALU_DEP_2)
	v_lshlrev_b64_e32 v[4:5], v3, v[30:31]
	v_sub_nc_u32_e32 v3, 30, v0
	v_and_b32_e32 v0, 3, v4
.LBB6_13400:                            ;   in Loop: Header=BB6_12546 Depth=2
	s_or_b32 exec_lo, exec_lo, s42
	v_bfe_i32 v4, v30, 0, 16
                                        ; implicit-def: $vgpr30
	s_delay_alu instid0(VALU_DEP_1) | instskip(NEXT) | instid1(VALU_DEP_1)
	v_and_b32_e32 v4, 0x80000000, v4
	v_lshl_add_u32 v3, v3, 23, v4
	s_delay_alu instid0(VALU_DEP_1) | instskip(NEXT) | instid1(VALU_DEP_1)
	v_lshl_or_b32 v0, v0, 21, v3
	v_add_nc_u32_e32 v3, 0x38000000, v0
                                        ; implicit-def: $vgpr0
.LBB6_13401:                            ;   in Loop: Header=BB6_12546 Depth=2
	s_and_not1_saveexec_b32 s41, s41
; %bb.13402:                            ;   in Loop: Header=BB6_12546 Depth=2
	v_cmp_lt_i16_e32 vcc_lo, -1, v30
	v_cndmask_b32_e32 v3, 0xff800000, v40, vcc_lo
	v_cmp_eq_u32_e32 vcc_lo, 0, v0
	s_delay_alu instid0(VALU_DEP_2)
	v_cndmask_b32_e32 v3, 0x7f800001, v3, vcc_lo
; %bb.13403:                            ;   in Loop: Header=BB6_12546 Depth=2
	s_or_b32 exec_lo, exec_lo, s41
.LBB6_13404:                            ;   in Loop: Header=BB6_12546 Depth=2
	s_delay_alu instid0(SALU_CYCLE_1)
	s_or_b32 exec_lo, exec_lo, s10
.LBB6_13405:                            ;   in Loop: Header=BB6_12546 Depth=2
	s_delay_alu instid0(SALU_CYCLE_1) | instskip(NEXT) | instid1(VALU_DEP_1)
	s_or_b32 exec_lo, exec_lo, s7
	v_dual_max_num_f32 v0, v3, v3 :: v_dual_max_num_f32 v1, v1, v1
	s_delay_alu instid0(VALU_DEP_1)
	v_min_num_f32_e32 v1, v1, v0
.LBB6_13406:                            ;   in Loop: Header=BB6_12546 Depth=2
	s_delay_alu instid0(VALU_DEP_1) | instskip(SKIP_2) | instid1(VALU_DEP_2)
	v_and_b32_e32 v4, 0x7f800000, v1
	v_mov_b32_e32 v5, v25
	v_and_b32_e32 v24, 0x7fffff, v1
                                        ; implicit-def: $vgpr29
	v_cmp_ne_u64_e32 vcc_lo, 0x7f800000, v[4:5]
	s_mov_b32 s7, exec_lo
	scratch_load_b64 v[66:67], off, s33 offset:228 ; 8-byte Folded Reload
	s_and_b32 s41, s7, vcc_lo
	s_delay_alu instid0(SALU_CYCLE_1)
	s_xor_b32 s10, s41, s7
	s_wait_xcnt 0x0
	s_mov_b32 exec_lo, s41
	s_cbranch_execz .LBB6_13424
; %bb.13407:                            ;   in Loop: Header=BB6_12546 Depth=2
	v_dual_mov_b32 v5, v25 :: v_dual_lshrrev_b32 v0, 24, v1
	v_and_b32_e32 v4, 0x7fffffff, v1
                                        ; implicit-def: $vgpr29
	s_mov_b32 s7, exec_lo
	s_delay_alu instid0(VALU_DEP_2) | instskip(NEXT) | instid1(VALU_DEP_2)
	v_and_b32_e32 v3, 0x80, v0
	v_cmpx_gt_u64_e32 0x47600001, v[4:5]
	s_xor_b32 s41, exec_lo, s7
	s_cbranch_execz .LBB6_13421
; %bb.13408:                            ;   in Loop: Header=BB6_12546 Depth=2
	v_mov_b32_e32 v29, 0
	s_mov_b32 s42, exec_lo
	v_cmpx_ne_u32_e32 0, v1
	s_cbranch_execz .LBB6_13420
; %bb.13409:                            ;   in Loop: Header=BB6_12546 Depth=2
	v_bfe_u32 v23, v1, 23, 8
	v_or_b32_e32 v4, 0x800000, v24
	s_delay_alu instid0(VALU_DEP_2) | instskip(SKIP_1) | instid1(VALU_DEP_2)
	v_sub_nc_u32_e32 v0, 0x71, v23
	v_cmp_gt_u32_e32 vcc_lo, 0x72, v23
	v_cndmask_b32_e32 v0, 0, v0, vcc_lo
	v_cmp_eq_u32_e32 vcc_lo, 0, v23
	s_delay_alu instid0(VALU_DEP_2) | instskip(NEXT) | instid1(VALU_DEP_1)
	v_cndmask_b32_e64 v27, v0, 0x70, vcc_lo
	v_dual_cndmask_b32 v24, v4, v24, vcc_lo :: v_dual_add_nc_u32 v0, 21, v27
	v_add_nc_u32_e32 v5, 20, v27
	s_delay_alu instid0(VALU_DEP_2) | instskip(NEXT) | instid1(VALU_DEP_2)
	v_lshlrev_b64_e64 v[0:1], v0, -1
	v_lshlrev_b64_e64 v[4:5], v5, 1
	s_delay_alu instid0(VALU_DEP_2) | instskip(NEXT) | instid1(VALU_DEP_3)
	v_bfi_b32 v31, v1, 0, 0
	v_bfi_b32 v30, v0, 0, v24
	v_lshrrev_b64 v[0:1], v27, v[24:25]
	s_delay_alu instid0(VALU_DEP_2) | instskip(NEXT) | instid1(VALU_DEP_2)
	v_cmp_eq_u64_e64 s7, v[30:31], v[4:5]
	v_mov_b64_e32 v[4:5], v[0:1]
	s_and_saveexec_b32 s43, s7
; %bb.13410:                            ;   in Loop: Header=BB6_12546 Depth=2
	v_bfe_u32 v24, v0, 21, 1
	s_delay_alu instid0(VALU_DEP_1) | instskip(NEXT) | instid1(VALU_DEP_1)
	v_add_nc_u64_e32 v[4:5], v[0:1], v[24:25]
	v_add_nc_u64_e32 v[4:5], -1, v[4:5]
; %bb.13411:                            ;   in Loop: Header=BB6_12546 Depth=2
	s_or_b32 exec_lo, exec_lo, s43
	v_add_nc_u32_e32 v1, 0xffffff81, v23
	v_lshrrev_b32_e32 v5, 23, v0
	s_mov_b32 s7, exec_lo
	s_delay_alu instid0(VALU_DEP_2) | instskip(NEXT) | instid1(VALU_DEP_1)
	v_cndmask_b32_e64 v1, v1, 0xffffff82, vcc_lo
	v_add3_u32 v5, v27, v1, v5
	v_and_b32_e32 v1, 0x1fffff, v4
                                        ; implicit-def: $vgpr4
	s_delay_alu instid0(VALU_DEP_1) | instskip(NEXT) | instid1(VALU_DEP_1)
	v_dual_add_nc_u32 v23, 14, v5 :: v_dual_add_nc_u32 v24, v1, v0
                                        ; implicit-def: $vgpr0_vgpr1
	v_cmpx_ne_u32_e32 0, v23
	s_xor_b32 s7, exec_lo, s7
; %bb.13412:                            ;   in Loop: Header=BB6_12546 Depth=2
	s_delay_alu instid0(VALU_DEP_2) | instskip(SKIP_1) | instid1(VALU_DEP_1)
	v_cmp_lt_u64_e32 vcc_lo, 0xffffff, v[24:25]
	v_add_nc_u32_e32 v0, 15, v5
	v_cndmask_b32_e32 v4, v23, v0, vcc_lo
	v_cndmask_b32_e64 v0, 0, 1, vcc_lo
	s_delay_alu instid0(VALU_DEP_1)
	v_lshrrev_b64 v[0:1], v0, v[24:25]
; %bb.13413:                            ;   in Loop: Header=BB6_12546 Depth=2
	s_and_not1_saveexec_b32 s7, s7
; %bb.13414:                            ;   in Loop: Header=BB6_12546 Depth=2
	v_mov_b64_e32 v[0:1], v[24:25]
	v_bfe_u32 v4, v24, 23, 1
; %bb.13415:                            ;   in Loop: Header=BB6_12546 Depth=2
	s_or_b32 exec_lo, exec_lo, s7
	s_delay_alu instid0(VALU_DEP_2) | instskip(NEXT) | instid1(VALU_DEP_2)
	v_lshrrev_b64 v[0:1], 21, v[0:1]
	v_cmp_gt_i32_e32 vcc_lo, 32, v4
	v_cmp_ne_u32_e64 s7, 0, v4
                                        ; implicit-def: $vgpr29
	s_delay_alu instid0(VALU_DEP_3) | instskip(NEXT) | instid1(VALU_DEP_1)
	v_dual_cndmask_b32 v1, 0, v1 :: v_dual_cndmask_b32 v0, 3, v0
	v_cmp_ne_u64_e32 vcc_lo, 0, v[0:1]
	s_or_b32 s7, s7, vcc_lo
	s_delay_alu instid0(SALU_CYCLE_1) | instskip(NEXT) | instid1(SALU_CYCLE_1)
	s_and_saveexec_b32 s43, s7
	s_xor_b32 s7, exec_lo, s43
; %bb.13416:                            ;   in Loop: Header=BB6_12546 Depth=2
	v_min_i32_e32 v1, 31, v4
	s_delay_alu instid0(VALU_DEP_1) | instskip(NEXT) | instid1(VALU_DEP_1)
	v_lshl_or_b32 v1, v1, 2, v3
                                        ; implicit-def: $vgpr3
	v_and_or_b32 v29, v0, 3, v1
; %bb.13417:                            ;   in Loop: Header=BB6_12546 Depth=2
	s_and_not1_saveexec_b32 s7, s7
; %bb.13418:                            ;   in Loop: Header=BB6_12546 Depth=2
	v_mov_b32_e32 v29, v3
; %bb.13419:                            ;   in Loop: Header=BB6_12546 Depth=2
	s_or_b32 exec_lo, exec_lo, s7
.LBB6_13420:                            ;   in Loop: Header=BB6_12546 Depth=2
	s_delay_alu instid0(SALU_CYCLE_1)
	s_or_b32 exec_lo, exec_lo, s42
                                        ; implicit-def: $vgpr3
.LBB6_13421:                            ;   in Loop: Header=BB6_12546 Depth=2
	s_and_not1_saveexec_b32 s7, s41
; %bb.13422:                            ;   in Loop: Header=BB6_12546 Depth=2
	v_or_b32_e32 v29, 0x7b, v3
; %bb.13423:                            ;   in Loop: Header=BB6_12546 Depth=2
	s_or_b32 exec_lo, exec_lo, s7
                                        ; implicit-def: $vgpr1
.LBB6_13424:                            ;   in Loop: Header=BB6_12546 Depth=2
	s_and_not1_saveexec_b32 s7, s10
	s_cbranch_execz .LBB6_13430
; %bb.13425:                            ;   in Loop: Header=BB6_12546 Depth=2
	s_mov_b32 s10, exec_lo
                                        ; implicit-def: $vgpr29
	v_cmpx_ne_u64_e32 0, v[24:25]
	s_xor_b32 s10, exec_lo, s10
; %bb.13426:                            ;   in Loop: Header=BB6_12546 Depth=2
	v_lshrrev_b32_e32 v0, 24, v1
                                        ; implicit-def: $vgpr1
	s_delay_alu instid0(VALU_DEP_1)
	v_or_b32_e32 v29, 0x7f, v0
; %bb.13427:                            ;   in Loop: Header=BB6_12546 Depth=2
	s_and_not1_saveexec_b32 s10, s10
; %bb.13428:                            ;   in Loop: Header=BB6_12546 Depth=2
	v_cmp_lt_i32_e32 vcc_lo, -1, v1
	v_cndmask_b32_e64 v29, -4, 0x7c, vcc_lo
; %bb.13429:                            ;   in Loop: Header=BB6_12546 Depth=2
	s_or_b32 exec_lo, exec_lo, s10
.LBB6_13430:                            ;   in Loop: Header=BB6_12546 Depth=2
	s_delay_alu instid0(SALU_CYCLE_1)
	s_or_b32 exec_lo, exec_lo, s7
	v_and_b32_e32 v0, 0xff, v122
	v_cmp_ne_u16_e64 s7, 0, v122
	s_and_not1_b32 vcc_lo, exec_lo, s14
	s_mov_b32 s10, -1
                                        ; implicit-def: $vgpr1
	s_cbranch_vccnz .LBB6_13452
; %bb.13431:                            ;   in Loop: Header=BB6_12546 Depth=2
	v_dual_mov_b32 v3, 0 :: v_dual_mov_b32 v1, 0
	s_and_saveexec_b32 s10, s7
	s_cbranch_execz .LBB6_13441
; %bb.13432:                            ;   in Loop: Header=BB6_12546 Depth=2
	v_bfrev_b32_e32 v1, 1
	s_mov_b32 s41, exec_lo
	v_cmpx_ne_u16_e32 0xff80, v122
	s_cbranch_execz .LBB6_13440
; %bb.13433:                            ;   in Loop: Header=BB6_12546 Depth=2
	v_and_b32_e32 v1, 0x7c, v0
	v_and_b32_e32 v4, 3, v0
	s_delay_alu instid0(VALU_DEP_2) | instskip(SKIP_1) | instid1(SALU_CYCLE_1)
	v_cmp_ne_u32_e32 vcc_lo, 0x7c, v1
                                        ; implicit-def: $vgpr1
	s_and_saveexec_b32 s42, vcc_lo
	s_xor_b32 s42, exec_lo, s42
	s_cbranch_execz .LBB6_13437
; %bb.13434:                            ;   in Loop: Header=BB6_12546 Depth=2
	v_bfe_u32 v1, v0, 2, 5
	s_mov_b32 s43, exec_lo
	s_delay_alu instid0(VALU_DEP_1)
	v_cmpx_eq_u32_e32 0, v1
	s_cbranch_execz .LBB6_13436
; %bb.13435:                            ;   in Loop: Header=BB6_12546 Depth=2
	v_clz_i32_u32_e32 v1, v4
	s_delay_alu instid0(VALU_DEP_1) | instskip(SKIP_1) | instid1(VALU_DEP_2)
	v_min_u32_e32 v1, 32, v1
	v_mov_b32_e32 v123, v25
	v_subrev_nc_u32_e32 v4, 29, v1
	v_sub_nc_u32_e32 v1, 30, v1
	s_delay_alu instid0(VALU_DEP_2) | instskip(NEXT) | instid1(VALU_DEP_1)
	v_lshlrev_b64_e32 v[4:5], v4, v[122:123]
	v_and_b32_e32 v4, 3, v4
.LBB6_13436:                            ;   in Loop: Header=BB6_12546 Depth=2
	s_or_b32 exec_lo, exec_lo, s43
	v_bfe_i32 v5, v122, 0, 16
	s_delay_alu instid0(VALU_DEP_1) | instskip(NEXT) | instid1(VALU_DEP_1)
	v_and_b32_e32 v5, 0x80000000, v5
	v_lshl_add_u32 v1, v1, 23, v5
	s_delay_alu instid0(VALU_DEP_1) | instskip(NEXT) | instid1(VALU_DEP_1)
	v_lshl_or_b32 v1, v4, 21, v1
                                        ; implicit-def: $vgpr4
	v_add_nc_u32_e32 v1, 0x38000000, v1
.LBB6_13437:                            ;   in Loop: Header=BB6_12546 Depth=2
	s_and_not1_saveexec_b32 s42, s42
; %bb.13438:                            ;   in Loop: Header=BB6_12546 Depth=2
	v_cmp_lt_i16_e32 vcc_lo, -1, v122
	v_cndmask_b32_e32 v1, 0xff800000, v40, vcc_lo
	v_cmp_eq_u32_e32 vcc_lo, 0, v4
	s_delay_alu instid0(VALU_DEP_2)
	v_cndmask_b32_e32 v1, 0x7f800001, v1, vcc_lo
; %bb.13439:                            ;   in Loop: Header=BB6_12546 Depth=2
	s_or_b32 exec_lo, exec_lo, s42
.LBB6_13440:                            ;   in Loop: Header=BB6_12546 Depth=2
	s_delay_alu instid0(SALU_CYCLE_1)
	s_or_b32 exec_lo, exec_lo, s41
.LBB6_13441:                            ;   in Loop: Header=BB6_12546 Depth=2
	s_delay_alu instid0(SALU_CYCLE_1) | instskip(NEXT) | instid1(SALU_CYCLE_1)
	s_or_b32 exec_lo, exec_lo, s10
	s_mov_b32 s10, exec_lo
	v_cmpx_ne_u16_e32 0, v54
	s_cbranch_execz .LBB6_13451
; %bb.13442:                            ;   in Loop: Header=BB6_12546 Depth=2
	v_bfrev_b32_e32 v3, 1
	s_mov_b32 s41, exec_lo
	v_cmpx_ne_u16_e32 0xff80, v54
	s_cbranch_execz .LBB6_13450
; %bb.13443:                            ;   in Loop: Header=BB6_12546 Depth=2
	v_and_b32_e32 v3, 0x7c, v54
	v_and_b32_e32 v4, 3, v54
	s_delay_alu instid0(VALU_DEP_2) | instskip(SKIP_1) | instid1(SALU_CYCLE_1)
	v_cmp_ne_u32_e32 vcc_lo, 0x7c, v3
                                        ; implicit-def: $vgpr3
	s_and_saveexec_b32 s42, vcc_lo
	s_xor_b32 s42, exec_lo, s42
	s_cbranch_execz .LBB6_13447
; %bb.13444:                            ;   in Loop: Header=BB6_12546 Depth=2
	v_and_b32_e32 v3, 0xff, v54
	s_mov_b32 s43, exec_lo
	s_delay_alu instid0(VALU_DEP_1) | instskip(NEXT) | instid1(VALU_DEP_1)
	v_bfe_u32 v3, v3, 2, 5
	v_cmpx_eq_u32_e32 0, v3
	s_cbranch_execz .LBB6_13446
; %bb.13445:                            ;   in Loop: Header=BB6_12546 Depth=2
	v_clz_i32_u32_e32 v3, v4
	s_delay_alu instid0(VALU_DEP_1) | instskip(SKIP_1) | instid1(VALU_DEP_2)
	v_min_u32_e32 v3, 32, v3
	v_mov_b32_e32 v55, v25
	v_subrev_nc_u32_e32 v4, 29, v3
	v_sub_nc_u32_e32 v3, 30, v3
	s_delay_alu instid0(VALU_DEP_2) | instskip(NEXT) | instid1(VALU_DEP_1)
	v_lshlrev_b64_e32 v[4:5], v4, v[54:55]
	v_and_b32_e32 v4, 3, v4
.LBB6_13446:                            ;   in Loop: Header=BB6_12546 Depth=2
	s_or_b32 exec_lo, exec_lo, s43
	v_bfe_i32 v5, v54, 0, 16
	s_delay_alu instid0(VALU_DEP_1) | instskip(NEXT) | instid1(VALU_DEP_1)
	v_and_b32_e32 v5, 0x80000000, v5
	v_lshl_add_u32 v3, v3, 23, v5
	s_delay_alu instid0(VALU_DEP_1) | instskip(NEXT) | instid1(VALU_DEP_1)
	v_lshl_or_b32 v3, v4, 21, v3
                                        ; implicit-def: $vgpr4
	v_add_nc_u32_e32 v3, 0x38000000, v3
.LBB6_13447:                            ;   in Loop: Header=BB6_12546 Depth=2
	s_and_not1_saveexec_b32 s42, s42
; %bb.13448:                            ;   in Loop: Header=BB6_12546 Depth=2
	v_cmp_lt_i16_e32 vcc_lo, -1, v54
	v_cndmask_b32_e32 v3, 0xff800000, v40, vcc_lo
	v_cmp_eq_u32_e32 vcc_lo, 0, v4
	s_delay_alu instid0(VALU_DEP_2)
	v_cndmask_b32_e32 v3, 0x7f800001, v3, vcc_lo
; %bb.13449:                            ;   in Loop: Header=BB6_12546 Depth=2
	s_or_b32 exec_lo, exec_lo, s42
.LBB6_13450:                            ;   in Loop: Header=BB6_12546 Depth=2
	s_delay_alu instid0(SALU_CYCLE_1)
	s_or_b32 exec_lo, exec_lo, s41
.LBB6_13451:                            ;   in Loop: Header=BB6_12546 Depth=2
	s_delay_alu instid0(SALU_CYCLE_1) | instskip(NEXT) | instid1(VALU_DEP_1)
	s_or_b32 exec_lo, exec_lo, s10
	v_dual_max_num_f32 v3, v3, v3 :: v_dual_max_num_f32 v1, v1, v1
	s_mov_b32 s10, 0
	s_delay_alu instid0(VALU_DEP_1)
	v_max_num_f32_e32 v1, v1, v3
.LBB6_13452:                            ;   in Loop: Header=BB6_12546 Depth=2
	s_and_b32 vcc_lo, exec_lo, s10
	s_cbranch_vccz .LBB6_13474
; %bb.13453:                            ;   in Loop: Header=BB6_12546 Depth=2
	v_dual_mov_b32 v3, 0 :: v_dual_mov_b32 v1, 0
	s_and_saveexec_b32 s10, s7
	s_cbranch_execz .LBB6_13463
; %bb.13454:                            ;   in Loop: Header=BB6_12546 Depth=2
	v_bfrev_b32_e32 v1, 1
	s_mov_b32 s7, exec_lo
	v_cmpx_ne_u16_e32 0xff80, v122
	s_cbranch_execz .LBB6_13462
; %bb.13455:                            ;   in Loop: Header=BB6_12546 Depth=2
	v_and_b32_e32 v1, 0x7c, v0
	v_and_b32_e32 v4, 3, v0
	s_delay_alu instid0(VALU_DEP_2) | instskip(SKIP_1) | instid1(SALU_CYCLE_1)
	v_cmp_ne_u32_e32 vcc_lo, 0x7c, v1
                                        ; implicit-def: $vgpr1
	s_and_saveexec_b32 s41, vcc_lo
	s_xor_b32 s41, exec_lo, s41
	s_cbranch_execz .LBB6_13459
; %bb.13456:                            ;   in Loop: Header=BB6_12546 Depth=2
	v_bfe_u32 v0, v0, 2, 5
	s_mov_b32 s42, exec_lo
	s_delay_alu instid0(VALU_DEP_1)
	v_cmpx_eq_u32_e32 0, v0
	s_cbranch_execz .LBB6_13458
; %bb.13457:                            ;   in Loop: Header=BB6_12546 Depth=2
	v_clz_i32_u32_e32 v0, v4
	s_delay_alu instid0(VALU_DEP_1) | instskip(SKIP_1) | instid1(VALU_DEP_2)
	v_min_u32_e32 v0, 32, v0
	v_mov_b32_e32 v123, v25
	v_subrev_nc_u32_e32 v1, 29, v0
	v_sub_nc_u32_e32 v0, 30, v0
	s_delay_alu instid0(VALU_DEP_2) | instskip(NEXT) | instid1(VALU_DEP_1)
	v_lshlrev_b64_e32 v[4:5], v1, v[122:123]
	v_and_b32_e32 v4, 3, v4
.LBB6_13458:                            ;   in Loop: Header=BB6_12546 Depth=2
	s_or_b32 exec_lo, exec_lo, s42
	v_bfe_i32 v1, v122, 0, 16
                                        ; implicit-def: $vgpr122
	s_delay_alu instid0(VALU_DEP_1) | instskip(NEXT) | instid1(VALU_DEP_1)
	v_and_b32_e32 v1, 0x80000000, v1
	v_lshl_add_u32 v0, v0, 23, v1
	s_delay_alu instid0(VALU_DEP_1) | instskip(NEXT) | instid1(VALU_DEP_1)
	v_lshl_or_b32 v0, v4, 21, v0
                                        ; implicit-def: $vgpr4
	v_add_nc_u32_e32 v1, 0x38000000, v0
.LBB6_13459:                            ;   in Loop: Header=BB6_12546 Depth=2
	s_and_not1_saveexec_b32 s41, s41
; %bb.13460:                            ;   in Loop: Header=BB6_12546 Depth=2
	v_cmp_lt_i16_e32 vcc_lo, -1, v122
	v_cndmask_b32_e32 v0, 0xff800000, v40, vcc_lo
	v_cmp_eq_u32_e32 vcc_lo, 0, v4
	s_delay_alu instid0(VALU_DEP_2)
	v_cndmask_b32_e32 v1, 0x7f800001, v0, vcc_lo
; %bb.13461:                            ;   in Loop: Header=BB6_12546 Depth=2
	s_or_b32 exec_lo, exec_lo, s41
.LBB6_13462:                            ;   in Loop: Header=BB6_12546 Depth=2
	s_delay_alu instid0(SALU_CYCLE_1)
	s_or_b32 exec_lo, exec_lo, s7
.LBB6_13463:                            ;   in Loop: Header=BB6_12546 Depth=2
	s_delay_alu instid0(SALU_CYCLE_1) | instskip(NEXT) | instid1(SALU_CYCLE_1)
	s_or_b32 exec_lo, exec_lo, s10
	s_mov_b32 s7, exec_lo
	v_cmpx_ne_u16_e32 0, v54
	s_cbranch_execz .LBB6_13473
; %bb.13464:                            ;   in Loop: Header=BB6_12546 Depth=2
	v_bfrev_b32_e32 v3, 1
	s_mov_b32 s10, exec_lo
	v_cmpx_ne_u16_e32 0xff80, v54
	s_cbranch_execz .LBB6_13472
; %bb.13465:                            ;   in Loop: Header=BB6_12546 Depth=2
	v_and_b32_e32 v3, 0x7c, v54
	v_and_b32_e32 v0, 3, v54
	s_delay_alu instid0(VALU_DEP_2) | instskip(SKIP_1) | instid1(SALU_CYCLE_1)
	v_cmp_ne_u32_e32 vcc_lo, 0x7c, v3
                                        ; implicit-def: $vgpr3
	s_and_saveexec_b32 s41, vcc_lo
	s_xor_b32 s41, exec_lo, s41
	s_cbranch_execz .LBB6_13469
; %bb.13466:                            ;   in Loop: Header=BB6_12546 Depth=2
	v_and_b32_e32 v3, 0xff, v54
	s_mov_b32 s42, exec_lo
	s_delay_alu instid0(VALU_DEP_1) | instskip(NEXT) | instid1(VALU_DEP_1)
	v_bfe_u32 v3, v3, 2, 5
	v_cmpx_eq_u32_e32 0, v3
	s_cbranch_execz .LBB6_13468
; %bb.13467:                            ;   in Loop: Header=BB6_12546 Depth=2
	v_clz_i32_u32_e32 v0, v0
	s_delay_alu instid0(VALU_DEP_1) | instskip(SKIP_1) | instid1(VALU_DEP_2)
	v_min_u32_e32 v0, 32, v0
	v_mov_b32_e32 v55, v25
	v_subrev_nc_u32_e32 v3, 29, v0
	s_delay_alu instid0(VALU_DEP_1) | instskip(SKIP_1) | instid1(VALU_DEP_2)
	v_lshlrev_b64_e32 v[4:5], v3, v[54:55]
	v_sub_nc_u32_e32 v3, 30, v0
	v_and_b32_e32 v0, 3, v4
.LBB6_13468:                            ;   in Loop: Header=BB6_12546 Depth=2
	s_or_b32 exec_lo, exec_lo, s42
	v_bfe_i32 v4, v54, 0, 16
                                        ; implicit-def: $vgpr54
	s_delay_alu instid0(VALU_DEP_1) | instskip(NEXT) | instid1(VALU_DEP_1)
	v_and_b32_e32 v4, 0x80000000, v4
	v_lshl_add_u32 v3, v3, 23, v4
	s_delay_alu instid0(VALU_DEP_1) | instskip(NEXT) | instid1(VALU_DEP_1)
	v_lshl_or_b32 v0, v0, 21, v3
	v_add_nc_u32_e32 v3, 0x38000000, v0
                                        ; implicit-def: $vgpr0
.LBB6_13469:                            ;   in Loop: Header=BB6_12546 Depth=2
	s_and_not1_saveexec_b32 s41, s41
; %bb.13470:                            ;   in Loop: Header=BB6_12546 Depth=2
	v_cmp_lt_i16_e32 vcc_lo, -1, v54
	v_cndmask_b32_e32 v3, 0xff800000, v40, vcc_lo
	v_cmp_eq_u32_e32 vcc_lo, 0, v0
	s_delay_alu instid0(VALU_DEP_2)
	v_cndmask_b32_e32 v3, 0x7f800001, v3, vcc_lo
; %bb.13471:                            ;   in Loop: Header=BB6_12546 Depth=2
	s_or_b32 exec_lo, exec_lo, s41
.LBB6_13472:                            ;   in Loop: Header=BB6_12546 Depth=2
	s_delay_alu instid0(SALU_CYCLE_1)
	s_or_b32 exec_lo, exec_lo, s10
.LBB6_13473:                            ;   in Loop: Header=BB6_12546 Depth=2
	s_delay_alu instid0(SALU_CYCLE_1) | instskip(NEXT) | instid1(VALU_DEP_1)
	s_or_b32 exec_lo, exec_lo, s7
	v_dual_max_num_f32 v0, v3, v3 :: v_dual_max_num_f32 v1, v1, v1
	s_delay_alu instid0(VALU_DEP_1)
	v_min_num_f32_e32 v1, v1, v0
.LBB6_13474:                            ;   in Loop: Header=BB6_12546 Depth=2
	s_delay_alu instid0(VALU_DEP_1) | instskip(SKIP_2) | instid1(VALU_DEP_2)
	v_and_b32_e32 v4, 0x7f800000, v1
	v_mov_b32_e32 v5, v25
	v_and_b32_e32 v24, 0x7fffff, v1
	v_cmp_ne_u64_e32 vcc_lo, 0x7f800000, v[4:5]
                                        ; implicit-def: $vgpr4
	s_and_saveexec_b32 s7, vcc_lo
	s_delay_alu instid0(SALU_CYCLE_1)
	s_xor_b32 s10, exec_lo, s7
	s_cbranch_execz .LBB6_13492
; %bb.13475:                            ;   in Loop: Header=BB6_12546 Depth=2
	v_and_b32_e32 v4, 0x7fffffff, v1
	v_dual_mov_b32 v5, v25 :: v_dual_lshrrev_b32 v0, 24, v1
	s_delay_alu instid0(VALU_DEP_1) | instskip(NEXT) | instid1(VALU_DEP_2)
	v_cmp_gt_u64_e32 vcc_lo, 0x47600001, v[4:5]
	v_and_b32_e32 v3, 0x80, v0
                                        ; implicit-def: $vgpr4
	s_and_saveexec_b32 s7, vcc_lo
	s_delay_alu instid0(SALU_CYCLE_1)
	s_xor_b32 s41, exec_lo, s7
	s_cbranch_execz .LBB6_13489
; %bb.13476:                            ;   in Loop: Header=BB6_12546 Depth=2
	v_mov_b32_e32 v4, 0
	s_mov_b32 s42, exec_lo
	v_cmpx_ne_u32_e32 0, v1
	s_cbranch_execz .LBB6_13488
; %bb.13477:                            ;   in Loop: Header=BB6_12546 Depth=2
	v_bfe_u32 v23, v1, 23, 8
	v_or_b32_e32 v4, 0x800000, v24
	s_delay_alu instid0(VALU_DEP_2) | instskip(SKIP_1) | instid1(VALU_DEP_2)
	v_sub_nc_u32_e32 v0, 0x71, v23
	v_cmp_gt_u32_e32 vcc_lo, 0x72, v23
	v_cndmask_b32_e32 v0, 0, v0, vcc_lo
	v_cmp_eq_u32_e32 vcc_lo, 0, v23
	s_delay_alu instid0(VALU_DEP_2) | instskip(NEXT) | instid1(VALU_DEP_1)
	v_cndmask_b32_e64 v27, v0, 0x70, vcc_lo
	v_dual_cndmask_b32 v24, v4, v24, vcc_lo :: v_dual_add_nc_u32 v0, 21, v27
	v_add_nc_u32_e32 v5, 20, v27
	s_delay_alu instid0(VALU_DEP_2) | instskip(NEXT) | instid1(VALU_DEP_2)
	v_lshlrev_b64_e64 v[0:1], v0, -1
	v_lshlrev_b64_e64 v[4:5], v5, 1
	s_delay_alu instid0(VALU_DEP_2) | instskip(NEXT) | instid1(VALU_DEP_3)
	v_bfi_b32 v31, v1, 0, 0
	v_bfi_b32 v30, v0, 0, v24
	v_lshrrev_b64 v[0:1], v27, v[24:25]
	s_delay_alu instid0(VALU_DEP_2) | instskip(NEXT) | instid1(VALU_DEP_2)
	v_cmp_eq_u64_e64 s7, v[30:31], v[4:5]
	v_mov_b64_e32 v[4:5], v[0:1]
	s_and_saveexec_b32 s43, s7
; %bb.13478:                            ;   in Loop: Header=BB6_12546 Depth=2
	v_bfe_u32 v24, v0, 21, 1
	s_delay_alu instid0(VALU_DEP_1) | instskip(NEXT) | instid1(VALU_DEP_1)
	v_add_nc_u64_e32 v[4:5], v[0:1], v[24:25]
	v_add_nc_u64_e32 v[4:5], -1, v[4:5]
; %bb.13479:                            ;   in Loop: Header=BB6_12546 Depth=2
	s_or_b32 exec_lo, exec_lo, s43
	v_add_nc_u32_e32 v1, 0xffffff81, v23
	v_lshrrev_b32_e32 v5, 23, v0
	s_mov_b32 s7, exec_lo
	s_delay_alu instid0(VALU_DEP_2) | instskip(NEXT) | instid1(VALU_DEP_1)
	v_cndmask_b32_e64 v1, v1, 0xffffff82, vcc_lo
	v_add3_u32 v23, v27, v1, v5
	v_and_b32_e32 v1, 0x1fffff, v4
                                        ; implicit-def: $vgpr5
	s_delay_alu instid0(VALU_DEP_1) | instskip(NEXT) | instid1(VALU_DEP_1)
	v_dual_add_nc_u32 v4, 14, v23 :: v_dual_add_nc_u32 v24, v1, v0
                                        ; implicit-def: $vgpr0_vgpr1
	v_cmpx_ne_u32_e32 0, v4
	s_xor_b32 s7, exec_lo, s7
; %bb.13480:                            ;   in Loop: Header=BB6_12546 Depth=2
	s_delay_alu instid0(VALU_DEP_2) | instskip(SKIP_1) | instid1(VALU_DEP_1)
	v_cmp_lt_u64_e32 vcc_lo, 0xffffff, v[24:25]
	v_add_nc_u32_e32 v0, 15, v23
	v_cndmask_b32_e32 v5, v4, v0, vcc_lo
	v_cndmask_b32_e64 v0, 0, 1, vcc_lo
	s_delay_alu instid0(VALU_DEP_1)
	v_lshrrev_b64 v[0:1], v0, v[24:25]
; %bb.13481:                            ;   in Loop: Header=BB6_12546 Depth=2
	s_and_not1_saveexec_b32 s7, s7
; %bb.13482:                            ;   in Loop: Header=BB6_12546 Depth=2
	v_mov_b64_e32 v[0:1], v[24:25]
	v_bfe_u32 v5, v24, 23, 1
; %bb.13483:                            ;   in Loop: Header=BB6_12546 Depth=2
	s_or_b32 exec_lo, exec_lo, s7
	s_delay_alu instid0(VALU_DEP_2) | instskip(NEXT) | instid1(VALU_DEP_2)
	v_lshrrev_b64 v[0:1], 21, v[0:1]
	v_cmp_gt_i32_e32 vcc_lo, 32, v5
	v_cmp_ne_u32_e64 s7, 0, v5
                                        ; implicit-def: $vgpr4
	s_delay_alu instid0(VALU_DEP_3) | instskip(NEXT) | instid1(VALU_DEP_1)
	v_dual_cndmask_b32 v1, 0, v1 :: v_dual_cndmask_b32 v0, 3, v0
	v_cmp_ne_u64_e32 vcc_lo, 0, v[0:1]
	s_or_b32 s7, s7, vcc_lo
	s_delay_alu instid0(SALU_CYCLE_1) | instskip(NEXT) | instid1(SALU_CYCLE_1)
	s_and_saveexec_b32 s43, s7
	s_xor_b32 s7, exec_lo, s43
; %bb.13484:                            ;   in Loop: Header=BB6_12546 Depth=2
	v_min_i32_e32 v1, 31, v5
	s_delay_alu instid0(VALU_DEP_1) | instskip(NEXT) | instid1(VALU_DEP_1)
	v_lshl_or_b32 v1, v1, 2, v3
                                        ; implicit-def: $vgpr3
	v_and_or_b32 v4, v0, 3, v1
; %bb.13485:                            ;   in Loop: Header=BB6_12546 Depth=2
	s_and_not1_saveexec_b32 s7, s7
; %bb.13486:                            ;   in Loop: Header=BB6_12546 Depth=2
	v_mov_b32_e32 v4, v3
; %bb.13487:                            ;   in Loop: Header=BB6_12546 Depth=2
	s_or_b32 exec_lo, exec_lo, s7
.LBB6_13488:                            ;   in Loop: Header=BB6_12546 Depth=2
	s_delay_alu instid0(SALU_CYCLE_1)
	s_or_b32 exec_lo, exec_lo, s42
                                        ; implicit-def: $vgpr3
.LBB6_13489:                            ;   in Loop: Header=BB6_12546 Depth=2
	s_and_not1_saveexec_b32 s7, s41
; %bb.13490:                            ;   in Loop: Header=BB6_12546 Depth=2
	v_or_b32_e32 v4, 0x7b, v3
; %bb.13491:                            ;   in Loop: Header=BB6_12546 Depth=2
	s_or_b32 exec_lo, exec_lo, s7
                                        ; implicit-def: $vgpr1
.LBB6_13492:                            ;   in Loop: Header=BB6_12546 Depth=2
	s_and_not1_saveexec_b32 s7, s10
	s_cbranch_execz .LBB6_13498
; %bb.13493:                            ;   in Loop: Header=BB6_12546 Depth=2
	s_mov_b32 s10, exec_lo
                                        ; implicit-def: $vgpr4
	v_cmpx_ne_u64_e32 0, v[24:25]
	s_xor_b32 s10, exec_lo, s10
; %bb.13494:                            ;   in Loop: Header=BB6_12546 Depth=2
	v_lshrrev_b32_e32 v0, 24, v1
                                        ; implicit-def: $vgpr1
	s_delay_alu instid0(VALU_DEP_1)
	v_or_b32_e32 v4, 0x7f, v0
; %bb.13495:                            ;   in Loop: Header=BB6_12546 Depth=2
	s_and_not1_saveexec_b32 s10, s10
; %bb.13496:                            ;   in Loop: Header=BB6_12546 Depth=2
	v_cmp_lt_i32_e32 vcc_lo, -1, v1
	v_cndmask_b32_e64 v4, -4, 0x7c, vcc_lo
; %bb.13497:                            ;   in Loop: Header=BB6_12546 Depth=2
	s_or_b32 exec_lo, exec_lo, s10
.LBB6_13498:                            ;   in Loop: Header=BB6_12546 Depth=2
	s_delay_alu instid0(SALU_CYCLE_1)
	s_or_b32 exec_lo, exec_lo, s7
	v_and_b32_e32 v0, 0xff, v120
	v_cmp_ne_u16_e64 s7, 0, v120
	s_and_not1_b32 vcc_lo, exec_lo, s14
	s_mov_b32 s10, -1
                                        ; implicit-def: $vgpr1
	s_cbranch_vccnz .LBB6_13520
; %bb.13499:                            ;   in Loop: Header=BB6_12546 Depth=2
	v_dual_mov_b32 v3, 0 :: v_dual_mov_b32 v1, 0
	s_and_saveexec_b32 s10, s7
	s_cbranch_execz .LBB6_13509
; %bb.13500:                            ;   in Loop: Header=BB6_12546 Depth=2
	v_bfrev_b32_e32 v1, 1
	s_mov_b32 s41, exec_lo
	v_cmpx_ne_u16_e32 0xff80, v120
	s_cbranch_execz .LBB6_13508
; %bb.13501:                            ;   in Loop: Header=BB6_12546 Depth=2
	v_and_b32_e32 v1, 0x7c, v0
	v_and_b32_e32 v5, 3, v0
	s_delay_alu instid0(VALU_DEP_2) | instskip(SKIP_1) | instid1(SALU_CYCLE_1)
	v_cmp_ne_u32_e32 vcc_lo, 0x7c, v1
                                        ; implicit-def: $vgpr1
	s_and_saveexec_b32 s42, vcc_lo
	s_xor_b32 s42, exec_lo, s42
	s_cbranch_execz .LBB6_13505
; %bb.13502:                            ;   in Loop: Header=BB6_12546 Depth=2
	v_bfe_u32 v1, v0, 2, 5
	s_mov_b32 s43, exec_lo
	s_delay_alu instid0(VALU_DEP_1)
	v_cmpx_eq_u32_e32 0, v1
	s_cbranch_execz .LBB6_13504
; %bb.13503:                            ;   in Loop: Header=BB6_12546 Depth=2
	v_clz_i32_u32_e32 v1, v5
	s_delay_alu instid0(VALU_DEP_1) | instskip(SKIP_1) | instid1(VALU_DEP_2)
	v_min_u32_e32 v1, 32, v1
	v_mov_b32_e32 v121, v25
	v_subrev_nc_u32_e32 v5, 29, v1
	v_sub_nc_u32_e32 v1, 30, v1
	s_delay_alu instid0(VALU_DEP_2) | instskip(NEXT) | instid1(VALU_DEP_1)
	v_lshlrev_b64_e32 v[30:31], v5, v[120:121]
	v_and_b32_e32 v5, 3, v30
.LBB6_13504:                            ;   in Loop: Header=BB6_12546 Depth=2
	s_or_b32 exec_lo, exec_lo, s43
	v_bfe_i32 v23, v120, 0, 16
	s_delay_alu instid0(VALU_DEP_1) | instskip(NEXT) | instid1(VALU_DEP_1)
	v_and_b32_e32 v23, 0x80000000, v23
	v_lshl_add_u32 v1, v1, 23, v23
	s_delay_alu instid0(VALU_DEP_1) | instskip(NEXT) | instid1(VALU_DEP_1)
	v_lshl_or_b32 v1, v5, 21, v1
                                        ; implicit-def: $vgpr5
	v_add_nc_u32_e32 v1, 0x38000000, v1
.LBB6_13505:                            ;   in Loop: Header=BB6_12546 Depth=2
	s_and_not1_saveexec_b32 s42, s42
; %bb.13506:                            ;   in Loop: Header=BB6_12546 Depth=2
	v_cmp_lt_i16_e32 vcc_lo, -1, v120
	v_cndmask_b32_e32 v1, 0xff800000, v40, vcc_lo
	v_cmp_eq_u32_e32 vcc_lo, 0, v5
	s_delay_alu instid0(VALU_DEP_2)
	v_cndmask_b32_e32 v1, 0x7f800001, v1, vcc_lo
; %bb.13507:                            ;   in Loop: Header=BB6_12546 Depth=2
	s_or_b32 exec_lo, exec_lo, s42
.LBB6_13508:                            ;   in Loop: Header=BB6_12546 Depth=2
	s_delay_alu instid0(SALU_CYCLE_1)
	s_or_b32 exec_lo, exec_lo, s41
.LBB6_13509:                            ;   in Loop: Header=BB6_12546 Depth=2
	s_delay_alu instid0(SALU_CYCLE_1) | instskip(NEXT) | instid1(SALU_CYCLE_1)
	s_or_b32 exec_lo, exec_lo, s10
	s_mov_b32 s10, exec_lo
	v_cmpx_ne_u16_e32 0, v2
	s_cbranch_execz .LBB6_13519
; %bb.13510:                            ;   in Loop: Header=BB6_12546 Depth=2
	v_bfrev_b32_e32 v3, 1
	s_mov_b32 s41, exec_lo
	v_cmpx_ne_u16_e32 0xff80, v2
	s_cbranch_execz .LBB6_13518
; %bb.13511:                            ;   in Loop: Header=BB6_12546 Depth=2
	v_and_b32_e32 v3, 0x7c, v2
	v_and_b32_e32 v5, 3, v2
	s_delay_alu instid0(VALU_DEP_2) | instskip(SKIP_1) | instid1(SALU_CYCLE_1)
	v_cmp_ne_u32_e32 vcc_lo, 0x7c, v3
                                        ; implicit-def: $vgpr3
	s_and_saveexec_b32 s42, vcc_lo
	s_xor_b32 s42, exec_lo, s42
	s_cbranch_execz .LBB6_13515
; %bb.13512:                            ;   in Loop: Header=BB6_12546 Depth=2
	v_and_b32_e32 v3, 0xff, v2
	s_mov_b32 s43, exec_lo
	s_delay_alu instid0(VALU_DEP_1) | instskip(NEXT) | instid1(VALU_DEP_1)
	v_bfe_u32 v3, v3, 2, 5
	v_cmpx_eq_u32_e32 0, v3
; %bb.13513:                            ;   in Loop: Header=BB6_12546 Depth=2
	v_clz_i32_u32_e32 v3, v5
	s_delay_alu instid0(VALU_DEP_1) | instskip(SKIP_1) | instid1(VALU_DEP_2)
	v_min_u32_e32 v5, 32, v3
	v_mov_b32_e32 v3, v25
	v_subrev_nc_u32_e32 v23, 29, v5
	s_delay_alu instid0(VALU_DEP_1) | instskip(NEXT) | instid1(VALU_DEP_1)
	v_lshlrev_b64_e32 v[30:31], v23, v[2:3]
	v_dual_sub_nc_u32 v3, 30, v5 :: v_dual_bitop2_b32 v5, 3, v30 bitop3:0x40
; %bb.13514:                            ;   in Loop: Header=BB6_12546 Depth=2
	s_or_b32 exec_lo, exec_lo, s43
	v_bfe_i32 v23, v2, 0, 16
	s_delay_alu instid0(VALU_DEP_1) | instskip(NEXT) | instid1(VALU_DEP_1)
	v_and_b32_e32 v23, 0x80000000, v23
	v_lshl_add_u32 v3, v3, 23, v23
	s_delay_alu instid0(VALU_DEP_1) | instskip(NEXT) | instid1(VALU_DEP_1)
	v_lshl_or_b32 v3, v5, 21, v3
                                        ; implicit-def: $vgpr5
	v_add_nc_u32_e32 v3, 0x38000000, v3
.LBB6_13515:                            ;   in Loop: Header=BB6_12546 Depth=2
	s_and_not1_saveexec_b32 s42, s42
; %bb.13516:                            ;   in Loop: Header=BB6_12546 Depth=2
	v_cmp_lt_i16_e32 vcc_lo, -1, v2
	v_cndmask_b32_e32 v3, 0xff800000, v40, vcc_lo
	v_cmp_eq_u32_e32 vcc_lo, 0, v5
	s_delay_alu instid0(VALU_DEP_2)
	v_cndmask_b32_e32 v3, 0x7f800001, v3, vcc_lo
; %bb.13517:                            ;   in Loop: Header=BB6_12546 Depth=2
	s_or_b32 exec_lo, exec_lo, s42
.LBB6_13518:                            ;   in Loop: Header=BB6_12546 Depth=2
	s_delay_alu instid0(SALU_CYCLE_1)
	s_or_b32 exec_lo, exec_lo, s41
.LBB6_13519:                            ;   in Loop: Header=BB6_12546 Depth=2
	s_delay_alu instid0(SALU_CYCLE_1) | instskip(NEXT) | instid1(VALU_DEP_1)
	s_or_b32 exec_lo, exec_lo, s10
	v_dual_max_num_f32 v3, v3, v3 :: v_dual_max_num_f32 v1, v1, v1
	s_mov_b32 s10, 0
	s_delay_alu instid0(VALU_DEP_1)
	v_max_num_f32_e32 v1, v1, v3
.LBB6_13520:                            ;   in Loop: Header=BB6_12546 Depth=2
	s_and_b32 vcc_lo, exec_lo, s10
	s_cbranch_vccz .LBB6_13542
; %bb.13521:                            ;   in Loop: Header=BB6_12546 Depth=2
	v_dual_mov_b32 v3, 0 :: v_dual_mov_b32 v1, 0
	s_and_saveexec_b32 s10, s7
	s_cbranch_execz .LBB6_13531
; %bb.13522:                            ;   in Loop: Header=BB6_12546 Depth=2
	v_bfrev_b32_e32 v1, 1
	s_mov_b32 s7, exec_lo
	v_cmpx_ne_u16_e32 0xff80, v120
	s_cbranch_execz .LBB6_13530
; %bb.13523:                            ;   in Loop: Header=BB6_12546 Depth=2
	v_and_b32_e32 v1, 0x7c, v0
	v_and_b32_e32 v5, 3, v0
	s_delay_alu instid0(VALU_DEP_2) | instskip(SKIP_1) | instid1(SALU_CYCLE_1)
	v_cmp_ne_u32_e32 vcc_lo, 0x7c, v1
                                        ; implicit-def: $vgpr1
	s_and_saveexec_b32 s41, vcc_lo
	s_xor_b32 s41, exec_lo, s41
	s_cbranch_execz .LBB6_13527
; %bb.13524:                            ;   in Loop: Header=BB6_12546 Depth=2
	v_bfe_u32 v0, v0, 2, 5
	s_mov_b32 s42, exec_lo
	s_delay_alu instid0(VALU_DEP_1)
	v_cmpx_eq_u32_e32 0, v0
	s_cbranch_execz .LBB6_13526
; %bb.13525:                            ;   in Loop: Header=BB6_12546 Depth=2
	v_clz_i32_u32_e32 v0, v5
	s_delay_alu instid0(VALU_DEP_1) | instskip(SKIP_1) | instid1(VALU_DEP_2)
	v_min_u32_e32 v0, 32, v0
	v_mov_b32_e32 v121, v25
	v_subrev_nc_u32_e32 v1, 29, v0
	v_sub_nc_u32_e32 v0, 30, v0
	s_delay_alu instid0(VALU_DEP_2) | instskip(NEXT) | instid1(VALU_DEP_1)
	v_lshlrev_b64_e32 v[30:31], v1, v[120:121]
	v_and_b32_e32 v5, 3, v30
.LBB6_13526:                            ;   in Loop: Header=BB6_12546 Depth=2
	s_or_b32 exec_lo, exec_lo, s42
	v_bfe_i32 v1, v120, 0, 16
                                        ; implicit-def: $vgpr120
	s_delay_alu instid0(VALU_DEP_1) | instskip(NEXT) | instid1(VALU_DEP_1)
	v_and_b32_e32 v1, 0x80000000, v1
	v_lshl_add_u32 v0, v0, 23, v1
	s_delay_alu instid0(VALU_DEP_1) | instskip(NEXT) | instid1(VALU_DEP_1)
	v_lshl_or_b32 v0, v5, 21, v0
                                        ; implicit-def: $vgpr5
	v_add_nc_u32_e32 v1, 0x38000000, v0
.LBB6_13527:                            ;   in Loop: Header=BB6_12546 Depth=2
	s_and_not1_saveexec_b32 s41, s41
; %bb.13528:                            ;   in Loop: Header=BB6_12546 Depth=2
	v_cmp_lt_i16_e32 vcc_lo, -1, v120
	v_cndmask_b32_e32 v0, 0xff800000, v40, vcc_lo
	v_cmp_eq_u32_e32 vcc_lo, 0, v5
	s_delay_alu instid0(VALU_DEP_2)
	v_cndmask_b32_e32 v1, 0x7f800001, v0, vcc_lo
; %bb.13529:                            ;   in Loop: Header=BB6_12546 Depth=2
	s_or_b32 exec_lo, exec_lo, s41
.LBB6_13530:                            ;   in Loop: Header=BB6_12546 Depth=2
	s_delay_alu instid0(SALU_CYCLE_1)
	s_or_b32 exec_lo, exec_lo, s7
.LBB6_13531:                            ;   in Loop: Header=BB6_12546 Depth=2
	s_delay_alu instid0(SALU_CYCLE_1) | instskip(NEXT) | instid1(SALU_CYCLE_1)
	s_or_b32 exec_lo, exec_lo, s10
	s_mov_b32 s7, exec_lo
	v_cmpx_ne_u16_e32 0, v2
	s_cbranch_execz .LBB6_13541
; %bb.13532:                            ;   in Loop: Header=BB6_12546 Depth=2
	v_bfrev_b32_e32 v3, 1
	s_mov_b32 s10, exec_lo
	v_cmpx_ne_u16_e32 0xff80, v2
	s_cbranch_execz .LBB6_13540
; %bb.13533:                            ;   in Loop: Header=BB6_12546 Depth=2
	v_and_b32_e32 v3, 0x7c, v2
	v_and_b32_e32 v0, 3, v2
	s_delay_alu instid0(VALU_DEP_2) | instskip(SKIP_1) | instid1(SALU_CYCLE_1)
	v_cmp_ne_u32_e32 vcc_lo, 0x7c, v3
                                        ; implicit-def: $vgpr3
	s_and_saveexec_b32 s41, vcc_lo
	s_xor_b32 s41, exec_lo, s41
	s_cbranch_execz .LBB6_13537
; %bb.13534:                            ;   in Loop: Header=BB6_12546 Depth=2
	v_and_b32_e32 v3, 0xff, v2
	s_mov_b32 s42, exec_lo
	s_delay_alu instid0(VALU_DEP_1) | instskip(NEXT) | instid1(VALU_DEP_1)
	v_bfe_u32 v3, v3, 2, 5
	v_cmpx_eq_u32_e32 0, v3
; %bb.13535:                            ;   in Loop: Header=BB6_12546 Depth=2
	v_clz_i32_u32_e32 v0, v0
	v_mov_b32_e32 v3, v25
	s_delay_alu instid0(VALU_DEP_2) | instskip(NEXT) | instid1(VALU_DEP_1)
	v_min_u32_e32 v0, 32, v0
	v_subrev_nc_u32_e32 v5, 29, v0
	s_delay_alu instid0(VALU_DEP_1) | instskip(NEXT) | instid1(VALU_DEP_1)
	v_lshlrev_b64_e32 v[30:31], v5, v[2:3]
	v_dual_sub_nc_u32 v3, 30, v0 :: v_dual_bitop2_b32 v0, 3, v30 bitop3:0x40
; %bb.13536:                            ;   in Loop: Header=BB6_12546 Depth=2
	s_or_b32 exec_lo, exec_lo, s42
	v_bfe_i32 v2, v2, 0, 16
	s_delay_alu instid0(VALU_DEP_1) | instskip(NEXT) | instid1(VALU_DEP_1)
	v_and_b32_e32 v2, 0x80000000, v2
	v_lshl_add_u32 v2, v3, 23, v2
	s_delay_alu instid0(VALU_DEP_1) | instskip(NEXT) | instid1(VALU_DEP_1)
	v_lshl_or_b32 v0, v0, 21, v2
                                        ; implicit-def: $vgpr2
	v_add_nc_u32_e32 v3, 0x38000000, v0
                                        ; implicit-def: $vgpr0
.LBB6_13537:                            ;   in Loop: Header=BB6_12546 Depth=2
	s_and_not1_saveexec_b32 s41, s41
; %bb.13538:                            ;   in Loop: Header=BB6_12546 Depth=2
	v_cmp_lt_i16_e32 vcc_lo, -1, v2
	v_cndmask_b32_e32 v2, 0xff800000, v40, vcc_lo
	v_cmp_eq_u32_e32 vcc_lo, 0, v0
	s_delay_alu instid0(VALU_DEP_2)
	v_cndmask_b32_e32 v3, 0x7f800001, v2, vcc_lo
; %bb.13539:                            ;   in Loop: Header=BB6_12546 Depth=2
	s_or_b32 exec_lo, exec_lo, s41
.LBB6_13540:                            ;   in Loop: Header=BB6_12546 Depth=2
	s_delay_alu instid0(SALU_CYCLE_1)
	s_or_b32 exec_lo, exec_lo, s10
.LBB6_13541:                            ;   in Loop: Header=BB6_12546 Depth=2
	s_delay_alu instid0(SALU_CYCLE_1) | instskip(NEXT) | instid1(VALU_DEP_1)
	s_or_b32 exec_lo, exec_lo, s7
	v_dual_max_num_f32 v0, v3, v3 :: v_dual_max_num_f32 v1, v1, v1
	s_delay_alu instid0(VALU_DEP_1)
	v_min_num_f32_e32 v1, v1, v0
.LBB6_13542:                            ;   in Loop: Header=BB6_12546 Depth=2
	s_delay_alu instid0(VALU_DEP_1) | instskip(SKIP_3) | instid1(VALU_DEP_2)
	v_and_b32_e32 v2, 0x7f800000, v1
	v_mov_b32_e32 v3, v25
	v_and_b32_e32 v24, 0x7fffff, v1
                                        ; implicit-def: $vgpr5
	s_mov_b32 s7, exec_lo
	v_cmpx_ne_u64_e32 0x7f800000, v[2:3]
	s_xor_b32 s10, exec_lo, s7
	s_cbranch_execz .LBB6_13560
; %bb.13543:                            ;   in Loop: Header=BB6_12546 Depth=2
	v_dual_mov_b32 v3, v25 :: v_dual_lshrrev_b32 v0, 24, v1
	v_and_b32_e32 v2, 0x7fffffff, v1
                                        ; implicit-def: $vgpr5
	s_mov_b32 s7, exec_lo
	s_delay_alu instid0(VALU_DEP_2) | instskip(NEXT) | instid1(VALU_DEP_2)
	v_and_b32_e32 v23, 0x80, v0
	v_cmpx_gt_u64_e32 0x47600001, v[2:3]
	s_xor_b32 s41, exec_lo, s7
	s_cbranch_execz .LBB6_13557
; %bb.13544:                            ;   in Loop: Header=BB6_12546 Depth=2
	v_mov_b32_e32 v5, 0
	s_mov_b32 s42, exec_lo
	v_cmpx_ne_u32_e32 0, v1
	s_cbranch_execz .LBB6_13556
; %bb.13545:                            ;   in Loop: Header=BB6_12546 Depth=2
	v_bfe_u32 v5, v1, 23, 8
	v_or_b32_e32 v2, 0x800000, v24
	s_delay_alu instid0(VALU_DEP_2) | instskip(SKIP_1) | instid1(VALU_DEP_2)
	v_sub_nc_u32_e32 v0, 0x71, v5
	v_cmp_gt_u32_e32 vcc_lo, 0x72, v5
	v_cndmask_b32_e32 v0, 0, v0, vcc_lo
	v_cmp_eq_u32_e32 vcc_lo, 0, v5
	s_delay_alu instid0(VALU_DEP_2) | instskip(NEXT) | instid1(VALU_DEP_1)
	v_cndmask_b32_e64 v27, v0, 0x70, vcc_lo
	v_dual_cndmask_b32 v24, v2, v24, vcc_lo :: v_dual_add_nc_u32 v0, 21, v27
	v_add_nc_u32_e32 v3, 20, v27
	s_delay_alu instid0(VALU_DEP_2) | instskip(NEXT) | instid1(VALU_DEP_2)
	v_lshlrev_b64_e64 v[0:1], v0, -1
	v_lshlrev_b64_e64 v[2:3], v3, 1
	s_delay_alu instid0(VALU_DEP_2) | instskip(NEXT) | instid1(VALU_DEP_3)
	v_bfi_b32 v31, v1, 0, 0
	v_bfi_b32 v30, v0, 0, v24
	v_lshrrev_b64 v[0:1], v27, v[24:25]
	s_delay_alu instid0(VALU_DEP_2) | instskip(NEXT) | instid1(VALU_DEP_2)
	v_cmp_eq_u64_e64 s7, v[30:31], v[2:3]
	v_mov_b64_e32 v[2:3], v[0:1]
	s_and_saveexec_b32 s43, s7
; %bb.13546:                            ;   in Loop: Header=BB6_12546 Depth=2
	v_bfe_u32 v24, v0, 21, 1
	s_delay_alu instid0(VALU_DEP_1) | instskip(NEXT) | instid1(VALU_DEP_1)
	v_add_nc_u64_e32 v[2:3], v[0:1], v[24:25]
	v_add_nc_u64_e32 v[2:3], -1, v[2:3]
; %bb.13547:                            ;   in Loop: Header=BB6_12546 Depth=2
	s_or_b32 exec_lo, exec_lo, s43
	v_add_nc_u32_e32 v1, 0xffffff81, v5
	v_lshrrev_b32_e32 v3, 23, v0
	s_mov_b32 s7, exec_lo
	s_delay_alu instid0(VALU_DEP_2) | instskip(NEXT) | instid1(VALU_DEP_1)
	v_cndmask_b32_e64 v1, v1, 0xffffff82, vcc_lo
	v_add3_u32 v3, v27, v1, v3
	v_and_b32_e32 v1, 0x1fffff, v2
                                        ; implicit-def: $vgpr2
	s_delay_alu instid0(VALU_DEP_1) | instskip(NEXT) | instid1(VALU_DEP_1)
	v_dual_add_nc_u32 v5, 14, v3 :: v_dual_add_nc_u32 v24, v1, v0
                                        ; implicit-def: $vgpr0_vgpr1
	v_cmpx_ne_u32_e32 0, v5
	s_xor_b32 s7, exec_lo, s7
; %bb.13548:                            ;   in Loop: Header=BB6_12546 Depth=2
	s_delay_alu instid0(VALU_DEP_2) | instskip(SKIP_1) | instid1(VALU_DEP_1)
	v_cmp_lt_u64_e32 vcc_lo, 0xffffff, v[24:25]
	v_add_nc_u32_e32 v0, 15, v3
	v_cndmask_b32_e32 v2, v5, v0, vcc_lo
	v_cndmask_b32_e64 v0, 0, 1, vcc_lo
	s_delay_alu instid0(VALU_DEP_1)
	v_lshrrev_b64 v[0:1], v0, v[24:25]
; %bb.13549:                            ;   in Loop: Header=BB6_12546 Depth=2
	s_and_not1_saveexec_b32 s7, s7
; %bb.13550:                            ;   in Loop: Header=BB6_12546 Depth=2
	v_mov_b64_e32 v[0:1], v[24:25]
	v_bfe_u32 v2, v24, 23, 1
; %bb.13551:                            ;   in Loop: Header=BB6_12546 Depth=2
	s_or_b32 exec_lo, exec_lo, s7
	s_delay_alu instid0(VALU_DEP_2) | instskip(NEXT) | instid1(VALU_DEP_2)
	v_lshrrev_b64 v[0:1], 21, v[0:1]
	v_cmp_gt_i32_e32 vcc_lo, 32, v2
	v_cmp_ne_u32_e64 s7, 0, v2
                                        ; implicit-def: $vgpr5
	s_delay_alu instid0(VALU_DEP_3) | instskip(NEXT) | instid1(VALU_DEP_1)
	v_dual_cndmask_b32 v1, 0, v1 :: v_dual_cndmask_b32 v0, 3, v0
	v_cmp_ne_u64_e32 vcc_lo, 0, v[0:1]
	s_or_b32 s7, s7, vcc_lo
	s_delay_alu instid0(SALU_CYCLE_1) | instskip(NEXT) | instid1(SALU_CYCLE_1)
	s_and_saveexec_b32 s43, s7
	s_xor_b32 s7, exec_lo, s43
; %bb.13552:                            ;   in Loop: Header=BB6_12546 Depth=2
	v_min_i32_e32 v1, 31, v2
	s_delay_alu instid0(VALU_DEP_1) | instskip(NEXT) | instid1(VALU_DEP_1)
	v_lshl_or_b32 v1, v1, 2, v23
                                        ; implicit-def: $vgpr23
	v_and_or_b32 v5, v0, 3, v1
; %bb.13553:                            ;   in Loop: Header=BB6_12546 Depth=2
	s_and_not1_saveexec_b32 s7, s7
; %bb.13554:                            ;   in Loop: Header=BB6_12546 Depth=2
	v_mov_b32_e32 v5, v23
; %bb.13555:                            ;   in Loop: Header=BB6_12546 Depth=2
	s_or_b32 exec_lo, exec_lo, s7
.LBB6_13556:                            ;   in Loop: Header=BB6_12546 Depth=2
	s_delay_alu instid0(SALU_CYCLE_1)
	s_or_b32 exec_lo, exec_lo, s42
                                        ; implicit-def: $vgpr23
.LBB6_13557:                            ;   in Loop: Header=BB6_12546 Depth=2
	s_and_not1_saveexec_b32 s7, s41
; %bb.13558:                            ;   in Loop: Header=BB6_12546 Depth=2
	v_or_b32_e32 v5, 0x7b, v23
; %bb.13559:                            ;   in Loop: Header=BB6_12546 Depth=2
	s_or_b32 exec_lo, exec_lo, s7
                                        ; implicit-def: $vgpr1
.LBB6_13560:                            ;   in Loop: Header=BB6_12546 Depth=2
	s_and_not1_saveexec_b32 s7, s10
	s_cbranch_execz .LBB6_13566
; %bb.13561:                            ;   in Loop: Header=BB6_12546 Depth=2
	s_mov_b32 s10, exec_lo
                                        ; implicit-def: $vgpr5
	v_cmpx_ne_u64_e32 0, v[24:25]
	s_xor_b32 s10, exec_lo, s10
; %bb.13562:                            ;   in Loop: Header=BB6_12546 Depth=2
	v_lshrrev_b32_e32 v0, 24, v1
                                        ; implicit-def: $vgpr1
	s_delay_alu instid0(VALU_DEP_1)
	v_or_b32_e32 v5, 0x7f, v0
; %bb.13563:                            ;   in Loop: Header=BB6_12546 Depth=2
	s_and_not1_saveexec_b32 s10, s10
; %bb.13564:                            ;   in Loop: Header=BB6_12546 Depth=2
	v_cmp_lt_i32_e32 vcc_lo, -1, v1
	v_cndmask_b32_e64 v5, -4, 0x7c, vcc_lo
; %bb.13565:                            ;   in Loop: Header=BB6_12546 Depth=2
	s_or_b32 exec_lo, exec_lo, s10
.LBB6_13566:                            ;   in Loop: Header=BB6_12546 Depth=2
	s_delay_alu instid0(SALU_CYCLE_1)
	s_or_b32 exec_lo, exec_lo, s7
	v_and_b32_e32 v0, 0xff, v110
	v_cmp_ne_u16_e64 s7, 0, v110
	s_and_not1_b32 vcc_lo, exec_lo, s14
	s_mov_b32 s10, -1
                                        ; implicit-def: $vgpr1
	s_cbranch_vccnz .LBB6_13588
; %bb.13567:                            ;   in Loop: Header=BB6_12546 Depth=2
	v_dual_mov_b32 v2, 0 :: v_dual_mov_b32 v1, 0
	s_and_saveexec_b32 s10, s7
	s_cbranch_execz .LBB6_13577
; %bb.13568:                            ;   in Loop: Header=BB6_12546 Depth=2
	v_bfrev_b32_e32 v1, 1
	s_mov_b32 s41, exec_lo
	v_cmpx_ne_u16_e32 0xff80, v110
	s_cbranch_execz .LBB6_13576
; %bb.13569:                            ;   in Loop: Header=BB6_12546 Depth=2
	v_and_b32_e32 v1, 0x7c, v0
	v_and_b32_e32 v3, 3, v0
	s_delay_alu instid0(VALU_DEP_2) | instskip(SKIP_1) | instid1(SALU_CYCLE_1)
	v_cmp_ne_u32_e32 vcc_lo, 0x7c, v1
                                        ; implicit-def: $vgpr1
	s_and_saveexec_b32 s42, vcc_lo
	s_xor_b32 s42, exec_lo, s42
	s_cbranch_execz .LBB6_13573
; %bb.13570:                            ;   in Loop: Header=BB6_12546 Depth=2
	v_bfe_u32 v1, v0, 2, 5
	s_mov_b32 s43, exec_lo
	s_delay_alu instid0(VALU_DEP_1)
	v_cmpx_eq_u32_e32 0, v1
	s_cbranch_execz .LBB6_13572
; %bb.13571:                            ;   in Loop: Header=BB6_12546 Depth=2
	v_clz_i32_u32_e32 v1, v3
	s_delay_alu instid0(VALU_DEP_1) | instskip(SKIP_1) | instid1(VALU_DEP_2)
	v_min_u32_e32 v1, 32, v1
	v_mov_b32_e32 v111, v25
	v_subrev_nc_u32_e32 v3, 29, v1
	v_sub_nc_u32_e32 v1, 30, v1
	s_delay_alu instid0(VALU_DEP_2) | instskip(NEXT) | instid1(VALU_DEP_1)
	v_lshlrev_b64_e32 v[30:31], v3, v[110:111]
	v_and_b32_e32 v3, 3, v30
.LBB6_13572:                            ;   in Loop: Header=BB6_12546 Depth=2
	s_or_b32 exec_lo, exec_lo, s43
	v_bfe_i32 v23, v110, 0, 16
	s_delay_alu instid0(VALU_DEP_1) | instskip(NEXT) | instid1(VALU_DEP_1)
	v_and_b32_e32 v23, 0x80000000, v23
	v_lshl_add_u32 v1, v1, 23, v23
	s_delay_alu instid0(VALU_DEP_1) | instskip(NEXT) | instid1(VALU_DEP_1)
	v_lshl_or_b32 v1, v3, 21, v1
                                        ; implicit-def: $vgpr3
	v_add_nc_u32_e32 v1, 0x38000000, v1
.LBB6_13573:                            ;   in Loop: Header=BB6_12546 Depth=2
	s_and_not1_saveexec_b32 s42, s42
; %bb.13574:                            ;   in Loop: Header=BB6_12546 Depth=2
	v_cmp_lt_i16_e32 vcc_lo, -1, v110
	v_cndmask_b32_e32 v1, 0xff800000, v40, vcc_lo
	v_cmp_eq_u32_e32 vcc_lo, 0, v3
	s_delay_alu instid0(VALU_DEP_2)
	v_cndmask_b32_e32 v1, 0x7f800001, v1, vcc_lo
; %bb.13575:                            ;   in Loop: Header=BB6_12546 Depth=2
	s_or_b32 exec_lo, exec_lo, s42
.LBB6_13576:                            ;   in Loop: Header=BB6_12546 Depth=2
	s_delay_alu instid0(SALU_CYCLE_1)
	s_or_b32 exec_lo, exec_lo, s41
.LBB6_13577:                            ;   in Loop: Header=BB6_12546 Depth=2
	s_delay_alu instid0(SALU_CYCLE_1) | instskip(NEXT) | instid1(SALU_CYCLE_1)
	s_or_b32 exec_lo, exec_lo, s10
	s_mov_b32 s10, exec_lo
	v_cmpx_ne_u16_e32 0, v108
	s_cbranch_execz .LBB6_13587
; %bb.13578:                            ;   in Loop: Header=BB6_12546 Depth=2
	v_bfrev_b32_e32 v2, 1
	s_mov_b32 s41, exec_lo
	v_cmpx_ne_u16_e32 0xff80, v108
	s_cbranch_execz .LBB6_13586
; %bb.13579:                            ;   in Loop: Header=BB6_12546 Depth=2
	v_and_b32_e32 v2, 0x7c, v108
	v_and_b32_e32 v3, 3, v108
	s_delay_alu instid0(VALU_DEP_2) | instskip(SKIP_1) | instid1(SALU_CYCLE_1)
	v_cmp_ne_u32_e32 vcc_lo, 0x7c, v2
                                        ; implicit-def: $vgpr2
	s_and_saveexec_b32 s42, vcc_lo
	s_xor_b32 s42, exec_lo, s42
	s_cbranch_execz .LBB6_13583
; %bb.13580:                            ;   in Loop: Header=BB6_12546 Depth=2
	v_and_b32_e32 v2, 0xff, v108
	s_mov_b32 s43, exec_lo
	s_delay_alu instid0(VALU_DEP_1) | instskip(NEXT) | instid1(VALU_DEP_1)
	v_bfe_u32 v2, v2, 2, 5
	v_cmpx_eq_u32_e32 0, v2
	s_cbranch_execz .LBB6_13582
; %bb.13581:                            ;   in Loop: Header=BB6_12546 Depth=2
	v_clz_i32_u32_e32 v2, v3
	s_delay_alu instid0(VALU_DEP_1) | instskip(SKIP_1) | instid1(VALU_DEP_2)
	v_min_u32_e32 v2, 32, v2
	v_mov_b32_e32 v109, v25
	v_subrev_nc_u32_e32 v3, 29, v2
	v_sub_nc_u32_e32 v2, 30, v2
	s_delay_alu instid0(VALU_DEP_2) | instskip(NEXT) | instid1(VALU_DEP_1)
	v_lshlrev_b64_e32 v[30:31], v3, v[108:109]
	v_and_b32_e32 v3, 3, v30
.LBB6_13582:                            ;   in Loop: Header=BB6_12546 Depth=2
	s_or_b32 exec_lo, exec_lo, s43
	v_bfe_i32 v23, v108, 0, 16
	s_delay_alu instid0(VALU_DEP_1) | instskip(NEXT) | instid1(VALU_DEP_1)
	v_and_b32_e32 v23, 0x80000000, v23
	v_lshl_add_u32 v2, v2, 23, v23
	s_delay_alu instid0(VALU_DEP_1) | instskip(NEXT) | instid1(VALU_DEP_1)
	v_lshl_or_b32 v2, v3, 21, v2
                                        ; implicit-def: $vgpr3
	v_add_nc_u32_e32 v2, 0x38000000, v2
.LBB6_13583:                            ;   in Loop: Header=BB6_12546 Depth=2
	s_and_not1_saveexec_b32 s42, s42
; %bb.13584:                            ;   in Loop: Header=BB6_12546 Depth=2
	v_cmp_lt_i16_e32 vcc_lo, -1, v108
	v_cndmask_b32_e32 v2, 0xff800000, v40, vcc_lo
	v_cmp_eq_u32_e32 vcc_lo, 0, v3
	s_delay_alu instid0(VALU_DEP_2)
	v_cndmask_b32_e32 v2, 0x7f800001, v2, vcc_lo
; %bb.13585:                            ;   in Loop: Header=BB6_12546 Depth=2
	s_or_b32 exec_lo, exec_lo, s42
.LBB6_13586:                            ;   in Loop: Header=BB6_12546 Depth=2
	s_delay_alu instid0(SALU_CYCLE_1)
	s_or_b32 exec_lo, exec_lo, s41
.LBB6_13587:                            ;   in Loop: Header=BB6_12546 Depth=2
	s_delay_alu instid0(SALU_CYCLE_1) | instskip(NEXT) | instid1(VALU_DEP_1)
	s_or_b32 exec_lo, exec_lo, s10
	v_dual_max_num_f32 v2, v2, v2 :: v_dual_max_num_f32 v1, v1, v1
	s_mov_b32 s10, 0
	s_delay_alu instid0(VALU_DEP_1)
	v_max_num_f32_e32 v1, v1, v2
.LBB6_13588:                            ;   in Loop: Header=BB6_12546 Depth=2
	s_and_b32 vcc_lo, exec_lo, s10
	s_cbranch_vccz .LBB6_13610
; %bb.13589:                            ;   in Loop: Header=BB6_12546 Depth=2
	v_dual_mov_b32 v2, 0 :: v_dual_mov_b32 v1, 0
	s_and_saveexec_b32 s10, s7
	s_cbranch_execz .LBB6_13599
; %bb.13590:                            ;   in Loop: Header=BB6_12546 Depth=2
	v_bfrev_b32_e32 v1, 1
	s_mov_b32 s7, exec_lo
	v_cmpx_ne_u16_e32 0xff80, v110
	s_cbranch_execz .LBB6_13598
; %bb.13591:                            ;   in Loop: Header=BB6_12546 Depth=2
	v_and_b32_e32 v1, 0x7c, v0
	v_and_b32_e32 v3, 3, v0
	s_delay_alu instid0(VALU_DEP_2) | instskip(SKIP_1) | instid1(SALU_CYCLE_1)
	v_cmp_ne_u32_e32 vcc_lo, 0x7c, v1
                                        ; implicit-def: $vgpr1
	s_and_saveexec_b32 s41, vcc_lo
	s_xor_b32 s41, exec_lo, s41
	s_cbranch_execz .LBB6_13595
; %bb.13592:                            ;   in Loop: Header=BB6_12546 Depth=2
	v_bfe_u32 v0, v0, 2, 5
	s_mov_b32 s42, exec_lo
	s_delay_alu instid0(VALU_DEP_1)
	v_cmpx_eq_u32_e32 0, v0
	s_cbranch_execz .LBB6_13594
; %bb.13593:                            ;   in Loop: Header=BB6_12546 Depth=2
	v_clz_i32_u32_e32 v0, v3
	s_delay_alu instid0(VALU_DEP_1) | instskip(SKIP_1) | instid1(VALU_DEP_2)
	v_min_u32_e32 v0, 32, v0
	v_mov_b32_e32 v111, v25
	v_subrev_nc_u32_e32 v1, 29, v0
	v_sub_nc_u32_e32 v0, 30, v0
	s_delay_alu instid0(VALU_DEP_2) | instskip(NEXT) | instid1(VALU_DEP_1)
	v_lshlrev_b64_e32 v[30:31], v1, v[110:111]
	v_and_b32_e32 v3, 3, v30
.LBB6_13594:                            ;   in Loop: Header=BB6_12546 Depth=2
	s_or_b32 exec_lo, exec_lo, s42
	v_bfe_i32 v1, v110, 0, 16
                                        ; implicit-def: $vgpr110
	s_delay_alu instid0(VALU_DEP_1) | instskip(NEXT) | instid1(VALU_DEP_1)
	v_and_b32_e32 v1, 0x80000000, v1
	v_lshl_add_u32 v0, v0, 23, v1
	s_delay_alu instid0(VALU_DEP_1) | instskip(NEXT) | instid1(VALU_DEP_1)
	v_lshl_or_b32 v0, v3, 21, v0
                                        ; implicit-def: $vgpr3
	v_add_nc_u32_e32 v1, 0x38000000, v0
.LBB6_13595:                            ;   in Loop: Header=BB6_12546 Depth=2
	s_and_not1_saveexec_b32 s41, s41
; %bb.13596:                            ;   in Loop: Header=BB6_12546 Depth=2
	v_cmp_lt_i16_e32 vcc_lo, -1, v110
	v_cndmask_b32_e32 v0, 0xff800000, v40, vcc_lo
	v_cmp_eq_u32_e32 vcc_lo, 0, v3
	s_delay_alu instid0(VALU_DEP_2)
	v_cndmask_b32_e32 v1, 0x7f800001, v0, vcc_lo
; %bb.13597:                            ;   in Loop: Header=BB6_12546 Depth=2
	s_or_b32 exec_lo, exec_lo, s41
.LBB6_13598:                            ;   in Loop: Header=BB6_12546 Depth=2
	s_delay_alu instid0(SALU_CYCLE_1)
	s_or_b32 exec_lo, exec_lo, s7
.LBB6_13599:                            ;   in Loop: Header=BB6_12546 Depth=2
	s_delay_alu instid0(SALU_CYCLE_1) | instskip(NEXT) | instid1(SALU_CYCLE_1)
	s_or_b32 exec_lo, exec_lo, s10
	s_mov_b32 s7, exec_lo
	v_cmpx_ne_u16_e32 0, v108
	s_cbranch_execz .LBB6_13609
; %bb.13600:                            ;   in Loop: Header=BB6_12546 Depth=2
	v_bfrev_b32_e32 v2, 1
	s_mov_b32 s10, exec_lo
	v_cmpx_ne_u16_e32 0xff80, v108
	s_cbranch_execz .LBB6_13608
; %bb.13601:                            ;   in Loop: Header=BB6_12546 Depth=2
	v_and_b32_e32 v2, 0x7c, v108
	v_and_b32_e32 v0, 3, v108
	s_delay_alu instid0(VALU_DEP_2) | instskip(SKIP_1) | instid1(SALU_CYCLE_1)
	v_cmp_ne_u32_e32 vcc_lo, 0x7c, v2
                                        ; implicit-def: $vgpr2
	s_and_saveexec_b32 s41, vcc_lo
	s_xor_b32 s41, exec_lo, s41
	s_cbranch_execz .LBB6_13605
; %bb.13602:                            ;   in Loop: Header=BB6_12546 Depth=2
	v_and_b32_e32 v2, 0xff, v108
	s_mov_b32 s42, exec_lo
	s_delay_alu instid0(VALU_DEP_1) | instskip(NEXT) | instid1(VALU_DEP_1)
	v_bfe_u32 v2, v2, 2, 5
	v_cmpx_eq_u32_e32 0, v2
; %bb.13603:                            ;   in Loop: Header=BB6_12546 Depth=2
	v_clz_i32_u32_e32 v0, v0
	s_delay_alu instid0(VALU_DEP_1) | instskip(SKIP_1) | instid1(VALU_DEP_2)
	v_min_u32_e32 v0, 32, v0
	v_mov_b32_e32 v109, v25
	v_subrev_nc_u32_e32 v2, 29, v0
	s_delay_alu instid0(VALU_DEP_1) | instskip(NEXT) | instid1(VALU_DEP_1)
	v_lshlrev_b64_e32 v[30:31], v2, v[108:109]
	v_dual_sub_nc_u32 v2, 30, v0 :: v_dual_bitop2_b32 v0, 3, v30 bitop3:0x40
; %bb.13604:                            ;   in Loop: Header=BB6_12546 Depth=2
	s_or_b32 exec_lo, exec_lo, s42
	v_bfe_i32 v3, v108, 0, 16
                                        ; implicit-def: $vgpr108
	s_delay_alu instid0(VALU_DEP_1) | instskip(NEXT) | instid1(VALU_DEP_1)
	v_and_b32_e32 v3, 0x80000000, v3
	v_lshl_add_u32 v2, v2, 23, v3
	s_delay_alu instid0(VALU_DEP_1) | instskip(NEXT) | instid1(VALU_DEP_1)
	v_lshl_or_b32 v0, v0, 21, v2
	v_add_nc_u32_e32 v2, 0x38000000, v0
                                        ; implicit-def: $vgpr0
.LBB6_13605:                            ;   in Loop: Header=BB6_12546 Depth=2
	s_and_not1_saveexec_b32 s41, s41
; %bb.13606:                            ;   in Loop: Header=BB6_12546 Depth=2
	v_cmp_lt_i16_e32 vcc_lo, -1, v108
	v_cndmask_b32_e32 v2, 0xff800000, v40, vcc_lo
	v_cmp_eq_u32_e32 vcc_lo, 0, v0
	s_delay_alu instid0(VALU_DEP_2)
	v_cndmask_b32_e32 v2, 0x7f800001, v2, vcc_lo
; %bb.13607:                            ;   in Loop: Header=BB6_12546 Depth=2
	s_or_b32 exec_lo, exec_lo, s41
.LBB6_13608:                            ;   in Loop: Header=BB6_12546 Depth=2
	s_delay_alu instid0(SALU_CYCLE_1)
	s_or_b32 exec_lo, exec_lo, s10
.LBB6_13609:                            ;   in Loop: Header=BB6_12546 Depth=2
	s_delay_alu instid0(SALU_CYCLE_1) | instskip(NEXT) | instid1(VALU_DEP_1)
	s_or_b32 exec_lo, exec_lo, s7
	v_dual_max_num_f32 v0, v2, v2 :: v_dual_max_num_f32 v1, v1, v1
	s_delay_alu instid0(VALU_DEP_1)
	v_min_num_f32_e32 v1, v1, v0
.LBB6_13610:                            ;   in Loop: Header=BB6_12546 Depth=2
	s_delay_alu instid0(VALU_DEP_1) | instskip(SKIP_3) | instid1(VALU_DEP_2)
	v_and_b32_e32 v2, 0x7f800000, v1
	v_mov_b32_e32 v3, v25
	v_and_b32_e32 v24, 0x7fffff, v1
                                        ; implicit-def: $vgpr30
	s_mov_b32 s7, exec_lo
	v_cmpx_ne_u64_e32 0x7f800000, v[2:3]
	s_xor_b32 s10, exec_lo, s7
	s_cbranch_execz .LBB6_13628
; %bb.13611:                            ;   in Loop: Header=BB6_12546 Depth=2
	v_dual_mov_b32 v3, v25 :: v_dual_lshrrev_b32 v0, 24, v1
	v_and_b32_e32 v2, 0x7fffffff, v1
                                        ; implicit-def: $vgpr30
	s_mov_b32 s7, exec_lo
	s_delay_alu instid0(VALU_DEP_2) | instskip(NEXT) | instid1(VALU_DEP_2)
	v_and_b32_e32 v23, 0x80, v0
	v_cmpx_gt_u64_e32 0x47600001, v[2:3]
	s_xor_b32 s41, exec_lo, s7
	s_cbranch_execz .LBB6_13625
; %bb.13612:                            ;   in Loop: Header=BB6_12546 Depth=2
	v_mov_b32_e32 v30, 0
	s_mov_b32 s42, exec_lo
	v_cmpx_ne_u32_e32 0, v1
	s_cbranch_execz .LBB6_13624
; %bb.13613:                            ;   in Loop: Header=BB6_12546 Depth=2
	v_bfe_u32 v27, v1, 23, 8
	v_or_b32_e32 v2, 0x800000, v24
	s_delay_alu instid0(VALU_DEP_2) | instskip(SKIP_1) | instid1(VALU_DEP_2)
	v_sub_nc_u32_e32 v0, 0x71, v27
	v_cmp_gt_u32_e32 vcc_lo, 0x72, v27
	v_cndmask_b32_e32 v0, 0, v0, vcc_lo
	v_cmp_eq_u32_e32 vcc_lo, 0, v27
	s_delay_alu instid0(VALU_DEP_2) | instskip(NEXT) | instid1(VALU_DEP_1)
	v_cndmask_b32_e64 v30, v0, 0x70, vcc_lo
	v_dual_cndmask_b32 v24, v2, v24, vcc_lo :: v_dual_add_nc_u32 v0, 21, v30
	v_add_nc_u32_e32 v3, 20, v30
	s_delay_alu instid0(VALU_DEP_2) | instskip(NEXT) | instid1(VALU_DEP_2)
	v_lshlrev_b64_e64 v[0:1], v0, -1
	v_lshlrev_b64_e64 v[2:3], v3, 1
	s_delay_alu instid0(VALU_DEP_2) | instskip(NEXT) | instid1(VALU_DEP_3)
	v_bfi_b32 v53, v1, 0, 0
	v_bfi_b32 v52, v0, 0, v24
	v_lshrrev_b64 v[0:1], v30, v[24:25]
	s_delay_alu instid0(VALU_DEP_2) | instskip(NEXT) | instid1(VALU_DEP_2)
	v_cmp_eq_u64_e64 s7, v[52:53], v[2:3]
	v_mov_b64_e32 v[2:3], v[0:1]
	s_and_saveexec_b32 s43, s7
; %bb.13614:                            ;   in Loop: Header=BB6_12546 Depth=2
	v_bfe_u32 v24, v0, 21, 1
	s_delay_alu instid0(VALU_DEP_1) | instskip(NEXT) | instid1(VALU_DEP_1)
	v_add_nc_u64_e32 v[2:3], v[0:1], v[24:25]
	v_add_nc_u64_e32 v[2:3], -1, v[2:3]
; %bb.13615:                            ;   in Loop: Header=BB6_12546 Depth=2
	s_or_b32 exec_lo, exec_lo, s43
	v_add_nc_u32_e32 v1, 0xffffff81, v27
	v_lshrrev_b32_e32 v3, 23, v0
	s_mov_b32 s7, exec_lo
	s_delay_alu instid0(VALU_DEP_2) | instskip(NEXT) | instid1(VALU_DEP_1)
	v_cndmask_b32_e64 v1, v1, 0xffffff82, vcc_lo
	v_add3_u32 v3, v30, v1, v3
	v_and_b32_e32 v1, 0x1fffff, v2
                                        ; implicit-def: $vgpr2
	s_delay_alu instid0(VALU_DEP_1) | instskip(NEXT) | instid1(VALU_DEP_1)
	v_dual_add_nc_u32 v27, 14, v3 :: v_dual_add_nc_u32 v24, v1, v0
                                        ; implicit-def: $vgpr0_vgpr1
	v_cmpx_ne_u32_e32 0, v27
	s_xor_b32 s7, exec_lo, s7
; %bb.13616:                            ;   in Loop: Header=BB6_12546 Depth=2
	s_delay_alu instid0(VALU_DEP_2) | instskip(SKIP_1) | instid1(VALU_DEP_1)
	v_cmp_lt_u64_e32 vcc_lo, 0xffffff, v[24:25]
	v_add_nc_u32_e32 v0, 15, v3
	v_cndmask_b32_e32 v2, v27, v0, vcc_lo
	v_cndmask_b32_e64 v0, 0, 1, vcc_lo
	s_delay_alu instid0(VALU_DEP_1)
	v_lshrrev_b64 v[0:1], v0, v[24:25]
; %bb.13617:                            ;   in Loop: Header=BB6_12546 Depth=2
	s_and_not1_saveexec_b32 s7, s7
; %bb.13618:                            ;   in Loop: Header=BB6_12546 Depth=2
	v_mov_b64_e32 v[0:1], v[24:25]
	v_bfe_u32 v2, v24, 23, 1
; %bb.13619:                            ;   in Loop: Header=BB6_12546 Depth=2
	s_or_b32 exec_lo, exec_lo, s7
	s_delay_alu instid0(VALU_DEP_2) | instskip(NEXT) | instid1(VALU_DEP_2)
	v_lshrrev_b64 v[0:1], 21, v[0:1]
	v_cmp_gt_i32_e32 vcc_lo, 32, v2
	v_cmp_ne_u32_e64 s7, 0, v2
                                        ; implicit-def: $vgpr30
	s_delay_alu instid0(VALU_DEP_3) | instskip(NEXT) | instid1(VALU_DEP_1)
	v_dual_cndmask_b32 v1, 0, v1 :: v_dual_cndmask_b32 v0, 3, v0
	v_cmp_ne_u64_e32 vcc_lo, 0, v[0:1]
	s_or_b32 s7, s7, vcc_lo
	s_delay_alu instid0(SALU_CYCLE_1) | instskip(NEXT) | instid1(SALU_CYCLE_1)
	s_and_saveexec_b32 s43, s7
	s_xor_b32 s7, exec_lo, s43
; %bb.13620:                            ;   in Loop: Header=BB6_12546 Depth=2
	v_min_i32_e32 v1, 31, v2
	s_delay_alu instid0(VALU_DEP_1) | instskip(NEXT) | instid1(VALU_DEP_1)
	v_lshl_or_b32 v1, v1, 2, v23
                                        ; implicit-def: $vgpr23
	v_and_or_b32 v30, v0, 3, v1
; %bb.13621:                            ;   in Loop: Header=BB6_12546 Depth=2
	s_and_not1_saveexec_b32 s7, s7
; %bb.13622:                            ;   in Loop: Header=BB6_12546 Depth=2
	v_mov_b32_e32 v30, v23
; %bb.13623:                            ;   in Loop: Header=BB6_12546 Depth=2
	s_or_b32 exec_lo, exec_lo, s7
.LBB6_13624:                            ;   in Loop: Header=BB6_12546 Depth=2
	s_delay_alu instid0(SALU_CYCLE_1)
	s_or_b32 exec_lo, exec_lo, s42
                                        ; implicit-def: $vgpr23
.LBB6_13625:                            ;   in Loop: Header=BB6_12546 Depth=2
	s_and_not1_saveexec_b32 s7, s41
; %bb.13626:                            ;   in Loop: Header=BB6_12546 Depth=2
	v_or_b32_e32 v30, 0x7b, v23
; %bb.13627:                            ;   in Loop: Header=BB6_12546 Depth=2
	s_or_b32 exec_lo, exec_lo, s7
                                        ; implicit-def: $vgpr1
.LBB6_13628:                            ;   in Loop: Header=BB6_12546 Depth=2
	s_and_not1_saveexec_b32 s7, s10
	s_cbranch_execz .LBB6_13634
; %bb.13629:                            ;   in Loop: Header=BB6_12546 Depth=2
	s_mov_b32 s10, exec_lo
                                        ; implicit-def: $vgpr30
	v_cmpx_ne_u64_e32 0, v[24:25]
	s_xor_b32 s10, exec_lo, s10
; %bb.13630:                            ;   in Loop: Header=BB6_12546 Depth=2
	v_lshrrev_b32_e32 v0, 24, v1
                                        ; implicit-def: $vgpr1
	s_delay_alu instid0(VALU_DEP_1)
	v_or_b32_e32 v30, 0x7f, v0
; %bb.13631:                            ;   in Loop: Header=BB6_12546 Depth=2
	s_and_not1_saveexec_b32 s10, s10
; %bb.13632:                            ;   in Loop: Header=BB6_12546 Depth=2
	v_cmp_lt_i32_e32 vcc_lo, -1, v1
	v_cndmask_b32_e64 v30, -4, 0x7c, vcc_lo
; %bb.13633:                            ;   in Loop: Header=BB6_12546 Depth=2
	s_or_b32 exec_lo, exec_lo, s10
.LBB6_13634:                            ;   in Loop: Header=BB6_12546 Depth=2
	s_delay_alu instid0(SALU_CYCLE_1)
	s_or_b32 exec_lo, exec_lo, s7
	v_and_b32_e32 v0, 0xff, v106
	v_cmp_ne_u16_e64 s7, 0, v106
	s_and_not1_b32 vcc_lo, exec_lo, s14
	s_mov_b32 s10, -1
                                        ; implicit-def: $vgpr1
	s_cbranch_vccnz .LBB6_13656
; %bb.13635:                            ;   in Loop: Header=BB6_12546 Depth=2
	v_dual_mov_b32 v2, 0 :: v_dual_mov_b32 v1, 0
	s_and_saveexec_b32 s10, s7
	s_cbranch_execz .LBB6_13645
; %bb.13636:                            ;   in Loop: Header=BB6_12546 Depth=2
	v_bfrev_b32_e32 v1, 1
	s_mov_b32 s41, exec_lo
	v_cmpx_ne_u16_e32 0xff80, v106
	s_cbranch_execz .LBB6_13644
; %bb.13637:                            ;   in Loop: Header=BB6_12546 Depth=2
	v_and_b32_e32 v1, 0x7c, v0
	v_and_b32_e32 v3, 3, v0
	s_delay_alu instid0(VALU_DEP_2) | instskip(SKIP_1) | instid1(SALU_CYCLE_1)
	v_cmp_ne_u32_e32 vcc_lo, 0x7c, v1
                                        ; implicit-def: $vgpr1
	s_and_saveexec_b32 s42, vcc_lo
	s_xor_b32 s42, exec_lo, s42
	s_cbranch_execz .LBB6_13641
; %bb.13638:                            ;   in Loop: Header=BB6_12546 Depth=2
	v_bfe_u32 v1, v0, 2, 5
	s_mov_b32 s43, exec_lo
	s_delay_alu instid0(VALU_DEP_1)
	v_cmpx_eq_u32_e32 0, v1
	s_cbranch_execz .LBB6_13640
; %bb.13639:                            ;   in Loop: Header=BB6_12546 Depth=2
	v_clz_i32_u32_e32 v1, v3
	s_delay_alu instid0(VALU_DEP_1) | instskip(SKIP_1) | instid1(VALU_DEP_2)
	v_min_u32_e32 v1, 32, v1
	v_mov_b32_e32 v107, v25
	v_subrev_nc_u32_e32 v3, 29, v1
	v_sub_nc_u32_e32 v1, 30, v1
	s_delay_alu instid0(VALU_DEP_2) | instskip(NEXT) | instid1(VALU_DEP_1)
	v_lshlrev_b64_e32 v[52:53], v3, v[106:107]
	v_and_b32_e32 v3, 3, v52
.LBB6_13640:                            ;   in Loop: Header=BB6_12546 Depth=2
	s_or_b32 exec_lo, exec_lo, s43
	v_bfe_i32 v23, v106, 0, 16
	s_delay_alu instid0(VALU_DEP_1) | instskip(NEXT) | instid1(VALU_DEP_1)
	v_and_b32_e32 v23, 0x80000000, v23
	v_lshl_add_u32 v1, v1, 23, v23
	s_delay_alu instid0(VALU_DEP_1) | instskip(NEXT) | instid1(VALU_DEP_1)
	v_lshl_or_b32 v1, v3, 21, v1
                                        ; implicit-def: $vgpr3
	v_add_nc_u32_e32 v1, 0x38000000, v1
.LBB6_13641:                            ;   in Loop: Header=BB6_12546 Depth=2
	s_and_not1_saveexec_b32 s42, s42
; %bb.13642:                            ;   in Loop: Header=BB6_12546 Depth=2
	v_cmp_lt_i16_e32 vcc_lo, -1, v106
	v_cndmask_b32_e32 v1, 0xff800000, v40, vcc_lo
	v_cmp_eq_u32_e32 vcc_lo, 0, v3
	s_delay_alu instid0(VALU_DEP_2)
	v_cndmask_b32_e32 v1, 0x7f800001, v1, vcc_lo
; %bb.13643:                            ;   in Loop: Header=BB6_12546 Depth=2
	s_or_b32 exec_lo, exec_lo, s42
.LBB6_13644:                            ;   in Loop: Header=BB6_12546 Depth=2
	s_delay_alu instid0(SALU_CYCLE_1)
	s_or_b32 exec_lo, exec_lo, s41
.LBB6_13645:                            ;   in Loop: Header=BB6_12546 Depth=2
	s_delay_alu instid0(SALU_CYCLE_1) | instskip(NEXT) | instid1(SALU_CYCLE_1)
	s_or_b32 exec_lo, exec_lo, s10
	s_mov_b32 s10, exec_lo
	v_cmpx_ne_u16_e32 0, v104
	s_cbranch_execz .LBB6_13655
; %bb.13646:                            ;   in Loop: Header=BB6_12546 Depth=2
	v_bfrev_b32_e32 v2, 1
	s_mov_b32 s41, exec_lo
	v_cmpx_ne_u16_e32 0xff80, v104
	s_cbranch_execz .LBB6_13654
; %bb.13647:                            ;   in Loop: Header=BB6_12546 Depth=2
	v_and_b32_e32 v2, 0x7c, v104
	v_and_b32_e32 v3, 3, v104
	s_delay_alu instid0(VALU_DEP_2) | instskip(SKIP_1) | instid1(SALU_CYCLE_1)
	v_cmp_ne_u32_e32 vcc_lo, 0x7c, v2
                                        ; implicit-def: $vgpr2
	s_and_saveexec_b32 s42, vcc_lo
	s_xor_b32 s42, exec_lo, s42
	s_cbranch_execz .LBB6_13651
; %bb.13648:                            ;   in Loop: Header=BB6_12546 Depth=2
	v_and_b32_e32 v2, 0xff, v104
	s_mov_b32 s43, exec_lo
	s_delay_alu instid0(VALU_DEP_1) | instskip(NEXT) | instid1(VALU_DEP_1)
	v_bfe_u32 v2, v2, 2, 5
	v_cmpx_eq_u32_e32 0, v2
	s_cbranch_execz .LBB6_13650
; %bb.13649:                            ;   in Loop: Header=BB6_12546 Depth=2
	v_clz_i32_u32_e32 v2, v3
	s_delay_alu instid0(VALU_DEP_1) | instskip(SKIP_1) | instid1(VALU_DEP_2)
	v_min_u32_e32 v2, 32, v2
	v_mov_b32_e32 v105, v25
	v_subrev_nc_u32_e32 v3, 29, v2
	v_sub_nc_u32_e32 v2, 30, v2
	s_delay_alu instid0(VALU_DEP_2) | instskip(NEXT) | instid1(VALU_DEP_1)
	v_lshlrev_b64_e32 v[52:53], v3, v[104:105]
	v_and_b32_e32 v3, 3, v52
.LBB6_13650:                            ;   in Loop: Header=BB6_12546 Depth=2
	s_or_b32 exec_lo, exec_lo, s43
	v_bfe_i32 v23, v104, 0, 16
	s_delay_alu instid0(VALU_DEP_1) | instskip(NEXT) | instid1(VALU_DEP_1)
	v_and_b32_e32 v23, 0x80000000, v23
	v_lshl_add_u32 v2, v2, 23, v23
	s_delay_alu instid0(VALU_DEP_1) | instskip(NEXT) | instid1(VALU_DEP_1)
	v_lshl_or_b32 v2, v3, 21, v2
                                        ; implicit-def: $vgpr3
	v_add_nc_u32_e32 v2, 0x38000000, v2
.LBB6_13651:                            ;   in Loop: Header=BB6_12546 Depth=2
	s_and_not1_saveexec_b32 s42, s42
; %bb.13652:                            ;   in Loop: Header=BB6_12546 Depth=2
	v_cmp_lt_i16_e32 vcc_lo, -1, v104
	v_cndmask_b32_e32 v2, 0xff800000, v40, vcc_lo
	v_cmp_eq_u32_e32 vcc_lo, 0, v3
	s_delay_alu instid0(VALU_DEP_2)
	v_cndmask_b32_e32 v2, 0x7f800001, v2, vcc_lo
; %bb.13653:                            ;   in Loop: Header=BB6_12546 Depth=2
	s_or_b32 exec_lo, exec_lo, s42
.LBB6_13654:                            ;   in Loop: Header=BB6_12546 Depth=2
	s_delay_alu instid0(SALU_CYCLE_1)
	s_or_b32 exec_lo, exec_lo, s41
.LBB6_13655:                            ;   in Loop: Header=BB6_12546 Depth=2
	s_delay_alu instid0(SALU_CYCLE_1) | instskip(NEXT) | instid1(VALU_DEP_1)
	s_or_b32 exec_lo, exec_lo, s10
	v_dual_max_num_f32 v2, v2, v2 :: v_dual_max_num_f32 v1, v1, v1
	s_mov_b32 s10, 0
	s_delay_alu instid0(VALU_DEP_1)
	v_max_num_f32_e32 v1, v1, v2
.LBB6_13656:                            ;   in Loop: Header=BB6_12546 Depth=2
	s_and_b32 vcc_lo, exec_lo, s10
	s_cbranch_vccz .LBB6_13678
; %bb.13657:                            ;   in Loop: Header=BB6_12546 Depth=2
	v_dual_mov_b32 v2, 0 :: v_dual_mov_b32 v1, 0
	s_and_saveexec_b32 s10, s7
	s_cbranch_execz .LBB6_13667
; %bb.13658:                            ;   in Loop: Header=BB6_12546 Depth=2
	v_bfrev_b32_e32 v1, 1
	s_mov_b32 s7, exec_lo
	v_cmpx_ne_u16_e32 0xff80, v106
	s_cbranch_execz .LBB6_13666
; %bb.13659:                            ;   in Loop: Header=BB6_12546 Depth=2
	v_and_b32_e32 v1, 0x7c, v0
	v_and_b32_e32 v3, 3, v0
	s_delay_alu instid0(VALU_DEP_2) | instskip(SKIP_1) | instid1(SALU_CYCLE_1)
	v_cmp_ne_u32_e32 vcc_lo, 0x7c, v1
                                        ; implicit-def: $vgpr1
	s_and_saveexec_b32 s41, vcc_lo
	s_xor_b32 s41, exec_lo, s41
	s_cbranch_execz .LBB6_13663
; %bb.13660:                            ;   in Loop: Header=BB6_12546 Depth=2
	v_bfe_u32 v0, v0, 2, 5
	s_mov_b32 s42, exec_lo
	s_delay_alu instid0(VALU_DEP_1)
	v_cmpx_eq_u32_e32 0, v0
	s_cbranch_execz .LBB6_13662
; %bb.13661:                            ;   in Loop: Header=BB6_12546 Depth=2
	v_clz_i32_u32_e32 v0, v3
	s_delay_alu instid0(VALU_DEP_1) | instskip(SKIP_1) | instid1(VALU_DEP_2)
	v_min_u32_e32 v0, 32, v0
	v_mov_b32_e32 v107, v25
	v_subrev_nc_u32_e32 v1, 29, v0
	v_sub_nc_u32_e32 v0, 30, v0
	s_delay_alu instid0(VALU_DEP_2) | instskip(NEXT) | instid1(VALU_DEP_1)
	v_lshlrev_b64_e32 v[52:53], v1, v[106:107]
	v_and_b32_e32 v3, 3, v52
.LBB6_13662:                            ;   in Loop: Header=BB6_12546 Depth=2
	s_or_b32 exec_lo, exec_lo, s42
	v_bfe_i32 v1, v106, 0, 16
                                        ; implicit-def: $vgpr106
	s_delay_alu instid0(VALU_DEP_1) | instskip(NEXT) | instid1(VALU_DEP_1)
	v_and_b32_e32 v1, 0x80000000, v1
	v_lshl_add_u32 v0, v0, 23, v1
	s_delay_alu instid0(VALU_DEP_1) | instskip(NEXT) | instid1(VALU_DEP_1)
	v_lshl_or_b32 v0, v3, 21, v0
                                        ; implicit-def: $vgpr3
	v_add_nc_u32_e32 v1, 0x38000000, v0
.LBB6_13663:                            ;   in Loop: Header=BB6_12546 Depth=2
	s_and_not1_saveexec_b32 s41, s41
; %bb.13664:                            ;   in Loop: Header=BB6_12546 Depth=2
	v_cmp_lt_i16_e32 vcc_lo, -1, v106
	v_cndmask_b32_e32 v0, 0xff800000, v40, vcc_lo
	v_cmp_eq_u32_e32 vcc_lo, 0, v3
	s_delay_alu instid0(VALU_DEP_2)
	v_cndmask_b32_e32 v1, 0x7f800001, v0, vcc_lo
; %bb.13665:                            ;   in Loop: Header=BB6_12546 Depth=2
	s_or_b32 exec_lo, exec_lo, s41
.LBB6_13666:                            ;   in Loop: Header=BB6_12546 Depth=2
	s_delay_alu instid0(SALU_CYCLE_1)
	s_or_b32 exec_lo, exec_lo, s7
.LBB6_13667:                            ;   in Loop: Header=BB6_12546 Depth=2
	s_delay_alu instid0(SALU_CYCLE_1) | instskip(NEXT) | instid1(SALU_CYCLE_1)
	s_or_b32 exec_lo, exec_lo, s10
	s_mov_b32 s7, exec_lo
	v_cmpx_ne_u16_e32 0, v104
	s_cbranch_execz .LBB6_13677
; %bb.13668:                            ;   in Loop: Header=BB6_12546 Depth=2
	v_bfrev_b32_e32 v2, 1
	s_mov_b32 s10, exec_lo
	v_cmpx_ne_u16_e32 0xff80, v104
	s_cbranch_execz .LBB6_13676
; %bb.13669:                            ;   in Loop: Header=BB6_12546 Depth=2
	v_and_b32_e32 v2, 0x7c, v104
	v_and_b32_e32 v0, 3, v104
	s_delay_alu instid0(VALU_DEP_2) | instskip(SKIP_1) | instid1(SALU_CYCLE_1)
	v_cmp_ne_u32_e32 vcc_lo, 0x7c, v2
                                        ; implicit-def: $vgpr2
	s_and_saveexec_b32 s41, vcc_lo
	s_xor_b32 s41, exec_lo, s41
	s_cbranch_execz .LBB6_13673
; %bb.13670:                            ;   in Loop: Header=BB6_12546 Depth=2
	v_and_b32_e32 v2, 0xff, v104
	s_mov_b32 s42, exec_lo
	s_delay_alu instid0(VALU_DEP_1) | instskip(NEXT) | instid1(VALU_DEP_1)
	v_bfe_u32 v2, v2, 2, 5
	v_cmpx_eq_u32_e32 0, v2
	s_cbranch_execz .LBB6_13672
; %bb.13671:                            ;   in Loop: Header=BB6_12546 Depth=2
	v_clz_i32_u32_e32 v0, v0
	s_delay_alu instid0(VALU_DEP_1) | instskip(SKIP_1) | instid1(VALU_DEP_2)
	v_min_u32_e32 v0, 32, v0
	v_mov_b32_e32 v105, v25
	v_subrev_nc_u32_e32 v2, 29, v0
	s_delay_alu instid0(VALU_DEP_1) | instskip(SKIP_1) | instid1(VALU_DEP_2)
	v_lshlrev_b64_e32 v[52:53], v2, v[104:105]
	v_sub_nc_u32_e32 v2, 30, v0
	v_and_b32_e32 v0, 3, v52
.LBB6_13672:                            ;   in Loop: Header=BB6_12546 Depth=2
	s_or_b32 exec_lo, exec_lo, s42
	v_bfe_i32 v3, v104, 0, 16
                                        ; implicit-def: $vgpr104
	s_delay_alu instid0(VALU_DEP_1) | instskip(NEXT) | instid1(VALU_DEP_1)
	v_and_b32_e32 v3, 0x80000000, v3
	v_lshl_add_u32 v2, v2, 23, v3
	s_delay_alu instid0(VALU_DEP_1) | instskip(NEXT) | instid1(VALU_DEP_1)
	v_lshl_or_b32 v0, v0, 21, v2
	v_add_nc_u32_e32 v2, 0x38000000, v0
                                        ; implicit-def: $vgpr0
.LBB6_13673:                            ;   in Loop: Header=BB6_12546 Depth=2
	s_and_not1_saveexec_b32 s41, s41
; %bb.13674:                            ;   in Loop: Header=BB6_12546 Depth=2
	v_cmp_lt_i16_e32 vcc_lo, -1, v104
	v_cndmask_b32_e32 v2, 0xff800000, v40, vcc_lo
	v_cmp_eq_u32_e32 vcc_lo, 0, v0
	s_delay_alu instid0(VALU_DEP_2)
	v_cndmask_b32_e32 v2, 0x7f800001, v2, vcc_lo
; %bb.13675:                            ;   in Loop: Header=BB6_12546 Depth=2
	s_or_b32 exec_lo, exec_lo, s41
.LBB6_13676:                            ;   in Loop: Header=BB6_12546 Depth=2
	s_delay_alu instid0(SALU_CYCLE_1)
	s_or_b32 exec_lo, exec_lo, s10
.LBB6_13677:                            ;   in Loop: Header=BB6_12546 Depth=2
	s_delay_alu instid0(SALU_CYCLE_1) | instskip(NEXT) | instid1(VALU_DEP_1)
	s_or_b32 exec_lo, exec_lo, s7
	v_dual_max_num_f32 v0, v2, v2 :: v_dual_max_num_f32 v1, v1, v1
	s_delay_alu instid0(VALU_DEP_1)
	v_min_num_f32_e32 v1, v1, v0
.LBB6_13678:                            ;   in Loop: Header=BB6_12546 Depth=2
	s_delay_alu instid0(VALU_DEP_1) | instskip(SKIP_3) | instid1(VALU_DEP_2)
	v_and_b32_e32 v2, 0x7f800000, v1
	v_mov_b32_e32 v3, v25
	v_and_b32_e32 v24, 0x7fffff, v1
                                        ; implicit-def: $vgpr31
	s_mov_b32 s7, exec_lo
	v_cmpx_ne_u64_e32 0x7f800000, v[2:3]
	s_xor_b32 s10, exec_lo, s7
	s_cbranch_execz .LBB6_13696
; %bb.13679:                            ;   in Loop: Header=BB6_12546 Depth=2
	v_dual_mov_b32 v3, v25 :: v_dual_lshrrev_b32 v0, 24, v1
	v_and_b32_e32 v2, 0x7fffffff, v1
                                        ; implicit-def: $vgpr31
	s_mov_b32 s7, exec_lo
	s_delay_alu instid0(VALU_DEP_2) | instskip(NEXT) | instid1(VALU_DEP_2)
	v_and_b32_e32 v23, 0x80, v0
	v_cmpx_gt_u64_e32 0x47600001, v[2:3]
	s_xor_b32 s41, exec_lo, s7
	s_cbranch_execz .LBB6_13693
; %bb.13680:                            ;   in Loop: Header=BB6_12546 Depth=2
	v_mov_b32_e32 v31, 0
	s_mov_b32 s42, exec_lo
	v_cmpx_ne_u32_e32 0, v1
	s_cbranch_execz .LBB6_13692
; %bb.13681:                            ;   in Loop: Header=BB6_12546 Depth=2
	v_bfe_u32 v27, v1, 23, 8
	v_or_b32_e32 v2, 0x800000, v24
	s_delay_alu instid0(VALU_DEP_2) | instskip(SKIP_1) | instid1(VALU_DEP_2)
	v_sub_nc_u32_e32 v0, 0x71, v27
	v_cmp_gt_u32_e32 vcc_lo, 0x72, v27
	v_cndmask_b32_e32 v0, 0, v0, vcc_lo
	v_cmp_eq_u32_e32 vcc_lo, 0, v27
	s_delay_alu instid0(VALU_DEP_2) | instskip(NEXT) | instid1(VALU_DEP_1)
	v_cndmask_b32_e64 v31, v0, 0x70, vcc_lo
	v_dual_cndmask_b32 v24, v2, v24, vcc_lo :: v_dual_add_nc_u32 v0, 21, v31
	v_add_nc_u32_e32 v3, 20, v31
	s_delay_alu instid0(VALU_DEP_2) | instskip(NEXT) | instid1(VALU_DEP_2)
	v_lshlrev_b64_e64 v[0:1], v0, -1
	v_lshlrev_b64_e64 v[2:3], v3, 1
	s_delay_alu instid0(VALU_DEP_2) | instskip(NEXT) | instid1(VALU_DEP_3)
	v_bfi_b32 v53, v1, 0, 0
	v_bfi_b32 v52, v0, 0, v24
	v_lshrrev_b64 v[0:1], v31, v[24:25]
	s_delay_alu instid0(VALU_DEP_2) | instskip(NEXT) | instid1(VALU_DEP_2)
	v_cmp_eq_u64_e64 s7, v[52:53], v[2:3]
	v_mov_b64_e32 v[2:3], v[0:1]
	s_and_saveexec_b32 s43, s7
; %bb.13682:                            ;   in Loop: Header=BB6_12546 Depth=2
	v_bfe_u32 v24, v0, 21, 1
	s_delay_alu instid0(VALU_DEP_1) | instskip(NEXT) | instid1(VALU_DEP_1)
	v_add_nc_u64_e32 v[2:3], v[0:1], v[24:25]
	v_add_nc_u64_e32 v[2:3], -1, v[2:3]
; %bb.13683:                            ;   in Loop: Header=BB6_12546 Depth=2
	s_or_b32 exec_lo, exec_lo, s43
	v_add_nc_u32_e32 v1, 0xffffff81, v27
	v_lshrrev_b32_e32 v3, 23, v0
	s_mov_b32 s7, exec_lo
	s_delay_alu instid0(VALU_DEP_2) | instskip(NEXT) | instid1(VALU_DEP_1)
	v_cndmask_b32_e64 v1, v1, 0xffffff82, vcc_lo
	v_add3_u32 v3, v31, v1, v3
	v_and_b32_e32 v1, 0x1fffff, v2
                                        ; implicit-def: $vgpr2
	s_delay_alu instid0(VALU_DEP_1) | instskip(NEXT) | instid1(VALU_DEP_1)
	v_dual_add_nc_u32 v27, 14, v3 :: v_dual_add_nc_u32 v24, v1, v0
                                        ; implicit-def: $vgpr0_vgpr1
	v_cmpx_ne_u32_e32 0, v27
	s_xor_b32 s7, exec_lo, s7
; %bb.13684:                            ;   in Loop: Header=BB6_12546 Depth=2
	s_delay_alu instid0(VALU_DEP_2) | instskip(SKIP_1) | instid1(VALU_DEP_1)
	v_cmp_lt_u64_e32 vcc_lo, 0xffffff, v[24:25]
	v_add_nc_u32_e32 v0, 15, v3
	v_cndmask_b32_e32 v2, v27, v0, vcc_lo
	v_cndmask_b32_e64 v0, 0, 1, vcc_lo
	s_delay_alu instid0(VALU_DEP_1)
	v_lshrrev_b64 v[0:1], v0, v[24:25]
; %bb.13685:                            ;   in Loop: Header=BB6_12546 Depth=2
	s_and_not1_saveexec_b32 s7, s7
; %bb.13686:                            ;   in Loop: Header=BB6_12546 Depth=2
	v_mov_b64_e32 v[0:1], v[24:25]
	v_bfe_u32 v2, v24, 23, 1
; %bb.13687:                            ;   in Loop: Header=BB6_12546 Depth=2
	s_or_b32 exec_lo, exec_lo, s7
	s_delay_alu instid0(VALU_DEP_2) | instskip(NEXT) | instid1(VALU_DEP_2)
	v_lshrrev_b64 v[0:1], 21, v[0:1]
	v_cmp_gt_i32_e32 vcc_lo, 32, v2
	v_cmp_ne_u32_e64 s7, 0, v2
                                        ; implicit-def: $vgpr31
	s_delay_alu instid0(VALU_DEP_3) | instskip(NEXT) | instid1(VALU_DEP_1)
	v_dual_cndmask_b32 v1, 0, v1 :: v_dual_cndmask_b32 v0, 3, v0
	v_cmp_ne_u64_e32 vcc_lo, 0, v[0:1]
	s_or_b32 s7, s7, vcc_lo
	s_delay_alu instid0(SALU_CYCLE_1) | instskip(NEXT) | instid1(SALU_CYCLE_1)
	s_and_saveexec_b32 s43, s7
	s_xor_b32 s7, exec_lo, s43
; %bb.13688:                            ;   in Loop: Header=BB6_12546 Depth=2
	v_min_i32_e32 v1, 31, v2
	s_delay_alu instid0(VALU_DEP_1) | instskip(NEXT) | instid1(VALU_DEP_1)
	v_lshl_or_b32 v1, v1, 2, v23
                                        ; implicit-def: $vgpr23
	v_and_or_b32 v31, v0, 3, v1
; %bb.13689:                            ;   in Loop: Header=BB6_12546 Depth=2
	s_and_not1_saveexec_b32 s7, s7
; %bb.13690:                            ;   in Loop: Header=BB6_12546 Depth=2
	v_mov_b32_e32 v31, v23
; %bb.13691:                            ;   in Loop: Header=BB6_12546 Depth=2
	s_or_b32 exec_lo, exec_lo, s7
.LBB6_13692:                            ;   in Loop: Header=BB6_12546 Depth=2
	s_delay_alu instid0(SALU_CYCLE_1)
	s_or_b32 exec_lo, exec_lo, s42
                                        ; implicit-def: $vgpr23
.LBB6_13693:                            ;   in Loop: Header=BB6_12546 Depth=2
	s_and_not1_saveexec_b32 s7, s41
; %bb.13694:                            ;   in Loop: Header=BB6_12546 Depth=2
	v_or_b32_e32 v31, 0x7b, v23
; %bb.13695:                            ;   in Loop: Header=BB6_12546 Depth=2
	s_or_b32 exec_lo, exec_lo, s7
                                        ; implicit-def: $vgpr1
.LBB6_13696:                            ;   in Loop: Header=BB6_12546 Depth=2
	s_and_not1_saveexec_b32 s7, s10
	s_cbranch_execz .LBB6_13702
; %bb.13697:                            ;   in Loop: Header=BB6_12546 Depth=2
	s_mov_b32 s10, exec_lo
                                        ; implicit-def: $vgpr31
	v_cmpx_ne_u64_e32 0, v[24:25]
	s_xor_b32 s10, exec_lo, s10
; %bb.13698:                            ;   in Loop: Header=BB6_12546 Depth=2
	v_lshrrev_b32_e32 v0, 24, v1
                                        ; implicit-def: $vgpr1
	s_delay_alu instid0(VALU_DEP_1)
	v_or_b32_e32 v31, 0x7f, v0
; %bb.13699:                            ;   in Loop: Header=BB6_12546 Depth=2
	s_and_not1_saveexec_b32 s10, s10
; %bb.13700:                            ;   in Loop: Header=BB6_12546 Depth=2
	v_cmp_lt_i32_e32 vcc_lo, -1, v1
	v_cndmask_b32_e64 v31, -4, 0x7c, vcc_lo
; %bb.13701:                            ;   in Loop: Header=BB6_12546 Depth=2
	s_or_b32 exec_lo, exec_lo, s10
.LBB6_13702:                            ;   in Loop: Header=BB6_12546 Depth=2
	s_delay_alu instid0(SALU_CYCLE_1)
	s_or_b32 exec_lo, exec_lo, s7
	v_and_b32_e32 v0, 0xff, v94
	v_cmp_ne_u16_e64 s7, 0, v94
	s_and_not1_b32 vcc_lo, exec_lo, s14
	s_mov_b32 s10, -1
                                        ; implicit-def: $vgpr1
	s_cbranch_vccnz .LBB6_13724
; %bb.13703:                            ;   in Loop: Header=BB6_12546 Depth=2
	v_dual_mov_b32 v2, 0 :: v_dual_mov_b32 v1, 0
	s_and_saveexec_b32 s10, s7
	s_cbranch_execz .LBB6_13713
; %bb.13704:                            ;   in Loop: Header=BB6_12546 Depth=2
	v_bfrev_b32_e32 v1, 1
	s_mov_b32 s41, exec_lo
	v_cmpx_ne_u16_e32 0xff80, v94
	s_cbranch_execz .LBB6_13712
; %bb.13705:                            ;   in Loop: Header=BB6_12546 Depth=2
	v_and_b32_e32 v1, 0x7c, v0
	v_and_b32_e32 v3, 3, v0
	s_delay_alu instid0(VALU_DEP_2) | instskip(SKIP_1) | instid1(SALU_CYCLE_1)
	v_cmp_ne_u32_e32 vcc_lo, 0x7c, v1
                                        ; implicit-def: $vgpr1
	s_and_saveexec_b32 s42, vcc_lo
	s_xor_b32 s42, exec_lo, s42
	s_cbranch_execz .LBB6_13709
; %bb.13706:                            ;   in Loop: Header=BB6_12546 Depth=2
	v_bfe_u32 v1, v0, 2, 5
	s_mov_b32 s43, exec_lo
	s_delay_alu instid0(VALU_DEP_1)
	v_cmpx_eq_u32_e32 0, v1
	s_cbranch_execz .LBB6_13708
; %bb.13707:                            ;   in Loop: Header=BB6_12546 Depth=2
	v_clz_i32_u32_e32 v1, v3
	s_delay_alu instid0(VALU_DEP_1) | instskip(SKIP_1) | instid1(VALU_DEP_2)
	v_min_u32_e32 v1, 32, v1
	v_mov_b32_e32 v95, v25
	v_subrev_nc_u32_e32 v3, 29, v1
	v_sub_nc_u32_e32 v1, 30, v1
	s_delay_alu instid0(VALU_DEP_2) | instskip(NEXT) | instid1(VALU_DEP_1)
	v_lshlrev_b64_e32 v[52:53], v3, v[94:95]
	v_and_b32_e32 v3, 3, v52
.LBB6_13708:                            ;   in Loop: Header=BB6_12546 Depth=2
	s_or_b32 exec_lo, exec_lo, s43
	v_bfe_i32 v23, v94, 0, 16
	s_delay_alu instid0(VALU_DEP_1) | instskip(NEXT) | instid1(VALU_DEP_1)
	v_and_b32_e32 v23, 0x80000000, v23
	v_lshl_add_u32 v1, v1, 23, v23
	s_delay_alu instid0(VALU_DEP_1) | instskip(NEXT) | instid1(VALU_DEP_1)
	v_lshl_or_b32 v1, v3, 21, v1
                                        ; implicit-def: $vgpr3
	v_add_nc_u32_e32 v1, 0x38000000, v1
.LBB6_13709:                            ;   in Loop: Header=BB6_12546 Depth=2
	s_and_not1_saveexec_b32 s42, s42
; %bb.13710:                            ;   in Loop: Header=BB6_12546 Depth=2
	v_cmp_lt_i16_e32 vcc_lo, -1, v94
	v_cndmask_b32_e32 v1, 0xff800000, v40, vcc_lo
	v_cmp_eq_u32_e32 vcc_lo, 0, v3
	s_delay_alu instid0(VALU_DEP_2)
	v_cndmask_b32_e32 v1, 0x7f800001, v1, vcc_lo
; %bb.13711:                            ;   in Loop: Header=BB6_12546 Depth=2
	s_or_b32 exec_lo, exec_lo, s42
.LBB6_13712:                            ;   in Loop: Header=BB6_12546 Depth=2
	s_delay_alu instid0(SALU_CYCLE_1)
	s_or_b32 exec_lo, exec_lo, s41
.LBB6_13713:                            ;   in Loop: Header=BB6_12546 Depth=2
	s_delay_alu instid0(SALU_CYCLE_1) | instskip(NEXT) | instid1(SALU_CYCLE_1)
	s_or_b32 exec_lo, exec_lo, s10
	s_mov_b32 s10, exec_lo
	v_cmpx_ne_u16_e32 0, v92
	s_cbranch_execz .LBB6_13723
; %bb.13714:                            ;   in Loop: Header=BB6_12546 Depth=2
	v_bfrev_b32_e32 v2, 1
	s_mov_b32 s41, exec_lo
	v_cmpx_ne_u16_e32 0xff80, v92
	s_cbranch_execz .LBB6_13722
; %bb.13715:                            ;   in Loop: Header=BB6_12546 Depth=2
	v_and_b32_e32 v2, 0x7c, v92
	v_and_b32_e32 v3, 3, v92
	s_delay_alu instid0(VALU_DEP_2) | instskip(SKIP_1) | instid1(SALU_CYCLE_1)
	v_cmp_ne_u32_e32 vcc_lo, 0x7c, v2
                                        ; implicit-def: $vgpr2
	s_and_saveexec_b32 s42, vcc_lo
	s_xor_b32 s42, exec_lo, s42
	s_cbranch_execz .LBB6_13719
; %bb.13716:                            ;   in Loop: Header=BB6_12546 Depth=2
	v_and_b32_e32 v2, 0xff, v92
	s_mov_b32 s43, exec_lo
	s_delay_alu instid0(VALU_DEP_1) | instskip(NEXT) | instid1(VALU_DEP_1)
	v_bfe_u32 v2, v2, 2, 5
	v_cmpx_eq_u32_e32 0, v2
	s_cbranch_execz .LBB6_13718
; %bb.13717:                            ;   in Loop: Header=BB6_12546 Depth=2
	v_clz_i32_u32_e32 v2, v3
	s_delay_alu instid0(VALU_DEP_1) | instskip(SKIP_1) | instid1(VALU_DEP_2)
	v_min_u32_e32 v2, 32, v2
	v_mov_b32_e32 v93, v25
	v_subrev_nc_u32_e32 v3, 29, v2
	v_sub_nc_u32_e32 v2, 30, v2
	s_delay_alu instid0(VALU_DEP_2) | instskip(NEXT) | instid1(VALU_DEP_1)
	v_lshlrev_b64_e32 v[52:53], v3, v[92:93]
	v_and_b32_e32 v3, 3, v52
.LBB6_13718:                            ;   in Loop: Header=BB6_12546 Depth=2
	s_or_b32 exec_lo, exec_lo, s43
	v_bfe_i32 v23, v92, 0, 16
	s_delay_alu instid0(VALU_DEP_1) | instskip(NEXT) | instid1(VALU_DEP_1)
	v_and_b32_e32 v23, 0x80000000, v23
	v_lshl_add_u32 v2, v2, 23, v23
	s_delay_alu instid0(VALU_DEP_1) | instskip(NEXT) | instid1(VALU_DEP_1)
	v_lshl_or_b32 v2, v3, 21, v2
                                        ; implicit-def: $vgpr3
	v_add_nc_u32_e32 v2, 0x38000000, v2
.LBB6_13719:                            ;   in Loop: Header=BB6_12546 Depth=2
	s_and_not1_saveexec_b32 s42, s42
; %bb.13720:                            ;   in Loop: Header=BB6_12546 Depth=2
	v_cmp_lt_i16_e32 vcc_lo, -1, v92
	v_cndmask_b32_e32 v2, 0xff800000, v40, vcc_lo
	v_cmp_eq_u32_e32 vcc_lo, 0, v3
	s_delay_alu instid0(VALU_DEP_2)
	v_cndmask_b32_e32 v2, 0x7f800001, v2, vcc_lo
; %bb.13721:                            ;   in Loop: Header=BB6_12546 Depth=2
	s_or_b32 exec_lo, exec_lo, s42
.LBB6_13722:                            ;   in Loop: Header=BB6_12546 Depth=2
	s_delay_alu instid0(SALU_CYCLE_1)
	s_or_b32 exec_lo, exec_lo, s41
.LBB6_13723:                            ;   in Loop: Header=BB6_12546 Depth=2
	s_delay_alu instid0(SALU_CYCLE_1) | instskip(NEXT) | instid1(VALU_DEP_1)
	s_or_b32 exec_lo, exec_lo, s10
	v_dual_max_num_f32 v2, v2, v2 :: v_dual_max_num_f32 v1, v1, v1
	s_mov_b32 s10, 0
	s_delay_alu instid0(VALU_DEP_1)
	v_max_num_f32_e32 v1, v1, v2
.LBB6_13724:                            ;   in Loop: Header=BB6_12546 Depth=2
	s_and_b32 vcc_lo, exec_lo, s10
	s_cbranch_vccz .LBB6_13746
; %bb.13725:                            ;   in Loop: Header=BB6_12546 Depth=2
	v_dual_mov_b32 v2, 0 :: v_dual_mov_b32 v1, 0
	s_and_saveexec_b32 s10, s7
	s_cbranch_execz .LBB6_13735
; %bb.13726:                            ;   in Loop: Header=BB6_12546 Depth=2
	v_bfrev_b32_e32 v1, 1
	s_mov_b32 s7, exec_lo
	v_cmpx_ne_u16_e32 0xff80, v94
	s_cbranch_execz .LBB6_13734
; %bb.13727:                            ;   in Loop: Header=BB6_12546 Depth=2
	v_and_b32_e32 v1, 0x7c, v0
	v_and_b32_e32 v3, 3, v0
	s_delay_alu instid0(VALU_DEP_2) | instskip(SKIP_1) | instid1(SALU_CYCLE_1)
	v_cmp_ne_u32_e32 vcc_lo, 0x7c, v1
                                        ; implicit-def: $vgpr1
	s_and_saveexec_b32 s41, vcc_lo
	s_xor_b32 s41, exec_lo, s41
	s_cbranch_execz .LBB6_13731
; %bb.13728:                            ;   in Loop: Header=BB6_12546 Depth=2
	v_bfe_u32 v0, v0, 2, 5
	s_mov_b32 s42, exec_lo
	s_delay_alu instid0(VALU_DEP_1)
	v_cmpx_eq_u32_e32 0, v0
	s_cbranch_execz .LBB6_13730
; %bb.13729:                            ;   in Loop: Header=BB6_12546 Depth=2
	v_clz_i32_u32_e32 v0, v3
	s_delay_alu instid0(VALU_DEP_1) | instskip(SKIP_1) | instid1(VALU_DEP_2)
	v_min_u32_e32 v0, 32, v0
	v_mov_b32_e32 v95, v25
	v_subrev_nc_u32_e32 v1, 29, v0
	v_sub_nc_u32_e32 v0, 30, v0
	s_delay_alu instid0(VALU_DEP_2) | instskip(NEXT) | instid1(VALU_DEP_1)
	v_lshlrev_b64_e32 v[52:53], v1, v[94:95]
	v_and_b32_e32 v3, 3, v52
.LBB6_13730:                            ;   in Loop: Header=BB6_12546 Depth=2
	s_or_b32 exec_lo, exec_lo, s42
	v_bfe_i32 v1, v94, 0, 16
                                        ; implicit-def: $vgpr94
	s_delay_alu instid0(VALU_DEP_1) | instskip(NEXT) | instid1(VALU_DEP_1)
	v_and_b32_e32 v1, 0x80000000, v1
	v_lshl_add_u32 v0, v0, 23, v1
	s_delay_alu instid0(VALU_DEP_1) | instskip(NEXT) | instid1(VALU_DEP_1)
	v_lshl_or_b32 v0, v3, 21, v0
                                        ; implicit-def: $vgpr3
	v_add_nc_u32_e32 v1, 0x38000000, v0
.LBB6_13731:                            ;   in Loop: Header=BB6_12546 Depth=2
	s_and_not1_saveexec_b32 s41, s41
; %bb.13732:                            ;   in Loop: Header=BB6_12546 Depth=2
	v_cmp_lt_i16_e32 vcc_lo, -1, v94
	v_cndmask_b32_e32 v0, 0xff800000, v40, vcc_lo
	v_cmp_eq_u32_e32 vcc_lo, 0, v3
	s_delay_alu instid0(VALU_DEP_2)
	v_cndmask_b32_e32 v1, 0x7f800001, v0, vcc_lo
; %bb.13733:                            ;   in Loop: Header=BB6_12546 Depth=2
	s_or_b32 exec_lo, exec_lo, s41
.LBB6_13734:                            ;   in Loop: Header=BB6_12546 Depth=2
	s_delay_alu instid0(SALU_CYCLE_1)
	s_or_b32 exec_lo, exec_lo, s7
.LBB6_13735:                            ;   in Loop: Header=BB6_12546 Depth=2
	s_delay_alu instid0(SALU_CYCLE_1) | instskip(NEXT) | instid1(SALU_CYCLE_1)
	s_or_b32 exec_lo, exec_lo, s10
	s_mov_b32 s7, exec_lo
	v_cmpx_ne_u16_e32 0, v92
	s_cbranch_execz .LBB6_13745
; %bb.13736:                            ;   in Loop: Header=BB6_12546 Depth=2
	v_bfrev_b32_e32 v2, 1
	s_mov_b32 s10, exec_lo
	v_cmpx_ne_u16_e32 0xff80, v92
	s_cbranch_execz .LBB6_13744
; %bb.13737:                            ;   in Loop: Header=BB6_12546 Depth=2
	v_and_b32_e32 v2, 0x7c, v92
	v_and_b32_e32 v0, 3, v92
	s_delay_alu instid0(VALU_DEP_2) | instskip(SKIP_1) | instid1(SALU_CYCLE_1)
	v_cmp_ne_u32_e32 vcc_lo, 0x7c, v2
                                        ; implicit-def: $vgpr2
	s_and_saveexec_b32 s41, vcc_lo
	s_xor_b32 s41, exec_lo, s41
	s_cbranch_execz .LBB6_13741
; %bb.13738:                            ;   in Loop: Header=BB6_12546 Depth=2
	v_and_b32_e32 v2, 0xff, v92
	s_mov_b32 s42, exec_lo
	s_delay_alu instid0(VALU_DEP_1) | instskip(NEXT) | instid1(VALU_DEP_1)
	v_bfe_u32 v2, v2, 2, 5
	v_cmpx_eq_u32_e32 0, v2
	s_cbranch_execz .LBB6_13740
; %bb.13739:                            ;   in Loop: Header=BB6_12546 Depth=2
	v_clz_i32_u32_e32 v0, v0
	s_delay_alu instid0(VALU_DEP_1) | instskip(SKIP_1) | instid1(VALU_DEP_2)
	v_min_u32_e32 v0, 32, v0
	v_mov_b32_e32 v93, v25
	v_subrev_nc_u32_e32 v2, 29, v0
	s_delay_alu instid0(VALU_DEP_1) | instskip(SKIP_1) | instid1(VALU_DEP_2)
	v_lshlrev_b64_e32 v[52:53], v2, v[92:93]
	v_sub_nc_u32_e32 v2, 30, v0
	v_and_b32_e32 v0, 3, v52
.LBB6_13740:                            ;   in Loop: Header=BB6_12546 Depth=2
	s_or_b32 exec_lo, exec_lo, s42
	v_bfe_i32 v3, v92, 0, 16
                                        ; implicit-def: $vgpr92
	s_delay_alu instid0(VALU_DEP_1) | instskip(NEXT) | instid1(VALU_DEP_1)
	v_and_b32_e32 v3, 0x80000000, v3
	v_lshl_add_u32 v2, v2, 23, v3
	s_delay_alu instid0(VALU_DEP_1) | instskip(NEXT) | instid1(VALU_DEP_1)
	v_lshl_or_b32 v0, v0, 21, v2
	v_add_nc_u32_e32 v2, 0x38000000, v0
                                        ; implicit-def: $vgpr0
.LBB6_13741:                            ;   in Loop: Header=BB6_12546 Depth=2
	s_and_not1_saveexec_b32 s41, s41
; %bb.13742:                            ;   in Loop: Header=BB6_12546 Depth=2
	v_cmp_lt_i16_e32 vcc_lo, -1, v92
	v_cndmask_b32_e32 v2, 0xff800000, v40, vcc_lo
	v_cmp_eq_u32_e32 vcc_lo, 0, v0
	s_delay_alu instid0(VALU_DEP_2)
	v_cndmask_b32_e32 v2, 0x7f800001, v2, vcc_lo
; %bb.13743:                            ;   in Loop: Header=BB6_12546 Depth=2
	s_or_b32 exec_lo, exec_lo, s41
.LBB6_13744:                            ;   in Loop: Header=BB6_12546 Depth=2
	s_delay_alu instid0(SALU_CYCLE_1)
	s_or_b32 exec_lo, exec_lo, s10
.LBB6_13745:                            ;   in Loop: Header=BB6_12546 Depth=2
	s_delay_alu instid0(SALU_CYCLE_1) | instskip(NEXT) | instid1(VALU_DEP_1)
	s_or_b32 exec_lo, exec_lo, s7
	v_dual_max_num_f32 v0, v2, v2 :: v_dual_max_num_f32 v1, v1, v1
	s_delay_alu instid0(VALU_DEP_1)
	v_min_num_f32_e32 v1, v1, v0
.LBB6_13746:                            ;   in Loop: Header=BB6_12546 Depth=2
	s_delay_alu instid0(VALU_DEP_1) | instskip(SKIP_3) | instid1(VALU_DEP_2)
	v_and_b32_e32 v2, 0x7f800000, v1
	v_mov_b32_e32 v3, v25
	v_and_b32_e32 v24, 0x7fffff, v1
                                        ; implicit-def: $vgpr52
	s_mov_b32 s7, exec_lo
	v_cmpx_ne_u64_e32 0x7f800000, v[2:3]
	s_xor_b32 s10, exec_lo, s7
	s_cbranch_execz .LBB6_13764
; %bb.13747:                            ;   in Loop: Header=BB6_12546 Depth=2
	v_dual_mov_b32 v3, v25 :: v_dual_lshrrev_b32 v0, 24, v1
	v_and_b32_e32 v2, 0x7fffffff, v1
                                        ; implicit-def: $vgpr52
	s_mov_b32 s7, exec_lo
	s_delay_alu instid0(VALU_DEP_2) | instskip(NEXT) | instid1(VALU_DEP_2)
	v_and_b32_e32 v23, 0x80, v0
	v_cmpx_gt_u64_e32 0x47600001, v[2:3]
	s_xor_b32 s41, exec_lo, s7
	s_cbranch_execz .LBB6_13761
; %bb.13748:                            ;   in Loop: Header=BB6_12546 Depth=2
	v_mov_b32_e32 v52, 0
	s_mov_b32 s42, exec_lo
	v_cmpx_ne_u32_e32 0, v1
	s_cbranch_execz .LBB6_13760
; %bb.13749:                            ;   in Loop: Header=BB6_12546 Depth=2
	v_bfe_u32 v27, v1, 23, 8
	v_or_b32_e32 v2, 0x800000, v24
	s_delay_alu instid0(VALU_DEP_2) | instskip(SKIP_1) | instid1(VALU_DEP_2)
	v_sub_nc_u32_e32 v0, 0x71, v27
	v_cmp_gt_u32_e32 vcc_lo, 0x72, v27
	v_cndmask_b32_e32 v0, 0, v0, vcc_lo
	v_cmp_eq_u32_e32 vcc_lo, 0, v27
	s_wait_loadcnt 0x5
	s_delay_alu instid0(VALU_DEP_2) | instskip(NEXT) | instid1(VALU_DEP_1)
	v_cndmask_b32_e64 v33, v0, 0x70, vcc_lo
	v_dual_cndmask_b32 v24, v2, v24, vcc_lo :: v_dual_add_nc_u32 v0, 21, v33
	v_add_nc_u32_e32 v3, 20, v33
	s_delay_alu instid0(VALU_DEP_2) | instskip(NEXT) | instid1(VALU_DEP_2)
	v_lshlrev_b64_e64 v[0:1], v0, -1
	v_lshlrev_b64_e64 v[2:3], v3, 1
	s_delay_alu instid0(VALU_DEP_2) | instskip(NEXT) | instid1(VALU_DEP_3)
	v_bfi_b32 v53, v1, 0, 0
	v_bfi_b32 v52, v0, 0, v24
	v_lshrrev_b64 v[0:1], v33, v[24:25]
	s_delay_alu instid0(VALU_DEP_2) | instskip(NEXT) | instid1(VALU_DEP_2)
	v_cmp_eq_u64_e64 s7, v[52:53], v[2:3]
	v_mov_b64_e32 v[2:3], v[0:1]
	s_and_saveexec_b32 s43, s7
; %bb.13750:                            ;   in Loop: Header=BB6_12546 Depth=2
	v_bfe_u32 v24, v0, 21, 1
	s_delay_alu instid0(VALU_DEP_1) | instskip(NEXT) | instid1(VALU_DEP_1)
	v_add_nc_u64_e32 v[2:3], v[0:1], v[24:25]
	v_add_nc_u64_e32 v[2:3], -1, v[2:3]
; %bb.13751:                            ;   in Loop: Header=BB6_12546 Depth=2
	s_or_b32 exec_lo, exec_lo, s43
	v_add_nc_u32_e32 v1, 0xffffff81, v27
	v_lshrrev_b32_e32 v3, 23, v0
	s_mov_b32 s7, exec_lo
	s_delay_alu instid0(VALU_DEP_2) | instskip(NEXT) | instid1(VALU_DEP_1)
	v_cndmask_b32_e64 v1, v1, 0xffffff82, vcc_lo
	v_add3_u32 v3, v33, v1, v3
	v_and_b32_e32 v1, 0x1fffff, v2
                                        ; implicit-def: $vgpr2
	s_delay_alu instid0(VALU_DEP_1) | instskip(NEXT) | instid1(VALU_DEP_1)
	v_dual_add_nc_u32 v27, 14, v3 :: v_dual_add_nc_u32 v24, v1, v0
                                        ; implicit-def: $vgpr0_vgpr1
	v_cmpx_ne_u32_e32 0, v27
	s_xor_b32 s7, exec_lo, s7
; %bb.13752:                            ;   in Loop: Header=BB6_12546 Depth=2
	s_delay_alu instid0(VALU_DEP_2) | instskip(SKIP_1) | instid1(VALU_DEP_1)
	v_cmp_lt_u64_e32 vcc_lo, 0xffffff, v[24:25]
	v_add_nc_u32_e32 v0, 15, v3
	v_cndmask_b32_e32 v2, v27, v0, vcc_lo
	v_cndmask_b32_e64 v0, 0, 1, vcc_lo
	s_delay_alu instid0(VALU_DEP_1)
	v_lshrrev_b64 v[0:1], v0, v[24:25]
; %bb.13753:                            ;   in Loop: Header=BB6_12546 Depth=2
	s_and_not1_saveexec_b32 s7, s7
; %bb.13754:                            ;   in Loop: Header=BB6_12546 Depth=2
	v_mov_b64_e32 v[0:1], v[24:25]
	v_bfe_u32 v2, v24, 23, 1
; %bb.13755:                            ;   in Loop: Header=BB6_12546 Depth=2
	s_or_b32 exec_lo, exec_lo, s7
	s_delay_alu instid0(VALU_DEP_2) | instskip(NEXT) | instid1(VALU_DEP_2)
	v_lshrrev_b64 v[0:1], 21, v[0:1]
	v_cmp_gt_i32_e32 vcc_lo, 32, v2
	v_cmp_ne_u32_e64 s7, 0, v2
                                        ; implicit-def: $vgpr52
	s_delay_alu instid0(VALU_DEP_3) | instskip(NEXT) | instid1(VALU_DEP_1)
	v_dual_cndmask_b32 v1, 0, v1 :: v_dual_cndmask_b32 v0, 3, v0
	v_cmp_ne_u64_e32 vcc_lo, 0, v[0:1]
	s_or_b32 s7, s7, vcc_lo
	s_delay_alu instid0(SALU_CYCLE_1) | instskip(NEXT) | instid1(SALU_CYCLE_1)
	s_and_saveexec_b32 s43, s7
	s_xor_b32 s7, exec_lo, s43
; %bb.13756:                            ;   in Loop: Header=BB6_12546 Depth=2
	v_min_i32_e32 v1, 31, v2
	s_delay_alu instid0(VALU_DEP_1) | instskip(NEXT) | instid1(VALU_DEP_1)
	v_lshl_or_b32 v1, v1, 2, v23
                                        ; implicit-def: $vgpr23
	v_and_or_b32 v52, v0, 3, v1
; %bb.13757:                            ;   in Loop: Header=BB6_12546 Depth=2
	s_and_not1_saveexec_b32 s7, s7
; %bb.13758:                            ;   in Loop: Header=BB6_12546 Depth=2
	v_mov_b32_e32 v52, v23
; %bb.13759:                            ;   in Loop: Header=BB6_12546 Depth=2
	s_or_b32 exec_lo, exec_lo, s7
.LBB6_13760:                            ;   in Loop: Header=BB6_12546 Depth=2
	s_delay_alu instid0(SALU_CYCLE_1)
	s_or_b32 exec_lo, exec_lo, s42
                                        ; implicit-def: $vgpr23
.LBB6_13761:                            ;   in Loop: Header=BB6_12546 Depth=2
	s_and_not1_saveexec_b32 s7, s41
; %bb.13762:                            ;   in Loop: Header=BB6_12546 Depth=2
	v_or_b32_e32 v52, 0x7b, v23
; %bb.13763:                            ;   in Loop: Header=BB6_12546 Depth=2
	s_or_b32 exec_lo, exec_lo, s7
                                        ; implicit-def: $vgpr1
.LBB6_13764:                            ;   in Loop: Header=BB6_12546 Depth=2
	s_and_not1_saveexec_b32 s7, s10
	s_cbranch_execz .LBB6_13770
; %bb.13765:                            ;   in Loop: Header=BB6_12546 Depth=2
	s_mov_b32 s10, exec_lo
                                        ; implicit-def: $vgpr52
	v_cmpx_ne_u64_e32 0, v[24:25]
	s_xor_b32 s10, exec_lo, s10
; %bb.13766:                            ;   in Loop: Header=BB6_12546 Depth=2
	v_lshrrev_b32_e32 v0, 24, v1
                                        ; implicit-def: $vgpr1
	s_delay_alu instid0(VALU_DEP_1)
	v_or_b32_e32 v52, 0x7f, v0
; %bb.13767:                            ;   in Loop: Header=BB6_12546 Depth=2
	s_and_not1_saveexec_b32 s10, s10
; %bb.13768:                            ;   in Loop: Header=BB6_12546 Depth=2
	v_cmp_lt_i32_e32 vcc_lo, -1, v1
	v_cndmask_b32_e64 v52, -4, 0x7c, vcc_lo
; %bb.13769:                            ;   in Loop: Header=BB6_12546 Depth=2
	s_or_b32 exec_lo, exec_lo, s10
.LBB6_13770:                            ;   in Loop: Header=BB6_12546 Depth=2
	s_delay_alu instid0(SALU_CYCLE_1)
	s_or_b32 exec_lo, exec_lo, s7
	v_and_b32_e32 v0, 0xff, v90
	v_cmp_ne_u16_e64 s7, 0, v90
	s_and_not1_b32 vcc_lo, exec_lo, s14
	s_mov_b32 s10, -1
                                        ; implicit-def: $vgpr1
	s_cbranch_vccnz .LBB6_13792
; %bb.13771:                            ;   in Loop: Header=BB6_12546 Depth=2
	v_dual_mov_b32 v2, 0 :: v_dual_mov_b32 v1, 0
	s_and_saveexec_b32 s10, s7
	s_cbranch_execz .LBB6_13781
; %bb.13772:                            ;   in Loop: Header=BB6_12546 Depth=2
	v_bfrev_b32_e32 v1, 1
	s_mov_b32 s41, exec_lo
	v_cmpx_ne_u16_e32 0xff80, v90
	s_cbranch_execz .LBB6_13780
; %bb.13773:                            ;   in Loop: Header=BB6_12546 Depth=2
	v_and_b32_e32 v1, 0x7c, v0
	v_and_b32_e32 v3, 3, v0
	s_delay_alu instid0(VALU_DEP_2) | instskip(SKIP_1) | instid1(SALU_CYCLE_1)
	v_cmp_ne_u32_e32 vcc_lo, 0x7c, v1
                                        ; implicit-def: $vgpr1
	s_and_saveexec_b32 s42, vcc_lo
	s_xor_b32 s42, exec_lo, s42
	s_cbranch_execz .LBB6_13777
; %bb.13774:                            ;   in Loop: Header=BB6_12546 Depth=2
	v_bfe_u32 v1, v0, 2, 5
	s_mov_b32 s43, exec_lo
	s_delay_alu instid0(VALU_DEP_1)
	v_cmpx_eq_u32_e32 0, v1
	s_cbranch_execz .LBB6_13776
; %bb.13775:                            ;   in Loop: Header=BB6_12546 Depth=2
	v_clz_i32_u32_e32 v1, v3
	s_delay_alu instid0(VALU_DEP_1) | instskip(SKIP_1) | instid1(VALU_DEP_2)
	v_min_u32_e32 v1, 32, v1
	v_mov_b32_e32 v91, v25
	v_subrev_nc_u32_e32 v3, 29, v1
	v_sub_nc_u32_e32 v1, 30, v1
	s_delay_alu instid0(VALU_DEP_2) | instskip(NEXT) | instid1(VALU_DEP_1)
	v_lshlrev_b64_e32 v[54:55], v3, v[90:91]
	v_and_b32_e32 v3, 3, v54
.LBB6_13776:                            ;   in Loop: Header=BB6_12546 Depth=2
	s_or_b32 exec_lo, exec_lo, s43
	v_bfe_i32 v23, v90, 0, 16
	s_delay_alu instid0(VALU_DEP_1) | instskip(NEXT) | instid1(VALU_DEP_1)
	v_and_b32_e32 v23, 0x80000000, v23
	v_lshl_add_u32 v1, v1, 23, v23
	s_delay_alu instid0(VALU_DEP_1) | instskip(NEXT) | instid1(VALU_DEP_1)
	v_lshl_or_b32 v1, v3, 21, v1
                                        ; implicit-def: $vgpr3
	v_add_nc_u32_e32 v1, 0x38000000, v1
.LBB6_13777:                            ;   in Loop: Header=BB6_12546 Depth=2
	s_and_not1_saveexec_b32 s42, s42
; %bb.13778:                            ;   in Loop: Header=BB6_12546 Depth=2
	v_cmp_lt_i16_e32 vcc_lo, -1, v90
	v_cndmask_b32_e32 v1, 0xff800000, v40, vcc_lo
	v_cmp_eq_u32_e32 vcc_lo, 0, v3
	s_delay_alu instid0(VALU_DEP_2)
	v_cndmask_b32_e32 v1, 0x7f800001, v1, vcc_lo
; %bb.13779:                            ;   in Loop: Header=BB6_12546 Depth=2
	s_or_b32 exec_lo, exec_lo, s42
.LBB6_13780:                            ;   in Loop: Header=BB6_12546 Depth=2
	s_delay_alu instid0(SALU_CYCLE_1)
	s_or_b32 exec_lo, exec_lo, s41
.LBB6_13781:                            ;   in Loop: Header=BB6_12546 Depth=2
	s_delay_alu instid0(SALU_CYCLE_1) | instskip(NEXT) | instid1(SALU_CYCLE_1)
	s_or_b32 exec_lo, exec_lo, s10
	s_mov_b32 s10, exec_lo
	v_cmpx_ne_u16_e32 0, v46
	s_cbranch_execz .LBB6_13791
; %bb.13782:                            ;   in Loop: Header=BB6_12546 Depth=2
	v_bfrev_b32_e32 v2, 1
	s_mov_b32 s41, exec_lo
	v_cmpx_ne_u16_e32 0xff80, v46
	s_cbranch_execz .LBB6_13790
; %bb.13783:                            ;   in Loop: Header=BB6_12546 Depth=2
	v_and_b32_e32 v2, 0x7c, v46
	v_and_b32_e32 v3, 3, v46
	s_delay_alu instid0(VALU_DEP_2) | instskip(SKIP_1) | instid1(SALU_CYCLE_1)
	v_cmp_ne_u32_e32 vcc_lo, 0x7c, v2
                                        ; implicit-def: $vgpr2
	s_and_saveexec_b32 s42, vcc_lo
	s_xor_b32 s42, exec_lo, s42
	s_cbranch_execz .LBB6_13787
; %bb.13784:                            ;   in Loop: Header=BB6_12546 Depth=2
	v_and_b32_e32 v2, 0xff, v46
	s_mov_b32 s43, exec_lo
	s_delay_alu instid0(VALU_DEP_1) | instskip(NEXT) | instid1(VALU_DEP_1)
	v_bfe_u32 v2, v2, 2, 5
	v_cmpx_eq_u32_e32 0, v2
	s_cbranch_execz .LBB6_13786
; %bb.13785:                            ;   in Loop: Header=BB6_12546 Depth=2
	v_clz_i32_u32_e32 v2, v3
	s_delay_alu instid0(VALU_DEP_1) | instskip(SKIP_1) | instid1(VALU_DEP_2)
	v_min_u32_e32 v2, 32, v2
	v_mov_b32_e32 v47, v25
	v_subrev_nc_u32_e32 v3, 29, v2
	v_sub_nc_u32_e32 v2, 30, v2
	s_delay_alu instid0(VALU_DEP_2) | instskip(NEXT) | instid1(VALU_DEP_1)
	v_lshlrev_b64_e32 v[54:55], v3, v[46:47]
	v_and_b32_e32 v3, 3, v54
.LBB6_13786:                            ;   in Loop: Header=BB6_12546 Depth=2
	s_or_b32 exec_lo, exec_lo, s43
	v_bfe_i32 v23, v46, 0, 16
	s_delay_alu instid0(VALU_DEP_1) | instskip(NEXT) | instid1(VALU_DEP_1)
	v_and_b32_e32 v23, 0x80000000, v23
	v_lshl_add_u32 v2, v2, 23, v23
	s_delay_alu instid0(VALU_DEP_1) | instskip(NEXT) | instid1(VALU_DEP_1)
	v_lshl_or_b32 v2, v3, 21, v2
                                        ; implicit-def: $vgpr3
	v_add_nc_u32_e32 v2, 0x38000000, v2
.LBB6_13787:                            ;   in Loop: Header=BB6_12546 Depth=2
	s_and_not1_saveexec_b32 s42, s42
; %bb.13788:                            ;   in Loop: Header=BB6_12546 Depth=2
	v_cmp_lt_i16_e32 vcc_lo, -1, v46
	v_cndmask_b32_e32 v2, 0xff800000, v40, vcc_lo
	v_cmp_eq_u32_e32 vcc_lo, 0, v3
	s_delay_alu instid0(VALU_DEP_2)
	v_cndmask_b32_e32 v2, 0x7f800001, v2, vcc_lo
; %bb.13789:                            ;   in Loop: Header=BB6_12546 Depth=2
	s_or_b32 exec_lo, exec_lo, s42
.LBB6_13790:                            ;   in Loop: Header=BB6_12546 Depth=2
	s_delay_alu instid0(SALU_CYCLE_1)
	s_or_b32 exec_lo, exec_lo, s41
.LBB6_13791:                            ;   in Loop: Header=BB6_12546 Depth=2
	s_delay_alu instid0(SALU_CYCLE_1) | instskip(NEXT) | instid1(VALU_DEP_1)
	s_or_b32 exec_lo, exec_lo, s10
	v_dual_max_num_f32 v2, v2, v2 :: v_dual_max_num_f32 v1, v1, v1
	s_mov_b32 s10, 0
	s_delay_alu instid0(VALU_DEP_1)
	v_max_num_f32_e32 v1, v1, v2
.LBB6_13792:                            ;   in Loop: Header=BB6_12546 Depth=2
	s_and_b32 vcc_lo, exec_lo, s10
	s_cbranch_vccz .LBB6_13814
; %bb.13793:                            ;   in Loop: Header=BB6_12546 Depth=2
	v_dual_mov_b32 v2, 0 :: v_dual_mov_b32 v1, 0
	s_and_saveexec_b32 s10, s7
	s_cbranch_execz .LBB6_13803
; %bb.13794:                            ;   in Loop: Header=BB6_12546 Depth=2
	v_bfrev_b32_e32 v1, 1
	s_mov_b32 s7, exec_lo
	v_cmpx_ne_u16_e32 0xff80, v90
	s_cbranch_execz .LBB6_13802
; %bb.13795:                            ;   in Loop: Header=BB6_12546 Depth=2
	v_and_b32_e32 v1, 0x7c, v0
	v_and_b32_e32 v3, 3, v0
	s_delay_alu instid0(VALU_DEP_2) | instskip(SKIP_1) | instid1(SALU_CYCLE_1)
	v_cmp_ne_u32_e32 vcc_lo, 0x7c, v1
                                        ; implicit-def: $vgpr1
	s_and_saveexec_b32 s41, vcc_lo
	s_xor_b32 s41, exec_lo, s41
	s_cbranch_execz .LBB6_13799
; %bb.13796:                            ;   in Loop: Header=BB6_12546 Depth=2
	v_bfe_u32 v0, v0, 2, 5
	s_mov_b32 s42, exec_lo
	s_delay_alu instid0(VALU_DEP_1)
	v_cmpx_eq_u32_e32 0, v0
	s_cbranch_execz .LBB6_13798
; %bb.13797:                            ;   in Loop: Header=BB6_12546 Depth=2
	v_clz_i32_u32_e32 v0, v3
	s_delay_alu instid0(VALU_DEP_1) | instskip(SKIP_1) | instid1(VALU_DEP_2)
	v_min_u32_e32 v0, 32, v0
	v_mov_b32_e32 v91, v25
	v_subrev_nc_u32_e32 v1, 29, v0
	v_sub_nc_u32_e32 v0, 30, v0
	s_delay_alu instid0(VALU_DEP_2) | instskip(NEXT) | instid1(VALU_DEP_1)
	v_lshlrev_b64_e32 v[54:55], v1, v[90:91]
	v_and_b32_e32 v3, 3, v54
.LBB6_13798:                            ;   in Loop: Header=BB6_12546 Depth=2
	s_or_b32 exec_lo, exec_lo, s42
	v_bfe_i32 v1, v90, 0, 16
                                        ; implicit-def: $vgpr90
	s_delay_alu instid0(VALU_DEP_1) | instskip(NEXT) | instid1(VALU_DEP_1)
	v_and_b32_e32 v1, 0x80000000, v1
	v_lshl_add_u32 v0, v0, 23, v1
	s_delay_alu instid0(VALU_DEP_1) | instskip(NEXT) | instid1(VALU_DEP_1)
	v_lshl_or_b32 v0, v3, 21, v0
                                        ; implicit-def: $vgpr3
	v_add_nc_u32_e32 v1, 0x38000000, v0
.LBB6_13799:                            ;   in Loop: Header=BB6_12546 Depth=2
	s_and_not1_saveexec_b32 s41, s41
; %bb.13800:                            ;   in Loop: Header=BB6_12546 Depth=2
	v_cmp_lt_i16_e32 vcc_lo, -1, v90
	v_cndmask_b32_e32 v0, 0xff800000, v40, vcc_lo
	v_cmp_eq_u32_e32 vcc_lo, 0, v3
	s_delay_alu instid0(VALU_DEP_2)
	v_cndmask_b32_e32 v1, 0x7f800001, v0, vcc_lo
; %bb.13801:                            ;   in Loop: Header=BB6_12546 Depth=2
	s_or_b32 exec_lo, exec_lo, s41
.LBB6_13802:                            ;   in Loop: Header=BB6_12546 Depth=2
	s_delay_alu instid0(SALU_CYCLE_1)
	s_or_b32 exec_lo, exec_lo, s7
.LBB6_13803:                            ;   in Loop: Header=BB6_12546 Depth=2
	s_delay_alu instid0(SALU_CYCLE_1) | instskip(NEXT) | instid1(SALU_CYCLE_1)
	s_or_b32 exec_lo, exec_lo, s10
	s_mov_b32 s7, exec_lo
	v_cmpx_ne_u16_e32 0, v46
	s_cbranch_execz .LBB6_13813
; %bb.13804:                            ;   in Loop: Header=BB6_12546 Depth=2
	v_bfrev_b32_e32 v2, 1
	s_mov_b32 s10, exec_lo
	v_cmpx_ne_u16_e32 0xff80, v46
	s_cbranch_execz .LBB6_13812
; %bb.13805:                            ;   in Loop: Header=BB6_12546 Depth=2
	v_and_b32_e32 v2, 0x7c, v46
	v_and_b32_e32 v0, 3, v46
	s_delay_alu instid0(VALU_DEP_2) | instskip(SKIP_1) | instid1(SALU_CYCLE_1)
	v_cmp_ne_u32_e32 vcc_lo, 0x7c, v2
                                        ; implicit-def: $vgpr2
	s_and_saveexec_b32 s41, vcc_lo
	s_xor_b32 s41, exec_lo, s41
	s_cbranch_execz .LBB6_13809
; %bb.13806:                            ;   in Loop: Header=BB6_12546 Depth=2
	v_and_b32_e32 v2, 0xff, v46
	s_mov_b32 s42, exec_lo
	s_delay_alu instid0(VALU_DEP_1) | instskip(NEXT) | instid1(VALU_DEP_1)
	v_bfe_u32 v2, v2, 2, 5
	v_cmpx_eq_u32_e32 0, v2
; %bb.13807:                            ;   in Loop: Header=BB6_12546 Depth=2
	v_clz_i32_u32_e32 v0, v0
	s_delay_alu instid0(VALU_DEP_1) | instskip(SKIP_1) | instid1(VALU_DEP_2)
	v_min_u32_e32 v0, 32, v0
	v_mov_b32_e32 v47, v25
	v_subrev_nc_u32_e32 v2, 29, v0
	s_delay_alu instid0(VALU_DEP_1) | instskip(NEXT) | instid1(VALU_DEP_1)
	v_lshlrev_b64_e32 v[54:55], v2, v[46:47]
	v_dual_sub_nc_u32 v2, 30, v0 :: v_dual_bitop2_b32 v0, 3, v54 bitop3:0x40
; %bb.13808:                            ;   in Loop: Header=BB6_12546 Depth=2
	s_or_b32 exec_lo, exec_lo, s42
	v_bfe_i32 v3, v46, 0, 16
                                        ; implicit-def: $vgpr46
	s_delay_alu instid0(VALU_DEP_1) | instskip(NEXT) | instid1(VALU_DEP_1)
	v_and_b32_e32 v3, 0x80000000, v3
	v_lshl_add_u32 v2, v2, 23, v3
	s_delay_alu instid0(VALU_DEP_1) | instskip(NEXT) | instid1(VALU_DEP_1)
	v_lshl_or_b32 v0, v0, 21, v2
	v_add_nc_u32_e32 v2, 0x38000000, v0
                                        ; implicit-def: $vgpr0
.LBB6_13809:                            ;   in Loop: Header=BB6_12546 Depth=2
	s_and_not1_saveexec_b32 s41, s41
; %bb.13810:                            ;   in Loop: Header=BB6_12546 Depth=2
	v_cmp_lt_i16_e32 vcc_lo, -1, v46
	v_cndmask_b32_e32 v2, 0xff800000, v40, vcc_lo
	v_cmp_eq_u32_e32 vcc_lo, 0, v0
	s_delay_alu instid0(VALU_DEP_2)
	v_cndmask_b32_e32 v2, 0x7f800001, v2, vcc_lo
; %bb.13811:                            ;   in Loop: Header=BB6_12546 Depth=2
	s_or_b32 exec_lo, exec_lo, s41
.LBB6_13812:                            ;   in Loop: Header=BB6_12546 Depth=2
	s_delay_alu instid0(SALU_CYCLE_1)
	s_or_b32 exec_lo, exec_lo, s10
.LBB6_13813:                            ;   in Loop: Header=BB6_12546 Depth=2
	s_delay_alu instid0(SALU_CYCLE_1) | instskip(NEXT) | instid1(VALU_DEP_1)
	s_or_b32 exec_lo, exec_lo, s7
	v_dual_max_num_f32 v0, v2, v2 :: v_dual_max_num_f32 v1, v1, v1
	s_delay_alu instid0(VALU_DEP_1)
	v_min_num_f32_e32 v1, v1, v0
.LBB6_13814:                            ;   in Loop: Header=BB6_12546 Depth=2
	s_delay_alu instid0(VALU_DEP_1) | instskip(SKIP_3) | instid1(VALU_DEP_2)
	v_and_b32_e32 v2, 0x7f800000, v1
	v_mov_b32_e32 v3, v25
	v_and_b32_e32 v24, 0x7fffff, v1
                                        ; implicit-def: $vgpr53
	s_mov_b32 s7, exec_lo
	v_cmpx_ne_u64_e32 0x7f800000, v[2:3]
	s_xor_b32 s10, exec_lo, s7
	s_cbranch_execz .LBB6_13832
; %bb.13815:                            ;   in Loop: Header=BB6_12546 Depth=2
	v_dual_mov_b32 v3, v25 :: v_dual_lshrrev_b32 v0, 24, v1
	v_and_b32_e32 v2, 0x7fffffff, v1
                                        ; implicit-def: $vgpr53
	s_mov_b32 s7, exec_lo
	s_delay_alu instid0(VALU_DEP_2) | instskip(NEXT) | instid1(VALU_DEP_2)
	v_and_b32_e32 v23, 0x80, v0
	v_cmpx_gt_u64_e32 0x47600001, v[2:3]
	s_xor_b32 s41, exec_lo, s7
	s_cbranch_execz .LBB6_13829
; %bb.13816:                            ;   in Loop: Header=BB6_12546 Depth=2
	v_mov_b32_e32 v53, 0
	s_mov_b32 s42, exec_lo
	v_cmpx_ne_u32_e32 0, v1
	s_cbranch_execz .LBB6_13828
; %bb.13817:                            ;   in Loop: Header=BB6_12546 Depth=2
	v_bfe_u32 v27, v1, 23, 8
	v_or_b32_e32 v2, 0x800000, v24
	s_delay_alu instid0(VALU_DEP_2) | instskip(SKIP_1) | instid1(VALU_DEP_2)
	v_sub_nc_u32_e32 v0, 0x71, v27
	v_cmp_gt_u32_e32 vcc_lo, 0x72, v27
	v_cndmask_b32_e32 v0, 0, v0, vcc_lo
	v_cmp_eq_u32_e32 vcc_lo, 0, v27
	s_wait_loadcnt 0x5
	s_delay_alu instid0(VALU_DEP_2) | instskip(NEXT) | instid1(VALU_DEP_1)
	v_cndmask_b32_e64 v33, v0, 0x70, vcc_lo
	v_dual_cndmask_b32 v24, v2, v24, vcc_lo :: v_dual_add_nc_u32 v0, 21, v33
	v_add_nc_u32_e32 v3, 20, v33
	s_delay_alu instid0(VALU_DEP_2) | instskip(NEXT) | instid1(VALU_DEP_2)
	v_lshlrev_b64_e64 v[0:1], v0, -1
	v_lshlrev_b64_e64 v[2:3], v3, 1
	s_delay_alu instid0(VALU_DEP_2) | instskip(NEXT) | instid1(VALU_DEP_3)
	v_bfi_b32 v55, v1, 0, 0
	v_bfi_b32 v54, v0, 0, v24
	v_lshrrev_b64 v[0:1], v33, v[24:25]
	s_delay_alu instid0(VALU_DEP_2) | instskip(NEXT) | instid1(VALU_DEP_2)
	v_cmp_eq_u64_e64 s7, v[54:55], v[2:3]
	v_mov_b64_e32 v[2:3], v[0:1]
	s_and_saveexec_b32 s43, s7
; %bb.13818:                            ;   in Loop: Header=BB6_12546 Depth=2
	v_bfe_u32 v24, v0, 21, 1
	s_delay_alu instid0(VALU_DEP_1) | instskip(NEXT) | instid1(VALU_DEP_1)
	v_add_nc_u64_e32 v[2:3], v[0:1], v[24:25]
	v_add_nc_u64_e32 v[2:3], -1, v[2:3]
; %bb.13819:                            ;   in Loop: Header=BB6_12546 Depth=2
	s_or_b32 exec_lo, exec_lo, s43
	v_add_nc_u32_e32 v1, 0xffffff81, v27
	v_lshrrev_b32_e32 v3, 23, v0
	s_mov_b32 s7, exec_lo
	s_delay_alu instid0(VALU_DEP_2) | instskip(NEXT) | instid1(VALU_DEP_1)
	v_cndmask_b32_e64 v1, v1, 0xffffff82, vcc_lo
	v_add3_u32 v3, v33, v1, v3
	v_and_b32_e32 v1, 0x1fffff, v2
                                        ; implicit-def: $vgpr2
	s_delay_alu instid0(VALU_DEP_1) | instskip(NEXT) | instid1(VALU_DEP_1)
	v_dual_add_nc_u32 v27, 14, v3 :: v_dual_add_nc_u32 v24, v1, v0
                                        ; implicit-def: $vgpr0_vgpr1
	v_cmpx_ne_u32_e32 0, v27
	s_xor_b32 s7, exec_lo, s7
; %bb.13820:                            ;   in Loop: Header=BB6_12546 Depth=2
	s_delay_alu instid0(VALU_DEP_2) | instskip(SKIP_1) | instid1(VALU_DEP_1)
	v_cmp_lt_u64_e32 vcc_lo, 0xffffff, v[24:25]
	v_add_nc_u32_e32 v0, 15, v3
	v_cndmask_b32_e32 v2, v27, v0, vcc_lo
	v_cndmask_b32_e64 v0, 0, 1, vcc_lo
	s_delay_alu instid0(VALU_DEP_1)
	v_lshrrev_b64 v[0:1], v0, v[24:25]
; %bb.13821:                            ;   in Loop: Header=BB6_12546 Depth=2
	s_and_not1_saveexec_b32 s7, s7
; %bb.13822:                            ;   in Loop: Header=BB6_12546 Depth=2
	v_mov_b64_e32 v[0:1], v[24:25]
	v_bfe_u32 v2, v24, 23, 1
; %bb.13823:                            ;   in Loop: Header=BB6_12546 Depth=2
	s_or_b32 exec_lo, exec_lo, s7
	s_delay_alu instid0(VALU_DEP_2) | instskip(NEXT) | instid1(VALU_DEP_2)
	v_lshrrev_b64 v[0:1], 21, v[0:1]
	v_cmp_gt_i32_e32 vcc_lo, 32, v2
	v_cmp_ne_u32_e64 s7, 0, v2
                                        ; implicit-def: $vgpr53
	s_delay_alu instid0(VALU_DEP_3) | instskip(NEXT) | instid1(VALU_DEP_1)
	v_dual_cndmask_b32 v1, 0, v1 :: v_dual_cndmask_b32 v0, 3, v0
	v_cmp_ne_u64_e32 vcc_lo, 0, v[0:1]
	s_or_b32 s7, s7, vcc_lo
	s_delay_alu instid0(SALU_CYCLE_1) | instskip(NEXT) | instid1(SALU_CYCLE_1)
	s_and_saveexec_b32 s43, s7
	s_xor_b32 s7, exec_lo, s43
; %bb.13824:                            ;   in Loop: Header=BB6_12546 Depth=2
	v_min_i32_e32 v1, 31, v2
	s_delay_alu instid0(VALU_DEP_1) | instskip(NEXT) | instid1(VALU_DEP_1)
	v_lshl_or_b32 v1, v1, 2, v23
                                        ; implicit-def: $vgpr23
	v_and_or_b32 v53, v0, 3, v1
; %bb.13825:                            ;   in Loop: Header=BB6_12546 Depth=2
	s_and_not1_saveexec_b32 s7, s7
; %bb.13826:                            ;   in Loop: Header=BB6_12546 Depth=2
	v_mov_b32_e32 v53, v23
; %bb.13827:                            ;   in Loop: Header=BB6_12546 Depth=2
	s_or_b32 exec_lo, exec_lo, s7
.LBB6_13828:                            ;   in Loop: Header=BB6_12546 Depth=2
	s_delay_alu instid0(SALU_CYCLE_1)
	s_or_b32 exec_lo, exec_lo, s42
                                        ; implicit-def: $vgpr23
.LBB6_13829:                            ;   in Loop: Header=BB6_12546 Depth=2
	s_and_not1_saveexec_b32 s7, s41
; %bb.13830:                            ;   in Loop: Header=BB6_12546 Depth=2
	v_or_b32_e32 v53, 0x7b, v23
; %bb.13831:                            ;   in Loop: Header=BB6_12546 Depth=2
	s_or_b32 exec_lo, exec_lo, s7
                                        ; implicit-def: $vgpr1
.LBB6_13832:                            ;   in Loop: Header=BB6_12546 Depth=2
	s_and_not1_saveexec_b32 s7, s10
	s_cbranch_execz .LBB6_13838
; %bb.13833:                            ;   in Loop: Header=BB6_12546 Depth=2
	s_mov_b32 s10, exec_lo
                                        ; implicit-def: $vgpr53
	v_cmpx_ne_u64_e32 0, v[24:25]
	s_xor_b32 s10, exec_lo, s10
; %bb.13834:                            ;   in Loop: Header=BB6_12546 Depth=2
	v_lshrrev_b32_e32 v0, 24, v1
                                        ; implicit-def: $vgpr1
	s_delay_alu instid0(VALU_DEP_1)
	v_or_b32_e32 v53, 0x7f, v0
; %bb.13835:                            ;   in Loop: Header=BB6_12546 Depth=2
	s_and_not1_saveexec_b32 s10, s10
; %bb.13836:                            ;   in Loop: Header=BB6_12546 Depth=2
	v_cmp_lt_i32_e32 vcc_lo, -1, v1
	v_cndmask_b32_e64 v53, -4, 0x7c, vcc_lo
; %bb.13837:                            ;   in Loop: Header=BB6_12546 Depth=2
	s_or_b32 exec_lo, exec_lo, s10
.LBB6_13838:                            ;   in Loop: Header=BB6_12546 Depth=2
	s_delay_alu instid0(SALU_CYCLE_1)
	s_or_b32 exec_lo, exec_lo, s7
	v_and_b32_e32 v0, 0xff, v78
	v_cmp_ne_u16_e64 s7, 0, v78
	s_and_not1_b32 vcc_lo, exec_lo, s14
	s_mov_b32 s10, -1
                                        ; implicit-def: $vgpr1
	s_cbranch_vccnz .LBB6_13860
; %bb.13839:                            ;   in Loop: Header=BB6_12546 Depth=2
	v_dual_mov_b32 v2, 0 :: v_dual_mov_b32 v1, 0
	s_and_saveexec_b32 s10, s7
	s_cbranch_execz .LBB6_13849
; %bb.13840:                            ;   in Loop: Header=BB6_12546 Depth=2
	v_bfrev_b32_e32 v1, 1
	s_mov_b32 s41, exec_lo
	v_cmpx_ne_u16_e32 0xff80, v78
	s_cbranch_execz .LBB6_13848
; %bb.13841:                            ;   in Loop: Header=BB6_12546 Depth=2
	v_and_b32_e32 v1, 0x7c, v0
	v_and_b32_e32 v3, 3, v0
	s_delay_alu instid0(VALU_DEP_2) | instskip(SKIP_1) | instid1(SALU_CYCLE_1)
	v_cmp_ne_u32_e32 vcc_lo, 0x7c, v1
                                        ; implicit-def: $vgpr1
	s_and_saveexec_b32 s42, vcc_lo
	s_xor_b32 s42, exec_lo, s42
	s_cbranch_execz .LBB6_13845
; %bb.13842:                            ;   in Loop: Header=BB6_12546 Depth=2
	v_bfe_u32 v1, v0, 2, 5
	s_mov_b32 s43, exec_lo
	s_delay_alu instid0(VALU_DEP_1)
	v_cmpx_eq_u32_e32 0, v1
	s_cbranch_execz .LBB6_13844
; %bb.13843:                            ;   in Loop: Header=BB6_12546 Depth=2
	v_clz_i32_u32_e32 v1, v3
	s_delay_alu instid0(VALU_DEP_1) | instskip(SKIP_1) | instid1(VALU_DEP_2)
	v_min_u32_e32 v1, 32, v1
	v_mov_b32_e32 v79, v25
	v_subrev_nc_u32_e32 v3, 29, v1
	v_sub_nc_u32_e32 v1, 30, v1
	s_delay_alu instid0(VALU_DEP_2) | instskip(NEXT) | instid1(VALU_DEP_1)
	v_lshlrev_b64_e32 v[54:55], v3, v[78:79]
	v_and_b32_e32 v3, 3, v54
.LBB6_13844:                            ;   in Loop: Header=BB6_12546 Depth=2
	s_or_b32 exec_lo, exec_lo, s43
	v_bfe_i32 v23, v78, 0, 16
	s_delay_alu instid0(VALU_DEP_1) | instskip(NEXT) | instid1(VALU_DEP_1)
	v_and_b32_e32 v23, 0x80000000, v23
	v_lshl_add_u32 v1, v1, 23, v23
	s_delay_alu instid0(VALU_DEP_1) | instskip(NEXT) | instid1(VALU_DEP_1)
	v_lshl_or_b32 v1, v3, 21, v1
                                        ; implicit-def: $vgpr3
	v_add_nc_u32_e32 v1, 0x38000000, v1
.LBB6_13845:                            ;   in Loop: Header=BB6_12546 Depth=2
	s_and_not1_saveexec_b32 s42, s42
; %bb.13846:                            ;   in Loop: Header=BB6_12546 Depth=2
	v_cmp_lt_i16_e32 vcc_lo, -1, v78
	v_cndmask_b32_e32 v1, 0xff800000, v40, vcc_lo
	v_cmp_eq_u32_e32 vcc_lo, 0, v3
	s_delay_alu instid0(VALU_DEP_2)
	v_cndmask_b32_e32 v1, 0x7f800001, v1, vcc_lo
; %bb.13847:                            ;   in Loop: Header=BB6_12546 Depth=2
	s_or_b32 exec_lo, exec_lo, s42
.LBB6_13848:                            ;   in Loop: Header=BB6_12546 Depth=2
	s_delay_alu instid0(SALU_CYCLE_1)
	s_or_b32 exec_lo, exec_lo, s41
.LBB6_13849:                            ;   in Loop: Header=BB6_12546 Depth=2
	s_delay_alu instid0(SALU_CYCLE_1) | instskip(NEXT) | instid1(SALU_CYCLE_1)
	s_or_b32 exec_lo, exec_lo, s10
	s_mov_b32 s10, exec_lo
	v_cmpx_ne_u16_e32 0, v64
	s_cbranch_execz .LBB6_13859
; %bb.13850:                            ;   in Loop: Header=BB6_12546 Depth=2
	v_bfrev_b32_e32 v2, 1
	s_mov_b32 s41, exec_lo
	v_cmpx_ne_u16_e32 0xff80, v64
	s_cbranch_execz .LBB6_13858
; %bb.13851:                            ;   in Loop: Header=BB6_12546 Depth=2
	v_and_b32_e32 v2, 0x7c, v64
	v_and_b32_e32 v3, 3, v64
	s_delay_alu instid0(VALU_DEP_2) | instskip(SKIP_1) | instid1(SALU_CYCLE_1)
	v_cmp_ne_u32_e32 vcc_lo, 0x7c, v2
                                        ; implicit-def: $vgpr2
	s_and_saveexec_b32 s42, vcc_lo
	s_xor_b32 s42, exec_lo, s42
	s_cbranch_execz .LBB6_13855
; %bb.13852:                            ;   in Loop: Header=BB6_12546 Depth=2
	v_and_b32_e32 v2, 0xff, v64
	s_mov_b32 s43, exec_lo
	s_delay_alu instid0(VALU_DEP_1) | instskip(NEXT) | instid1(VALU_DEP_1)
	v_bfe_u32 v2, v2, 2, 5
	v_cmpx_eq_u32_e32 0, v2
	s_cbranch_execz .LBB6_13854
; %bb.13853:                            ;   in Loop: Header=BB6_12546 Depth=2
	v_clz_i32_u32_e32 v2, v3
	s_delay_alu instid0(VALU_DEP_1) | instskip(SKIP_1) | instid1(VALU_DEP_2)
	v_min_u32_e32 v2, 32, v2
	v_mov_b32_e32 v65, v25
	v_subrev_nc_u32_e32 v3, 29, v2
	v_sub_nc_u32_e32 v2, 30, v2
	s_delay_alu instid0(VALU_DEP_2) | instskip(NEXT) | instid1(VALU_DEP_1)
	v_lshlrev_b64_e32 v[54:55], v3, v[64:65]
	v_and_b32_e32 v3, 3, v54
.LBB6_13854:                            ;   in Loop: Header=BB6_12546 Depth=2
	s_or_b32 exec_lo, exec_lo, s43
	v_bfe_i32 v23, v64, 0, 16
	s_delay_alu instid0(VALU_DEP_1) | instskip(NEXT) | instid1(VALU_DEP_1)
	v_and_b32_e32 v23, 0x80000000, v23
	v_lshl_add_u32 v2, v2, 23, v23
	s_delay_alu instid0(VALU_DEP_1) | instskip(NEXT) | instid1(VALU_DEP_1)
	v_lshl_or_b32 v2, v3, 21, v2
                                        ; implicit-def: $vgpr3
	v_add_nc_u32_e32 v2, 0x38000000, v2
.LBB6_13855:                            ;   in Loop: Header=BB6_12546 Depth=2
	s_and_not1_saveexec_b32 s42, s42
; %bb.13856:                            ;   in Loop: Header=BB6_12546 Depth=2
	v_cmp_lt_i16_e32 vcc_lo, -1, v64
	v_cndmask_b32_e32 v2, 0xff800000, v40, vcc_lo
	v_cmp_eq_u32_e32 vcc_lo, 0, v3
	s_delay_alu instid0(VALU_DEP_2)
	v_cndmask_b32_e32 v2, 0x7f800001, v2, vcc_lo
; %bb.13857:                            ;   in Loop: Header=BB6_12546 Depth=2
	s_or_b32 exec_lo, exec_lo, s42
.LBB6_13858:                            ;   in Loop: Header=BB6_12546 Depth=2
	s_delay_alu instid0(SALU_CYCLE_1)
	s_or_b32 exec_lo, exec_lo, s41
.LBB6_13859:                            ;   in Loop: Header=BB6_12546 Depth=2
	s_delay_alu instid0(SALU_CYCLE_1) | instskip(NEXT) | instid1(VALU_DEP_1)
	s_or_b32 exec_lo, exec_lo, s10
	v_dual_max_num_f32 v2, v2, v2 :: v_dual_max_num_f32 v1, v1, v1
	s_mov_b32 s10, 0
	s_delay_alu instid0(VALU_DEP_1)
	v_max_num_f32_e32 v1, v1, v2
.LBB6_13860:                            ;   in Loop: Header=BB6_12546 Depth=2
	s_and_b32 vcc_lo, exec_lo, s10
	s_cbranch_vccz .LBB6_13882
; %bb.13861:                            ;   in Loop: Header=BB6_12546 Depth=2
	v_dual_mov_b32 v2, 0 :: v_dual_mov_b32 v1, 0
	s_and_saveexec_b32 s10, s7
	s_cbranch_execz .LBB6_13871
; %bb.13862:                            ;   in Loop: Header=BB6_12546 Depth=2
	v_bfrev_b32_e32 v1, 1
	s_mov_b32 s7, exec_lo
	v_cmpx_ne_u16_e32 0xff80, v78
	s_cbranch_execz .LBB6_13870
; %bb.13863:                            ;   in Loop: Header=BB6_12546 Depth=2
	v_and_b32_e32 v1, 0x7c, v0
	v_and_b32_e32 v3, 3, v0
	s_delay_alu instid0(VALU_DEP_2) | instskip(SKIP_1) | instid1(SALU_CYCLE_1)
	v_cmp_ne_u32_e32 vcc_lo, 0x7c, v1
                                        ; implicit-def: $vgpr1
	s_and_saveexec_b32 s41, vcc_lo
	s_xor_b32 s41, exec_lo, s41
	s_cbranch_execz .LBB6_13867
; %bb.13864:                            ;   in Loop: Header=BB6_12546 Depth=2
	v_bfe_u32 v0, v0, 2, 5
	s_mov_b32 s42, exec_lo
	s_delay_alu instid0(VALU_DEP_1)
	v_cmpx_eq_u32_e32 0, v0
	s_cbranch_execz .LBB6_13866
; %bb.13865:                            ;   in Loop: Header=BB6_12546 Depth=2
	v_clz_i32_u32_e32 v0, v3
	s_delay_alu instid0(VALU_DEP_1) | instskip(SKIP_1) | instid1(VALU_DEP_2)
	v_min_u32_e32 v0, 32, v0
	v_mov_b32_e32 v79, v25
	v_subrev_nc_u32_e32 v1, 29, v0
	v_sub_nc_u32_e32 v0, 30, v0
	s_delay_alu instid0(VALU_DEP_2) | instskip(NEXT) | instid1(VALU_DEP_1)
	v_lshlrev_b64_e32 v[54:55], v1, v[78:79]
	v_and_b32_e32 v3, 3, v54
.LBB6_13866:                            ;   in Loop: Header=BB6_12546 Depth=2
	s_or_b32 exec_lo, exec_lo, s42
	v_bfe_i32 v1, v78, 0, 16
                                        ; implicit-def: $vgpr78
	s_delay_alu instid0(VALU_DEP_1) | instskip(NEXT) | instid1(VALU_DEP_1)
	v_and_b32_e32 v1, 0x80000000, v1
	v_lshl_add_u32 v0, v0, 23, v1
	s_delay_alu instid0(VALU_DEP_1) | instskip(NEXT) | instid1(VALU_DEP_1)
	v_lshl_or_b32 v0, v3, 21, v0
                                        ; implicit-def: $vgpr3
	v_add_nc_u32_e32 v1, 0x38000000, v0
.LBB6_13867:                            ;   in Loop: Header=BB6_12546 Depth=2
	s_and_not1_saveexec_b32 s41, s41
; %bb.13868:                            ;   in Loop: Header=BB6_12546 Depth=2
	v_cmp_lt_i16_e32 vcc_lo, -1, v78
	v_cndmask_b32_e32 v0, 0xff800000, v40, vcc_lo
	v_cmp_eq_u32_e32 vcc_lo, 0, v3
	s_delay_alu instid0(VALU_DEP_2)
	v_cndmask_b32_e32 v1, 0x7f800001, v0, vcc_lo
; %bb.13869:                            ;   in Loop: Header=BB6_12546 Depth=2
	s_or_b32 exec_lo, exec_lo, s41
.LBB6_13870:                            ;   in Loop: Header=BB6_12546 Depth=2
	s_delay_alu instid0(SALU_CYCLE_1)
	s_or_b32 exec_lo, exec_lo, s7
.LBB6_13871:                            ;   in Loop: Header=BB6_12546 Depth=2
	s_delay_alu instid0(SALU_CYCLE_1) | instskip(NEXT) | instid1(SALU_CYCLE_1)
	s_or_b32 exec_lo, exec_lo, s10
	s_mov_b32 s7, exec_lo
	v_cmpx_ne_u16_e32 0, v64
	s_cbranch_execz .LBB6_13881
; %bb.13872:                            ;   in Loop: Header=BB6_12546 Depth=2
	v_bfrev_b32_e32 v2, 1
	s_mov_b32 s10, exec_lo
	v_cmpx_ne_u16_e32 0xff80, v64
	s_cbranch_execz .LBB6_13880
; %bb.13873:                            ;   in Loop: Header=BB6_12546 Depth=2
	v_and_b32_e32 v2, 0x7c, v64
	v_and_b32_e32 v0, 3, v64
	s_delay_alu instid0(VALU_DEP_2) | instskip(SKIP_1) | instid1(SALU_CYCLE_1)
	v_cmp_ne_u32_e32 vcc_lo, 0x7c, v2
                                        ; implicit-def: $vgpr2
	s_and_saveexec_b32 s41, vcc_lo
	s_xor_b32 s41, exec_lo, s41
	s_cbranch_execz .LBB6_13877
; %bb.13874:                            ;   in Loop: Header=BB6_12546 Depth=2
	v_and_b32_e32 v2, 0xff, v64
	s_mov_b32 s42, exec_lo
	s_delay_alu instid0(VALU_DEP_1) | instskip(NEXT) | instid1(VALU_DEP_1)
	v_bfe_u32 v2, v2, 2, 5
	v_cmpx_eq_u32_e32 0, v2
; %bb.13875:                            ;   in Loop: Header=BB6_12546 Depth=2
	v_clz_i32_u32_e32 v0, v0
	s_delay_alu instid0(VALU_DEP_1) | instskip(SKIP_1) | instid1(VALU_DEP_2)
	v_min_u32_e32 v0, 32, v0
	v_mov_b32_e32 v65, v25
	v_subrev_nc_u32_e32 v2, 29, v0
	s_delay_alu instid0(VALU_DEP_1) | instskip(NEXT) | instid1(VALU_DEP_1)
	v_lshlrev_b64_e32 v[54:55], v2, v[64:65]
	v_dual_sub_nc_u32 v2, 30, v0 :: v_dual_bitop2_b32 v0, 3, v54 bitop3:0x40
; %bb.13876:                            ;   in Loop: Header=BB6_12546 Depth=2
	s_or_b32 exec_lo, exec_lo, s42
	v_bfe_i32 v3, v64, 0, 16
                                        ; implicit-def: $vgpr64
	s_delay_alu instid0(VALU_DEP_1) | instskip(NEXT) | instid1(VALU_DEP_1)
	v_and_b32_e32 v3, 0x80000000, v3
	v_lshl_add_u32 v2, v2, 23, v3
	s_delay_alu instid0(VALU_DEP_1) | instskip(NEXT) | instid1(VALU_DEP_1)
	v_lshl_or_b32 v0, v0, 21, v2
	v_add_nc_u32_e32 v2, 0x38000000, v0
                                        ; implicit-def: $vgpr0
.LBB6_13877:                            ;   in Loop: Header=BB6_12546 Depth=2
	s_and_not1_saveexec_b32 s41, s41
; %bb.13878:                            ;   in Loop: Header=BB6_12546 Depth=2
	v_cmp_lt_i16_e32 vcc_lo, -1, v64
	v_cndmask_b32_e32 v2, 0xff800000, v40, vcc_lo
	v_cmp_eq_u32_e32 vcc_lo, 0, v0
	s_delay_alu instid0(VALU_DEP_2)
	v_cndmask_b32_e32 v2, 0x7f800001, v2, vcc_lo
; %bb.13879:                            ;   in Loop: Header=BB6_12546 Depth=2
	s_or_b32 exec_lo, exec_lo, s41
.LBB6_13880:                            ;   in Loop: Header=BB6_12546 Depth=2
	s_delay_alu instid0(SALU_CYCLE_1)
	s_or_b32 exec_lo, exec_lo, s10
.LBB6_13881:                            ;   in Loop: Header=BB6_12546 Depth=2
	s_delay_alu instid0(SALU_CYCLE_1) | instskip(NEXT) | instid1(VALU_DEP_1)
	s_or_b32 exec_lo, exec_lo, s7
	v_dual_max_num_f32 v0, v2, v2 :: v_dual_max_num_f32 v1, v1, v1
	s_delay_alu instid0(VALU_DEP_1)
	v_min_num_f32_e32 v1, v1, v0
.LBB6_13882:                            ;   in Loop: Header=BB6_12546 Depth=2
	s_delay_alu instid0(VALU_DEP_1) | instskip(SKIP_3) | instid1(VALU_DEP_2)
	v_and_b32_e32 v2, 0x7f800000, v1
	v_mov_b32_e32 v3, v25
	v_and_b32_e32 v24, 0x7fffff, v1
                                        ; implicit-def: $vgpr54
	s_mov_b32 s7, exec_lo
	v_cmpx_ne_u64_e32 0x7f800000, v[2:3]
	s_xor_b32 s10, exec_lo, s7
	s_cbranch_execz .LBB6_13900
; %bb.13883:                            ;   in Loop: Header=BB6_12546 Depth=2
	v_dual_mov_b32 v3, v25 :: v_dual_lshrrev_b32 v0, 24, v1
	v_and_b32_e32 v2, 0x7fffffff, v1
                                        ; implicit-def: $vgpr54
	s_mov_b32 s7, exec_lo
	s_delay_alu instid0(VALU_DEP_2) | instskip(NEXT) | instid1(VALU_DEP_2)
	v_and_b32_e32 v23, 0x80, v0
	v_cmpx_gt_u64_e32 0x47600001, v[2:3]
	s_xor_b32 s41, exec_lo, s7
	s_cbranch_execz .LBB6_13897
; %bb.13884:                            ;   in Loop: Header=BB6_12546 Depth=2
	v_mov_b32_e32 v54, 0
	s_mov_b32 s42, exec_lo
	v_cmpx_ne_u32_e32 0, v1
	s_cbranch_execz .LBB6_13896
; %bb.13885:                            ;   in Loop: Header=BB6_12546 Depth=2
	v_bfe_u32 v27, v1, 23, 8
	v_or_b32_e32 v2, 0x800000, v24
	s_delay_alu instid0(VALU_DEP_2) | instskip(SKIP_1) | instid1(VALU_DEP_2)
	v_sub_nc_u32_e32 v0, 0x71, v27
	v_cmp_gt_u32_e32 vcc_lo, 0x72, v27
	v_cndmask_b32_e32 v0, 0, v0, vcc_lo
	v_cmp_eq_u32_e32 vcc_lo, 0, v27
	s_wait_loadcnt 0x5
	s_delay_alu instid0(VALU_DEP_2) | instskip(NEXT) | instid1(VALU_DEP_1)
	v_cndmask_b32_e64 v33, v0, 0x70, vcc_lo
	v_dual_cndmask_b32 v24, v2, v24, vcc_lo :: v_dual_add_nc_u32 v0, 21, v33
	v_add_nc_u32_e32 v3, 20, v33
	s_delay_alu instid0(VALU_DEP_2) | instskip(NEXT) | instid1(VALU_DEP_2)
	v_lshlrev_b64_e64 v[0:1], v0, -1
	v_lshlrev_b64_e64 v[2:3], v3, 1
	s_delay_alu instid0(VALU_DEP_2) | instskip(NEXT) | instid1(VALU_DEP_3)
	v_bfi_b32 v55, v1, 0, 0
	v_bfi_b32 v54, v0, 0, v24
	v_lshrrev_b64 v[0:1], v33, v[24:25]
	s_delay_alu instid0(VALU_DEP_2) | instskip(NEXT) | instid1(VALU_DEP_2)
	v_cmp_eq_u64_e64 s7, v[54:55], v[2:3]
	v_mov_b64_e32 v[2:3], v[0:1]
	s_and_saveexec_b32 s43, s7
; %bb.13886:                            ;   in Loop: Header=BB6_12546 Depth=2
	v_bfe_u32 v24, v0, 21, 1
	s_delay_alu instid0(VALU_DEP_1) | instskip(NEXT) | instid1(VALU_DEP_1)
	v_add_nc_u64_e32 v[2:3], v[0:1], v[24:25]
	v_add_nc_u64_e32 v[2:3], -1, v[2:3]
; %bb.13887:                            ;   in Loop: Header=BB6_12546 Depth=2
	s_or_b32 exec_lo, exec_lo, s43
	v_add_nc_u32_e32 v1, 0xffffff81, v27
	v_lshrrev_b32_e32 v3, 23, v0
	s_mov_b32 s7, exec_lo
	s_delay_alu instid0(VALU_DEP_2) | instskip(NEXT) | instid1(VALU_DEP_1)
	v_cndmask_b32_e64 v1, v1, 0xffffff82, vcc_lo
	v_add3_u32 v3, v33, v1, v3
	v_and_b32_e32 v1, 0x1fffff, v2
                                        ; implicit-def: $vgpr2
	s_delay_alu instid0(VALU_DEP_1) | instskip(NEXT) | instid1(VALU_DEP_1)
	v_dual_add_nc_u32 v27, 14, v3 :: v_dual_add_nc_u32 v24, v1, v0
                                        ; implicit-def: $vgpr0_vgpr1
	v_cmpx_ne_u32_e32 0, v27
	s_xor_b32 s7, exec_lo, s7
; %bb.13888:                            ;   in Loop: Header=BB6_12546 Depth=2
	s_delay_alu instid0(VALU_DEP_2) | instskip(SKIP_1) | instid1(VALU_DEP_1)
	v_cmp_lt_u64_e32 vcc_lo, 0xffffff, v[24:25]
	v_add_nc_u32_e32 v0, 15, v3
	v_cndmask_b32_e32 v2, v27, v0, vcc_lo
	v_cndmask_b32_e64 v0, 0, 1, vcc_lo
	s_delay_alu instid0(VALU_DEP_1)
	v_lshrrev_b64 v[0:1], v0, v[24:25]
; %bb.13889:                            ;   in Loop: Header=BB6_12546 Depth=2
	s_and_not1_saveexec_b32 s7, s7
; %bb.13890:                            ;   in Loop: Header=BB6_12546 Depth=2
	v_mov_b64_e32 v[0:1], v[24:25]
	v_bfe_u32 v2, v24, 23, 1
; %bb.13891:                            ;   in Loop: Header=BB6_12546 Depth=2
	s_or_b32 exec_lo, exec_lo, s7
	s_delay_alu instid0(VALU_DEP_2) | instskip(NEXT) | instid1(VALU_DEP_2)
	v_lshrrev_b64 v[0:1], 21, v[0:1]
	v_cmp_gt_i32_e32 vcc_lo, 32, v2
	v_cmp_ne_u32_e64 s7, 0, v2
                                        ; implicit-def: $vgpr54
	s_delay_alu instid0(VALU_DEP_3) | instskip(NEXT) | instid1(VALU_DEP_1)
	v_dual_cndmask_b32 v1, 0, v1 :: v_dual_cndmask_b32 v0, 3, v0
	v_cmp_ne_u64_e32 vcc_lo, 0, v[0:1]
	s_or_b32 s7, s7, vcc_lo
	s_delay_alu instid0(SALU_CYCLE_1) | instskip(NEXT) | instid1(SALU_CYCLE_1)
	s_and_saveexec_b32 s43, s7
	s_xor_b32 s7, exec_lo, s43
; %bb.13892:                            ;   in Loop: Header=BB6_12546 Depth=2
	v_min_i32_e32 v1, 31, v2
	s_delay_alu instid0(VALU_DEP_1) | instskip(NEXT) | instid1(VALU_DEP_1)
	v_lshl_or_b32 v1, v1, 2, v23
                                        ; implicit-def: $vgpr23
	v_and_or_b32 v54, v0, 3, v1
; %bb.13893:                            ;   in Loop: Header=BB6_12546 Depth=2
	s_and_not1_saveexec_b32 s7, s7
; %bb.13894:                            ;   in Loop: Header=BB6_12546 Depth=2
	v_mov_b32_e32 v54, v23
; %bb.13895:                            ;   in Loop: Header=BB6_12546 Depth=2
	s_or_b32 exec_lo, exec_lo, s7
.LBB6_13896:                            ;   in Loop: Header=BB6_12546 Depth=2
	s_delay_alu instid0(SALU_CYCLE_1)
	s_or_b32 exec_lo, exec_lo, s42
                                        ; implicit-def: $vgpr23
.LBB6_13897:                            ;   in Loop: Header=BB6_12546 Depth=2
	s_and_not1_saveexec_b32 s7, s41
; %bb.13898:                            ;   in Loop: Header=BB6_12546 Depth=2
	v_or_b32_e32 v54, 0x7b, v23
; %bb.13899:                            ;   in Loop: Header=BB6_12546 Depth=2
	s_or_b32 exec_lo, exec_lo, s7
                                        ; implicit-def: $vgpr1
.LBB6_13900:                            ;   in Loop: Header=BB6_12546 Depth=2
	s_and_not1_saveexec_b32 s7, s10
	s_cbranch_execz .LBB6_13906
; %bb.13901:                            ;   in Loop: Header=BB6_12546 Depth=2
	s_mov_b32 s10, exec_lo
                                        ; implicit-def: $vgpr54
	v_cmpx_ne_u64_e32 0, v[24:25]
	s_xor_b32 s10, exec_lo, s10
; %bb.13902:                            ;   in Loop: Header=BB6_12546 Depth=2
	v_lshrrev_b32_e32 v0, 24, v1
                                        ; implicit-def: $vgpr1
	s_delay_alu instid0(VALU_DEP_1)
	v_or_b32_e32 v54, 0x7f, v0
; %bb.13903:                            ;   in Loop: Header=BB6_12546 Depth=2
	s_and_not1_saveexec_b32 s10, s10
; %bb.13904:                            ;   in Loop: Header=BB6_12546 Depth=2
	v_cmp_lt_i32_e32 vcc_lo, -1, v1
	v_cndmask_b32_e64 v54, -4, 0x7c, vcc_lo
; %bb.13905:                            ;   in Loop: Header=BB6_12546 Depth=2
	s_or_b32 exec_lo, exec_lo, s10
.LBB6_13906:                            ;   in Loop: Header=BB6_12546 Depth=2
	s_delay_alu instid0(SALU_CYCLE_1)
	s_or_b32 exec_lo, exec_lo, s7
	v_and_b32_e32 v0, 0xff, v72
	v_cmp_ne_u16_e64 s7, 0, v72
	s_and_not1_b32 vcc_lo, exec_lo, s14
	s_mov_b32 s10, -1
                                        ; implicit-def: $vgpr1
	s_cbranch_vccnz .LBB6_13928
; %bb.13907:                            ;   in Loop: Header=BB6_12546 Depth=2
	v_dual_mov_b32 v2, 0 :: v_dual_mov_b32 v1, 0
	s_and_saveexec_b32 s10, s7
	s_cbranch_execz .LBB6_13917
; %bb.13908:                            ;   in Loop: Header=BB6_12546 Depth=2
	v_bfrev_b32_e32 v1, 1
	s_mov_b32 s41, exec_lo
	v_cmpx_ne_u16_e32 0xff80, v72
	s_cbranch_execz .LBB6_13916
; %bb.13909:                            ;   in Loop: Header=BB6_12546 Depth=2
	v_and_b32_e32 v1, 0x7c, v0
	v_and_b32_e32 v3, 3, v0
	s_delay_alu instid0(VALU_DEP_2) | instskip(SKIP_1) | instid1(SALU_CYCLE_1)
	v_cmp_ne_u32_e32 vcc_lo, 0x7c, v1
                                        ; implicit-def: $vgpr1
	s_and_saveexec_b32 s42, vcc_lo
	s_xor_b32 s42, exec_lo, s42
	s_cbranch_execz .LBB6_13913
; %bb.13910:                            ;   in Loop: Header=BB6_12546 Depth=2
	v_bfe_u32 v1, v0, 2, 5
	s_mov_b32 s43, exec_lo
	s_delay_alu instid0(VALU_DEP_1)
	v_cmpx_eq_u32_e32 0, v1
	s_cbranch_execz .LBB6_13912
; %bb.13911:                            ;   in Loop: Header=BB6_12546 Depth=2
	v_clz_i32_u32_e32 v1, v3
	s_delay_alu instid0(VALU_DEP_1) | instskip(SKIP_1) | instid1(VALU_DEP_2)
	v_min_u32_e32 v1, 32, v1
	v_mov_b32_e32 v73, v25
	v_subrev_nc_u32_e32 v3, 29, v1
	v_sub_nc_u32_e32 v1, 30, v1
	s_delay_alu instid0(VALU_DEP_2) | instskip(NEXT) | instid1(VALU_DEP_1)
	v_lshlrev_b64_e32 v[64:65], v3, v[72:73]
	v_and_b32_e32 v3, 3, v64
.LBB6_13912:                            ;   in Loop: Header=BB6_12546 Depth=2
	s_or_b32 exec_lo, exec_lo, s43
	v_bfe_i32 v23, v72, 0, 16
	s_delay_alu instid0(VALU_DEP_1) | instskip(NEXT) | instid1(VALU_DEP_1)
	v_and_b32_e32 v23, 0x80000000, v23
	v_lshl_add_u32 v1, v1, 23, v23
	s_delay_alu instid0(VALU_DEP_1) | instskip(NEXT) | instid1(VALU_DEP_1)
	v_lshl_or_b32 v1, v3, 21, v1
                                        ; implicit-def: $vgpr3
	v_add_nc_u32_e32 v1, 0x38000000, v1
.LBB6_13913:                            ;   in Loop: Header=BB6_12546 Depth=2
	s_and_not1_saveexec_b32 s42, s42
; %bb.13914:                            ;   in Loop: Header=BB6_12546 Depth=2
	v_cmp_lt_i16_e32 vcc_lo, -1, v72
	v_cndmask_b32_e32 v1, 0xff800000, v40, vcc_lo
	v_cmp_eq_u32_e32 vcc_lo, 0, v3
	s_delay_alu instid0(VALU_DEP_2)
	v_cndmask_b32_e32 v1, 0x7f800001, v1, vcc_lo
; %bb.13915:                            ;   in Loop: Header=BB6_12546 Depth=2
	s_or_b32 exec_lo, exec_lo, s42
.LBB6_13916:                            ;   in Loop: Header=BB6_12546 Depth=2
	s_delay_alu instid0(SALU_CYCLE_1)
	s_or_b32 exec_lo, exec_lo, s41
.LBB6_13917:                            ;   in Loop: Header=BB6_12546 Depth=2
	s_delay_alu instid0(SALU_CYCLE_1) | instskip(NEXT) | instid1(SALU_CYCLE_1)
	s_or_b32 exec_lo, exec_lo, s10
	s_mov_b32 s10, exec_lo
	s_wait_loadcnt 0x2
	v_cmpx_ne_u16_e32 0, v42
	s_cbranch_execz .LBB6_13927
; %bb.13918:                            ;   in Loop: Header=BB6_12546 Depth=2
	v_bfrev_b32_e32 v2, 1
	s_mov_b32 s41, exec_lo
	v_cmpx_ne_u16_e32 0xff80, v42
	s_cbranch_execz .LBB6_13926
; %bb.13919:                            ;   in Loop: Header=BB6_12546 Depth=2
	v_and_b32_e32 v2, 0x7c, v42
	v_and_b32_e32 v3, 3, v42
	s_delay_alu instid0(VALU_DEP_2) | instskip(SKIP_1) | instid1(SALU_CYCLE_1)
	v_cmp_ne_u32_e32 vcc_lo, 0x7c, v2
                                        ; implicit-def: $vgpr2
	s_and_saveexec_b32 s42, vcc_lo
	s_xor_b32 s42, exec_lo, s42
	s_cbranch_execz .LBB6_13923
; %bb.13920:                            ;   in Loop: Header=BB6_12546 Depth=2
	v_and_b32_e32 v2, 0xff, v42
	s_mov_b32 s43, exec_lo
	s_delay_alu instid0(VALU_DEP_1) | instskip(NEXT) | instid1(VALU_DEP_1)
	v_bfe_u32 v2, v2, 2, 5
	v_cmpx_eq_u32_e32 0, v2
	s_cbranch_execz .LBB6_13922
; %bb.13921:                            ;   in Loop: Header=BB6_12546 Depth=2
	v_clz_i32_u32_e32 v2, v3
	s_delay_alu instid0(VALU_DEP_1) | instskip(SKIP_1) | instid1(VALU_DEP_2)
	v_min_u32_e32 v2, 32, v2
	v_mov_b32_e32 v43, v25
	v_subrev_nc_u32_e32 v3, 29, v2
	v_sub_nc_u32_e32 v2, 30, v2
	s_delay_alu instid0(VALU_DEP_2) | instskip(NEXT) | instid1(VALU_DEP_1)
	v_lshlrev_b64_e32 v[64:65], v3, v[42:43]
	v_and_b32_e32 v3, 3, v64
.LBB6_13922:                            ;   in Loop: Header=BB6_12546 Depth=2
	s_or_b32 exec_lo, exec_lo, s43
	v_bfe_i32 v23, v42, 0, 16
	s_delay_alu instid0(VALU_DEP_1) | instskip(NEXT) | instid1(VALU_DEP_1)
	v_and_b32_e32 v23, 0x80000000, v23
	v_lshl_add_u32 v2, v2, 23, v23
	s_delay_alu instid0(VALU_DEP_1) | instskip(NEXT) | instid1(VALU_DEP_1)
	v_lshl_or_b32 v2, v3, 21, v2
                                        ; implicit-def: $vgpr3
	v_add_nc_u32_e32 v2, 0x38000000, v2
.LBB6_13923:                            ;   in Loop: Header=BB6_12546 Depth=2
	s_and_not1_saveexec_b32 s42, s42
; %bb.13924:                            ;   in Loop: Header=BB6_12546 Depth=2
	v_cmp_lt_i16_e32 vcc_lo, -1, v42
	v_cndmask_b32_e32 v2, 0xff800000, v40, vcc_lo
	v_cmp_eq_u32_e32 vcc_lo, 0, v3
	s_delay_alu instid0(VALU_DEP_2)
	v_cndmask_b32_e32 v2, 0x7f800001, v2, vcc_lo
; %bb.13925:                            ;   in Loop: Header=BB6_12546 Depth=2
	s_or_b32 exec_lo, exec_lo, s42
.LBB6_13926:                            ;   in Loop: Header=BB6_12546 Depth=2
	s_delay_alu instid0(SALU_CYCLE_1)
	s_or_b32 exec_lo, exec_lo, s41
.LBB6_13927:                            ;   in Loop: Header=BB6_12546 Depth=2
	s_delay_alu instid0(SALU_CYCLE_1) | instskip(NEXT) | instid1(VALU_DEP_1)
	s_or_b32 exec_lo, exec_lo, s10
	v_dual_max_num_f32 v2, v2, v2 :: v_dual_max_num_f32 v1, v1, v1
	s_mov_b32 s10, 0
	s_delay_alu instid0(VALU_DEP_1)
	v_max_num_f32_e32 v1, v1, v2
.LBB6_13928:                            ;   in Loop: Header=BB6_12546 Depth=2
	s_and_b32 vcc_lo, exec_lo, s10
	s_cbranch_vccz .LBB6_13950
; %bb.13929:                            ;   in Loop: Header=BB6_12546 Depth=2
	v_dual_mov_b32 v2, 0 :: v_dual_mov_b32 v1, 0
	s_and_saveexec_b32 s10, s7
	s_cbranch_execz .LBB6_13939
; %bb.13930:                            ;   in Loop: Header=BB6_12546 Depth=2
	v_bfrev_b32_e32 v1, 1
	s_mov_b32 s7, exec_lo
	v_cmpx_ne_u16_e32 0xff80, v72
	s_cbranch_execz .LBB6_13938
; %bb.13931:                            ;   in Loop: Header=BB6_12546 Depth=2
	v_and_b32_e32 v1, 0x7c, v0
	v_and_b32_e32 v3, 3, v0
	s_delay_alu instid0(VALU_DEP_2) | instskip(SKIP_1) | instid1(SALU_CYCLE_1)
	v_cmp_ne_u32_e32 vcc_lo, 0x7c, v1
                                        ; implicit-def: $vgpr1
	s_and_saveexec_b32 s41, vcc_lo
	s_xor_b32 s41, exec_lo, s41
	s_cbranch_execz .LBB6_13935
; %bb.13932:                            ;   in Loop: Header=BB6_12546 Depth=2
	v_bfe_u32 v0, v0, 2, 5
	s_mov_b32 s42, exec_lo
	s_delay_alu instid0(VALU_DEP_1)
	v_cmpx_eq_u32_e32 0, v0
	s_cbranch_execz .LBB6_13934
; %bb.13933:                            ;   in Loop: Header=BB6_12546 Depth=2
	v_clz_i32_u32_e32 v0, v3
	s_delay_alu instid0(VALU_DEP_1) | instskip(SKIP_1) | instid1(VALU_DEP_2)
	v_min_u32_e32 v0, 32, v0
	v_mov_b32_e32 v73, v25
	v_subrev_nc_u32_e32 v1, 29, v0
	v_sub_nc_u32_e32 v0, 30, v0
	s_delay_alu instid0(VALU_DEP_2) | instskip(NEXT) | instid1(VALU_DEP_1)
	v_lshlrev_b64_e32 v[64:65], v1, v[72:73]
	v_and_b32_e32 v3, 3, v64
.LBB6_13934:                            ;   in Loop: Header=BB6_12546 Depth=2
	s_or_b32 exec_lo, exec_lo, s42
	v_bfe_i32 v1, v72, 0, 16
                                        ; implicit-def: $vgpr72
	s_delay_alu instid0(VALU_DEP_1) | instskip(NEXT) | instid1(VALU_DEP_1)
	v_and_b32_e32 v1, 0x80000000, v1
	v_lshl_add_u32 v0, v0, 23, v1
	s_delay_alu instid0(VALU_DEP_1) | instskip(NEXT) | instid1(VALU_DEP_1)
	v_lshl_or_b32 v0, v3, 21, v0
                                        ; implicit-def: $vgpr3
	v_add_nc_u32_e32 v1, 0x38000000, v0
.LBB6_13935:                            ;   in Loop: Header=BB6_12546 Depth=2
	s_and_not1_saveexec_b32 s41, s41
; %bb.13936:                            ;   in Loop: Header=BB6_12546 Depth=2
	v_cmp_lt_i16_e32 vcc_lo, -1, v72
	v_cndmask_b32_e32 v0, 0xff800000, v40, vcc_lo
	v_cmp_eq_u32_e32 vcc_lo, 0, v3
	s_delay_alu instid0(VALU_DEP_2)
	v_cndmask_b32_e32 v1, 0x7f800001, v0, vcc_lo
; %bb.13937:                            ;   in Loop: Header=BB6_12546 Depth=2
	s_or_b32 exec_lo, exec_lo, s41
.LBB6_13938:                            ;   in Loop: Header=BB6_12546 Depth=2
	s_delay_alu instid0(SALU_CYCLE_1)
	s_or_b32 exec_lo, exec_lo, s7
.LBB6_13939:                            ;   in Loop: Header=BB6_12546 Depth=2
	s_delay_alu instid0(SALU_CYCLE_1) | instskip(NEXT) | instid1(SALU_CYCLE_1)
	s_or_b32 exec_lo, exec_lo, s10
	s_mov_b32 s7, exec_lo
	s_wait_loadcnt 0x2
	v_cmpx_ne_u16_e32 0, v42
	s_cbranch_execz .LBB6_13949
; %bb.13940:                            ;   in Loop: Header=BB6_12546 Depth=2
	v_bfrev_b32_e32 v2, 1
	s_mov_b32 s10, exec_lo
	v_cmpx_ne_u16_e32 0xff80, v42
	s_cbranch_execz .LBB6_13948
; %bb.13941:                            ;   in Loop: Header=BB6_12546 Depth=2
	v_and_b32_e32 v2, 0x7c, v42
	v_and_b32_e32 v0, 3, v42
	s_delay_alu instid0(VALU_DEP_2) | instskip(SKIP_1) | instid1(SALU_CYCLE_1)
	v_cmp_ne_u32_e32 vcc_lo, 0x7c, v2
                                        ; implicit-def: $vgpr2
	s_and_saveexec_b32 s41, vcc_lo
	s_xor_b32 s41, exec_lo, s41
	s_cbranch_execz .LBB6_13945
; %bb.13942:                            ;   in Loop: Header=BB6_12546 Depth=2
	v_and_b32_e32 v2, 0xff, v42
	s_mov_b32 s42, exec_lo
	s_delay_alu instid0(VALU_DEP_1) | instskip(NEXT) | instid1(VALU_DEP_1)
	v_bfe_u32 v2, v2, 2, 5
	v_cmpx_eq_u32_e32 0, v2
	s_cbranch_execz .LBB6_13944
; %bb.13943:                            ;   in Loop: Header=BB6_12546 Depth=2
	v_clz_i32_u32_e32 v0, v0
	s_delay_alu instid0(VALU_DEP_1) | instskip(SKIP_1) | instid1(VALU_DEP_2)
	v_min_u32_e32 v0, 32, v0
	v_mov_b32_e32 v43, v25
	v_subrev_nc_u32_e32 v2, 29, v0
	s_delay_alu instid0(VALU_DEP_1) | instskip(SKIP_1) | instid1(VALU_DEP_2)
	v_lshlrev_b64_e32 v[64:65], v2, v[42:43]
	v_sub_nc_u32_e32 v2, 30, v0
	v_and_b32_e32 v0, 3, v64
.LBB6_13944:                            ;   in Loop: Header=BB6_12546 Depth=2
	s_or_b32 exec_lo, exec_lo, s42
	v_bfe_i32 v3, v42, 0, 16
                                        ; implicit-def: $vgpr42
	s_delay_alu instid0(VALU_DEP_1) | instskip(NEXT) | instid1(VALU_DEP_1)
	v_and_b32_e32 v3, 0x80000000, v3
	v_lshl_add_u32 v2, v2, 23, v3
	s_delay_alu instid0(VALU_DEP_1) | instskip(NEXT) | instid1(VALU_DEP_1)
	v_lshl_or_b32 v0, v0, 21, v2
	v_add_nc_u32_e32 v2, 0x38000000, v0
                                        ; implicit-def: $vgpr0
.LBB6_13945:                            ;   in Loop: Header=BB6_12546 Depth=2
	s_and_not1_saveexec_b32 s41, s41
; %bb.13946:                            ;   in Loop: Header=BB6_12546 Depth=2
	v_cmp_lt_i16_e32 vcc_lo, -1, v42
	v_cndmask_b32_e32 v2, 0xff800000, v40, vcc_lo
	v_cmp_eq_u32_e32 vcc_lo, 0, v0
	s_delay_alu instid0(VALU_DEP_2)
	v_cndmask_b32_e32 v2, 0x7f800001, v2, vcc_lo
; %bb.13947:                            ;   in Loop: Header=BB6_12546 Depth=2
	s_or_b32 exec_lo, exec_lo, s41
.LBB6_13948:                            ;   in Loop: Header=BB6_12546 Depth=2
	s_delay_alu instid0(SALU_CYCLE_1)
	s_or_b32 exec_lo, exec_lo, s10
.LBB6_13949:                            ;   in Loop: Header=BB6_12546 Depth=2
	s_delay_alu instid0(SALU_CYCLE_1) | instskip(NEXT) | instid1(VALU_DEP_1)
	s_or_b32 exec_lo, exec_lo, s7
	v_dual_max_num_f32 v0, v2, v2 :: v_dual_max_num_f32 v1, v1, v1
	s_delay_alu instid0(VALU_DEP_1)
	v_min_num_f32_e32 v1, v1, v0
.LBB6_13950:                            ;   in Loop: Header=BB6_12546 Depth=2
	s_delay_alu instid0(VALU_DEP_1) | instskip(SKIP_3) | instid1(VALU_DEP_2)
	v_and_b32_e32 v2, 0x7f800000, v1
	v_mov_b32_e32 v3, v25
	v_and_b32_e32 v24, 0x7fffff, v1
                                        ; implicit-def: $vgpr55
	s_mov_b32 s7, exec_lo
	v_cmpx_ne_u64_e32 0x7f800000, v[2:3]
	s_xor_b32 s10, exec_lo, s7
	s_cbranch_execz .LBB6_13968
; %bb.13951:                            ;   in Loop: Header=BB6_12546 Depth=2
	v_dual_mov_b32 v3, v25 :: v_dual_lshrrev_b32 v0, 24, v1
	v_and_b32_e32 v2, 0x7fffffff, v1
                                        ; implicit-def: $vgpr55
	s_mov_b32 s7, exec_lo
	s_delay_alu instid0(VALU_DEP_2) | instskip(NEXT) | instid1(VALU_DEP_2)
	v_and_b32_e32 v23, 0x80, v0
	v_cmpx_gt_u64_e32 0x47600001, v[2:3]
	s_xor_b32 s41, exec_lo, s7
	s_cbranch_execz .LBB6_13965
; %bb.13952:                            ;   in Loop: Header=BB6_12546 Depth=2
	v_mov_b32_e32 v55, 0
	s_mov_b32 s42, exec_lo
	v_cmpx_ne_u32_e32 0, v1
	s_cbranch_execz .LBB6_13964
; %bb.13953:                            ;   in Loop: Header=BB6_12546 Depth=2
	v_bfe_u32 v27, v1, 23, 8
	v_or_b32_e32 v2, 0x800000, v24
	s_delay_alu instid0(VALU_DEP_2) | instskip(SKIP_1) | instid1(VALU_DEP_2)
	v_sub_nc_u32_e32 v0, 0x71, v27
	v_cmp_gt_u32_e32 vcc_lo, 0x72, v27
	v_cndmask_b32_e32 v0, 0, v0, vcc_lo
	v_cmp_eq_u32_e32 vcc_lo, 0, v27
	s_wait_loadcnt 0x5
	s_delay_alu instid0(VALU_DEP_2) | instskip(NEXT) | instid1(VALU_DEP_1)
	v_cndmask_b32_e64 v33, v0, 0x70, vcc_lo
	v_dual_cndmask_b32 v24, v2, v24, vcc_lo :: v_dual_add_nc_u32 v0, 21, v33
	v_add_nc_u32_e32 v3, 20, v33
	s_delay_alu instid0(VALU_DEP_2) | instskip(NEXT) | instid1(VALU_DEP_2)
	v_lshlrev_b64_e64 v[0:1], v0, -1
	v_lshlrev_b64_e64 v[2:3], v3, 1
	s_delay_alu instid0(VALU_DEP_2) | instskip(NEXT) | instid1(VALU_DEP_3)
	v_bfi_b32 v65, v1, 0, 0
	v_bfi_b32 v64, v0, 0, v24
	v_lshrrev_b64 v[0:1], v33, v[24:25]
	s_delay_alu instid0(VALU_DEP_2) | instskip(NEXT) | instid1(VALU_DEP_2)
	v_cmp_eq_u64_e64 s7, v[64:65], v[2:3]
	v_mov_b64_e32 v[2:3], v[0:1]
	s_and_saveexec_b32 s43, s7
; %bb.13954:                            ;   in Loop: Header=BB6_12546 Depth=2
	v_bfe_u32 v24, v0, 21, 1
	s_delay_alu instid0(VALU_DEP_1) | instskip(NEXT) | instid1(VALU_DEP_1)
	v_add_nc_u64_e32 v[2:3], v[0:1], v[24:25]
	v_add_nc_u64_e32 v[2:3], -1, v[2:3]
; %bb.13955:                            ;   in Loop: Header=BB6_12546 Depth=2
	s_or_b32 exec_lo, exec_lo, s43
	v_add_nc_u32_e32 v1, 0xffffff81, v27
	v_lshrrev_b32_e32 v3, 23, v0
	s_mov_b32 s7, exec_lo
	s_delay_alu instid0(VALU_DEP_2) | instskip(NEXT) | instid1(VALU_DEP_1)
	v_cndmask_b32_e64 v1, v1, 0xffffff82, vcc_lo
	v_add3_u32 v3, v33, v1, v3
	v_and_b32_e32 v1, 0x1fffff, v2
                                        ; implicit-def: $vgpr2
	s_delay_alu instid0(VALU_DEP_1) | instskip(NEXT) | instid1(VALU_DEP_1)
	v_dual_add_nc_u32 v27, 14, v3 :: v_dual_add_nc_u32 v24, v1, v0
                                        ; implicit-def: $vgpr0_vgpr1
	v_cmpx_ne_u32_e32 0, v27
	s_xor_b32 s7, exec_lo, s7
; %bb.13956:                            ;   in Loop: Header=BB6_12546 Depth=2
	s_delay_alu instid0(VALU_DEP_2) | instskip(SKIP_1) | instid1(VALU_DEP_1)
	v_cmp_lt_u64_e32 vcc_lo, 0xffffff, v[24:25]
	v_add_nc_u32_e32 v0, 15, v3
	v_cndmask_b32_e32 v2, v27, v0, vcc_lo
	v_cndmask_b32_e64 v0, 0, 1, vcc_lo
	s_delay_alu instid0(VALU_DEP_1)
	v_lshrrev_b64 v[0:1], v0, v[24:25]
; %bb.13957:                            ;   in Loop: Header=BB6_12546 Depth=2
	s_and_not1_saveexec_b32 s7, s7
; %bb.13958:                            ;   in Loop: Header=BB6_12546 Depth=2
	v_mov_b64_e32 v[0:1], v[24:25]
	v_bfe_u32 v2, v24, 23, 1
; %bb.13959:                            ;   in Loop: Header=BB6_12546 Depth=2
	s_or_b32 exec_lo, exec_lo, s7
	s_delay_alu instid0(VALU_DEP_2) | instskip(NEXT) | instid1(VALU_DEP_2)
	v_lshrrev_b64 v[0:1], 21, v[0:1]
	v_cmp_gt_i32_e32 vcc_lo, 32, v2
	v_cmp_ne_u32_e64 s7, 0, v2
                                        ; implicit-def: $vgpr55
	s_delay_alu instid0(VALU_DEP_3) | instskip(NEXT) | instid1(VALU_DEP_1)
	v_dual_cndmask_b32 v1, 0, v1 :: v_dual_cndmask_b32 v0, 3, v0
	v_cmp_ne_u64_e32 vcc_lo, 0, v[0:1]
	s_or_b32 s7, s7, vcc_lo
	s_delay_alu instid0(SALU_CYCLE_1) | instskip(NEXT) | instid1(SALU_CYCLE_1)
	s_and_saveexec_b32 s43, s7
	s_xor_b32 s7, exec_lo, s43
; %bb.13960:                            ;   in Loop: Header=BB6_12546 Depth=2
	v_min_i32_e32 v1, 31, v2
	s_delay_alu instid0(VALU_DEP_1) | instskip(NEXT) | instid1(VALU_DEP_1)
	v_lshl_or_b32 v1, v1, 2, v23
                                        ; implicit-def: $vgpr23
	v_and_or_b32 v55, v0, 3, v1
; %bb.13961:                            ;   in Loop: Header=BB6_12546 Depth=2
	s_and_not1_saveexec_b32 s7, s7
; %bb.13962:                            ;   in Loop: Header=BB6_12546 Depth=2
	v_mov_b32_e32 v55, v23
; %bb.13963:                            ;   in Loop: Header=BB6_12546 Depth=2
	s_or_b32 exec_lo, exec_lo, s7
.LBB6_13964:                            ;   in Loop: Header=BB6_12546 Depth=2
	s_delay_alu instid0(SALU_CYCLE_1)
	s_or_b32 exec_lo, exec_lo, s42
                                        ; implicit-def: $vgpr23
.LBB6_13965:                            ;   in Loop: Header=BB6_12546 Depth=2
	s_and_not1_saveexec_b32 s7, s41
; %bb.13966:                            ;   in Loop: Header=BB6_12546 Depth=2
	v_or_b32_e32 v55, 0x7b, v23
; %bb.13967:                            ;   in Loop: Header=BB6_12546 Depth=2
	s_or_b32 exec_lo, exec_lo, s7
                                        ; implicit-def: $vgpr1
.LBB6_13968:                            ;   in Loop: Header=BB6_12546 Depth=2
	s_and_not1_saveexec_b32 s7, s10
	s_cbranch_execz .LBB6_13974
; %bb.13969:                            ;   in Loop: Header=BB6_12546 Depth=2
	s_mov_b32 s10, exec_lo
                                        ; implicit-def: $vgpr55
	v_cmpx_ne_u64_e32 0, v[24:25]
	s_xor_b32 s10, exec_lo, s10
; %bb.13970:                            ;   in Loop: Header=BB6_12546 Depth=2
	v_lshrrev_b32_e32 v0, 24, v1
                                        ; implicit-def: $vgpr1
	s_delay_alu instid0(VALU_DEP_1)
	v_or_b32_e32 v55, 0x7f, v0
; %bb.13971:                            ;   in Loop: Header=BB6_12546 Depth=2
	s_and_not1_saveexec_b32 s10, s10
; %bb.13972:                            ;   in Loop: Header=BB6_12546 Depth=2
	v_cmp_lt_i32_e32 vcc_lo, -1, v1
	v_cndmask_b32_e64 v55, -4, 0x7c, vcc_lo
; %bb.13973:                            ;   in Loop: Header=BB6_12546 Depth=2
	s_or_b32 exec_lo, exec_lo, s10
.LBB6_13974:                            ;   in Loop: Header=BB6_12546 Depth=2
	s_delay_alu instid0(SALU_CYCLE_1)
	s_or_b32 exec_lo, exec_lo, s7
	v_and_b32_e32 v0, 0xff, v74
	v_cmp_ne_u16_e64 s7, 0, v74
	s_and_not1_b32 vcc_lo, exec_lo, s14
	s_mov_b32 s10, -1
                                        ; implicit-def: $vgpr1
	s_cbranch_vccnz .LBB6_13996
; %bb.13975:                            ;   in Loop: Header=BB6_12546 Depth=2
	v_dual_mov_b32 v2, 0 :: v_dual_mov_b32 v1, 0
	s_and_saveexec_b32 s10, s7
	s_cbranch_execz .LBB6_13985
; %bb.13976:                            ;   in Loop: Header=BB6_12546 Depth=2
	v_bfrev_b32_e32 v1, 1
	s_mov_b32 s41, exec_lo
	v_cmpx_ne_u16_e32 0xff80, v74
	s_cbranch_execz .LBB6_13984
; %bb.13977:                            ;   in Loop: Header=BB6_12546 Depth=2
	v_and_b32_e32 v1, 0x7c, v0
	v_and_b32_e32 v3, 3, v0
	s_delay_alu instid0(VALU_DEP_2) | instskip(SKIP_1) | instid1(SALU_CYCLE_1)
	v_cmp_ne_u32_e32 vcc_lo, 0x7c, v1
                                        ; implicit-def: $vgpr1
	s_and_saveexec_b32 s42, vcc_lo
	s_xor_b32 s42, exec_lo, s42
	s_cbranch_execz .LBB6_13981
; %bb.13978:                            ;   in Loop: Header=BB6_12546 Depth=2
	v_bfe_u32 v1, v0, 2, 5
	s_mov_b32 s43, exec_lo
	s_delay_alu instid0(VALU_DEP_1)
	v_cmpx_eq_u32_e32 0, v1
	s_cbranch_execz .LBB6_13980
; %bb.13979:                            ;   in Loop: Header=BB6_12546 Depth=2
	v_clz_i32_u32_e32 v1, v3
	s_delay_alu instid0(VALU_DEP_1) | instskip(SKIP_1) | instid1(VALU_DEP_2)
	v_min_u32_e32 v1, 32, v1
	v_mov_b32_e32 v75, v25
	v_subrev_nc_u32_e32 v3, 29, v1
	v_sub_nc_u32_e32 v1, 30, v1
	s_delay_alu instid0(VALU_DEP_2) | instskip(NEXT) | instid1(VALU_DEP_1)
	v_lshlrev_b64_e32 v[64:65], v3, v[74:75]
	v_and_b32_e32 v3, 3, v64
.LBB6_13980:                            ;   in Loop: Header=BB6_12546 Depth=2
	s_or_b32 exec_lo, exec_lo, s43
	v_bfe_i32 v23, v74, 0, 16
	s_delay_alu instid0(VALU_DEP_1) | instskip(NEXT) | instid1(VALU_DEP_1)
	v_and_b32_e32 v23, 0x80000000, v23
	v_lshl_add_u32 v1, v1, 23, v23
	s_delay_alu instid0(VALU_DEP_1) | instskip(NEXT) | instid1(VALU_DEP_1)
	v_lshl_or_b32 v1, v3, 21, v1
                                        ; implicit-def: $vgpr3
	v_add_nc_u32_e32 v1, 0x38000000, v1
.LBB6_13981:                            ;   in Loop: Header=BB6_12546 Depth=2
	s_and_not1_saveexec_b32 s42, s42
; %bb.13982:                            ;   in Loop: Header=BB6_12546 Depth=2
	v_cmp_lt_i16_e32 vcc_lo, -1, v74
	v_cndmask_b32_e32 v1, 0xff800000, v40, vcc_lo
	v_cmp_eq_u32_e32 vcc_lo, 0, v3
	s_delay_alu instid0(VALU_DEP_2)
	v_cndmask_b32_e32 v1, 0x7f800001, v1, vcc_lo
; %bb.13983:                            ;   in Loop: Header=BB6_12546 Depth=2
	s_or_b32 exec_lo, exec_lo, s42
.LBB6_13984:                            ;   in Loop: Header=BB6_12546 Depth=2
	s_delay_alu instid0(SALU_CYCLE_1)
	s_or_b32 exec_lo, exec_lo, s41
.LBB6_13985:                            ;   in Loop: Header=BB6_12546 Depth=2
	s_delay_alu instid0(SALU_CYCLE_1) | instskip(NEXT) | instid1(SALU_CYCLE_1)
	s_or_b32 exec_lo, exec_lo, s10
	s_mov_b32 s10, exec_lo
	s_wait_loadcnt 0x0
	v_cmpx_ne_u16_e32 0, v66
	s_cbranch_execz .LBB6_13995
; %bb.13986:                            ;   in Loop: Header=BB6_12546 Depth=2
	v_bfrev_b32_e32 v2, 1
	s_mov_b32 s41, exec_lo
	v_cmpx_ne_u16_e32 0xff80, v66
	s_cbranch_execz .LBB6_13994
; %bb.13987:                            ;   in Loop: Header=BB6_12546 Depth=2
	v_and_b32_e32 v2, 0x7c, v66
	v_and_b32_e32 v3, 3, v66
	s_delay_alu instid0(VALU_DEP_2) | instskip(SKIP_1) | instid1(SALU_CYCLE_1)
	v_cmp_ne_u32_e32 vcc_lo, 0x7c, v2
                                        ; implicit-def: $vgpr2
	s_and_saveexec_b32 s42, vcc_lo
	s_xor_b32 s42, exec_lo, s42
	s_cbranch_execz .LBB6_13991
; %bb.13988:                            ;   in Loop: Header=BB6_12546 Depth=2
	v_and_b32_e32 v2, 0xff, v66
	s_mov_b32 s43, exec_lo
	s_delay_alu instid0(VALU_DEP_1) | instskip(NEXT) | instid1(VALU_DEP_1)
	v_bfe_u32 v2, v2, 2, 5
	v_cmpx_eq_u32_e32 0, v2
	s_cbranch_execz .LBB6_13990
; %bb.13989:                            ;   in Loop: Header=BB6_12546 Depth=2
	v_clz_i32_u32_e32 v2, v3
	s_delay_alu instid0(VALU_DEP_1) | instskip(SKIP_1) | instid1(VALU_DEP_2)
	v_min_u32_e32 v2, 32, v2
	v_mov_b32_e32 v67, v25
	v_subrev_nc_u32_e32 v3, 29, v2
	v_sub_nc_u32_e32 v2, 30, v2
	s_delay_alu instid0(VALU_DEP_2) | instskip(NEXT) | instid1(VALU_DEP_1)
	v_lshlrev_b64_e32 v[64:65], v3, v[66:67]
	v_and_b32_e32 v3, 3, v64
.LBB6_13990:                            ;   in Loop: Header=BB6_12546 Depth=2
	s_or_b32 exec_lo, exec_lo, s43
	v_bfe_i32 v23, v66, 0, 16
	s_delay_alu instid0(VALU_DEP_1) | instskip(NEXT) | instid1(VALU_DEP_1)
	v_and_b32_e32 v23, 0x80000000, v23
	v_lshl_add_u32 v2, v2, 23, v23
	s_delay_alu instid0(VALU_DEP_1) | instskip(NEXT) | instid1(VALU_DEP_1)
	v_lshl_or_b32 v2, v3, 21, v2
                                        ; implicit-def: $vgpr3
	v_add_nc_u32_e32 v2, 0x38000000, v2
.LBB6_13991:                            ;   in Loop: Header=BB6_12546 Depth=2
	s_and_not1_saveexec_b32 s42, s42
; %bb.13992:                            ;   in Loop: Header=BB6_12546 Depth=2
	v_cmp_lt_i16_e32 vcc_lo, -1, v66
	v_cndmask_b32_e32 v2, 0xff800000, v40, vcc_lo
	v_cmp_eq_u32_e32 vcc_lo, 0, v3
	s_delay_alu instid0(VALU_DEP_2)
	v_cndmask_b32_e32 v2, 0x7f800001, v2, vcc_lo
; %bb.13993:                            ;   in Loop: Header=BB6_12546 Depth=2
	s_or_b32 exec_lo, exec_lo, s42
.LBB6_13994:                            ;   in Loop: Header=BB6_12546 Depth=2
	s_delay_alu instid0(SALU_CYCLE_1)
	s_or_b32 exec_lo, exec_lo, s41
.LBB6_13995:                            ;   in Loop: Header=BB6_12546 Depth=2
	s_delay_alu instid0(SALU_CYCLE_1) | instskip(NEXT) | instid1(VALU_DEP_1)
	s_or_b32 exec_lo, exec_lo, s10
	v_dual_max_num_f32 v2, v2, v2 :: v_dual_max_num_f32 v1, v1, v1
	s_mov_b32 s10, 0
	s_delay_alu instid0(VALU_DEP_1)
	v_max_num_f32_e32 v1, v1, v2
.LBB6_13996:                            ;   in Loop: Header=BB6_12546 Depth=2
	s_and_b32 vcc_lo, exec_lo, s10
	s_cbranch_vccz .LBB6_14018
; %bb.13997:                            ;   in Loop: Header=BB6_12546 Depth=2
	v_dual_mov_b32 v2, 0 :: v_dual_mov_b32 v1, 0
	s_and_saveexec_b32 s10, s7
	s_cbranch_execz .LBB6_14007
; %bb.13998:                            ;   in Loop: Header=BB6_12546 Depth=2
	v_bfrev_b32_e32 v1, 1
	s_mov_b32 s7, exec_lo
	v_cmpx_ne_u16_e32 0xff80, v74
	s_cbranch_execz .LBB6_14006
; %bb.13999:                            ;   in Loop: Header=BB6_12546 Depth=2
	v_and_b32_e32 v1, 0x7c, v0
	v_and_b32_e32 v3, 3, v0
	s_delay_alu instid0(VALU_DEP_2) | instskip(SKIP_1) | instid1(SALU_CYCLE_1)
	v_cmp_ne_u32_e32 vcc_lo, 0x7c, v1
                                        ; implicit-def: $vgpr1
	s_and_saveexec_b32 s41, vcc_lo
	s_xor_b32 s41, exec_lo, s41
	s_cbranch_execz .LBB6_14003
; %bb.14000:                            ;   in Loop: Header=BB6_12546 Depth=2
	v_bfe_u32 v0, v0, 2, 5
	s_mov_b32 s42, exec_lo
	s_delay_alu instid0(VALU_DEP_1)
	v_cmpx_eq_u32_e32 0, v0
	s_cbranch_execz .LBB6_14002
; %bb.14001:                            ;   in Loop: Header=BB6_12546 Depth=2
	v_clz_i32_u32_e32 v0, v3
	s_delay_alu instid0(VALU_DEP_1) | instskip(SKIP_1) | instid1(VALU_DEP_2)
	v_min_u32_e32 v0, 32, v0
	v_mov_b32_e32 v75, v25
	v_subrev_nc_u32_e32 v1, 29, v0
	v_sub_nc_u32_e32 v0, 30, v0
	s_delay_alu instid0(VALU_DEP_2) | instskip(NEXT) | instid1(VALU_DEP_1)
	v_lshlrev_b64_e32 v[64:65], v1, v[74:75]
	v_and_b32_e32 v3, 3, v64
.LBB6_14002:                            ;   in Loop: Header=BB6_12546 Depth=2
	s_or_b32 exec_lo, exec_lo, s42
	v_bfe_i32 v1, v74, 0, 16
                                        ; implicit-def: $vgpr74
	s_delay_alu instid0(VALU_DEP_1) | instskip(NEXT) | instid1(VALU_DEP_1)
	v_and_b32_e32 v1, 0x80000000, v1
	v_lshl_add_u32 v0, v0, 23, v1
	s_delay_alu instid0(VALU_DEP_1) | instskip(NEXT) | instid1(VALU_DEP_1)
	v_lshl_or_b32 v0, v3, 21, v0
                                        ; implicit-def: $vgpr3
	v_add_nc_u32_e32 v1, 0x38000000, v0
.LBB6_14003:                            ;   in Loop: Header=BB6_12546 Depth=2
	s_and_not1_saveexec_b32 s41, s41
; %bb.14004:                            ;   in Loop: Header=BB6_12546 Depth=2
	v_cmp_lt_i16_e32 vcc_lo, -1, v74
	v_cndmask_b32_e32 v0, 0xff800000, v40, vcc_lo
	v_cmp_eq_u32_e32 vcc_lo, 0, v3
	s_delay_alu instid0(VALU_DEP_2)
	v_cndmask_b32_e32 v1, 0x7f800001, v0, vcc_lo
; %bb.14005:                            ;   in Loop: Header=BB6_12546 Depth=2
	s_or_b32 exec_lo, exec_lo, s41
.LBB6_14006:                            ;   in Loop: Header=BB6_12546 Depth=2
	s_delay_alu instid0(SALU_CYCLE_1)
	s_or_b32 exec_lo, exec_lo, s7
.LBB6_14007:                            ;   in Loop: Header=BB6_12546 Depth=2
	s_delay_alu instid0(SALU_CYCLE_1) | instskip(NEXT) | instid1(SALU_CYCLE_1)
	s_or_b32 exec_lo, exec_lo, s10
	s_mov_b32 s7, exec_lo
	s_wait_loadcnt 0x0
	v_cmpx_ne_u16_e32 0, v66
	s_cbranch_execz .LBB6_14017
; %bb.14008:                            ;   in Loop: Header=BB6_12546 Depth=2
	v_bfrev_b32_e32 v2, 1
	s_mov_b32 s10, exec_lo
	v_cmpx_ne_u16_e32 0xff80, v66
	s_cbranch_execz .LBB6_14016
; %bb.14009:                            ;   in Loop: Header=BB6_12546 Depth=2
	v_and_b32_e32 v2, 0x7c, v66
	v_and_b32_e32 v0, 3, v66
	s_delay_alu instid0(VALU_DEP_2) | instskip(SKIP_1) | instid1(SALU_CYCLE_1)
	v_cmp_ne_u32_e32 vcc_lo, 0x7c, v2
                                        ; implicit-def: $vgpr2
	s_and_saveexec_b32 s41, vcc_lo
	s_xor_b32 s41, exec_lo, s41
	s_cbranch_execz .LBB6_14013
; %bb.14010:                            ;   in Loop: Header=BB6_12546 Depth=2
	v_and_b32_e32 v2, 0xff, v66
	s_mov_b32 s42, exec_lo
	s_delay_alu instid0(VALU_DEP_1) | instskip(NEXT) | instid1(VALU_DEP_1)
	v_bfe_u32 v2, v2, 2, 5
	v_cmpx_eq_u32_e32 0, v2
	s_cbranch_execz .LBB6_14012
; %bb.14011:                            ;   in Loop: Header=BB6_12546 Depth=2
	v_clz_i32_u32_e32 v0, v0
	s_delay_alu instid0(VALU_DEP_1) | instskip(SKIP_1) | instid1(VALU_DEP_2)
	v_min_u32_e32 v0, 32, v0
	v_mov_b32_e32 v67, v25
	v_subrev_nc_u32_e32 v2, 29, v0
	s_delay_alu instid0(VALU_DEP_1) | instskip(SKIP_1) | instid1(VALU_DEP_2)
	v_lshlrev_b64_e32 v[64:65], v2, v[66:67]
	v_sub_nc_u32_e32 v2, 30, v0
	v_and_b32_e32 v0, 3, v64
.LBB6_14012:                            ;   in Loop: Header=BB6_12546 Depth=2
	s_or_b32 exec_lo, exec_lo, s42
	v_bfe_i32 v3, v66, 0, 16
                                        ; implicit-def: $vgpr66
	s_delay_alu instid0(VALU_DEP_1) | instskip(NEXT) | instid1(VALU_DEP_1)
	v_and_b32_e32 v3, 0x80000000, v3
	v_lshl_add_u32 v2, v2, 23, v3
	s_delay_alu instid0(VALU_DEP_1) | instskip(NEXT) | instid1(VALU_DEP_1)
	v_lshl_or_b32 v0, v0, 21, v2
	v_add_nc_u32_e32 v2, 0x38000000, v0
                                        ; implicit-def: $vgpr0
.LBB6_14013:                            ;   in Loop: Header=BB6_12546 Depth=2
	s_and_not1_saveexec_b32 s41, s41
; %bb.14014:                            ;   in Loop: Header=BB6_12546 Depth=2
	v_cmp_lt_i16_e32 vcc_lo, -1, v66
	v_cndmask_b32_e32 v2, 0xff800000, v40, vcc_lo
	v_cmp_eq_u32_e32 vcc_lo, 0, v0
	s_delay_alu instid0(VALU_DEP_2)
	v_cndmask_b32_e32 v2, 0x7f800001, v2, vcc_lo
; %bb.14015:                            ;   in Loop: Header=BB6_12546 Depth=2
	s_or_b32 exec_lo, exec_lo, s41
.LBB6_14016:                            ;   in Loop: Header=BB6_12546 Depth=2
	s_delay_alu instid0(SALU_CYCLE_1)
	s_or_b32 exec_lo, exec_lo, s10
.LBB6_14017:                            ;   in Loop: Header=BB6_12546 Depth=2
	s_delay_alu instid0(SALU_CYCLE_1) | instskip(NEXT) | instid1(VALU_DEP_1)
	s_or_b32 exec_lo, exec_lo, s7
	v_dual_max_num_f32 v0, v2, v2 :: v_dual_max_num_f32 v1, v1, v1
	s_delay_alu instid0(VALU_DEP_1)
	v_min_num_f32_e32 v1, v1, v0
.LBB6_14018:                            ;   in Loop: Header=BB6_12546 Depth=2
	s_delay_alu instid0(VALU_DEP_1) | instskip(SKIP_3) | instid1(VALU_DEP_2)
	v_and_b32_e32 v2, 0x7f800000, v1
	v_mov_b32_e32 v3, v25
	v_and_b32_e32 v24, 0x7fffff, v1
                                        ; implicit-def: $vgpr64
	s_mov_b32 s7, exec_lo
	v_cmpx_ne_u64_e32 0x7f800000, v[2:3]
	s_xor_b32 s10, exec_lo, s7
	s_cbranch_execz .LBB6_14036
; %bb.14019:                            ;   in Loop: Header=BB6_12546 Depth=2
	v_dual_mov_b32 v3, v25 :: v_dual_lshrrev_b32 v0, 24, v1
	v_and_b32_e32 v2, 0x7fffffff, v1
                                        ; implicit-def: $vgpr64
	s_mov_b32 s7, exec_lo
	s_delay_alu instid0(VALU_DEP_2) | instskip(NEXT) | instid1(VALU_DEP_2)
	v_and_b32_e32 v23, 0x80, v0
	v_cmpx_gt_u64_e32 0x47600001, v[2:3]
	s_xor_b32 s41, exec_lo, s7
	s_cbranch_execz .LBB6_14033
; %bb.14020:                            ;   in Loop: Header=BB6_12546 Depth=2
	v_mov_b32_e32 v64, 0
	s_mov_b32 s42, exec_lo
	v_cmpx_ne_u32_e32 0, v1
	s_cbranch_execz .LBB6_14032
; %bb.14021:                            ;   in Loop: Header=BB6_12546 Depth=2
	v_bfe_u32 v27, v1, 23, 8
	v_or_b32_e32 v2, 0x800000, v24
	s_delay_alu instid0(VALU_DEP_2) | instskip(SKIP_1) | instid1(VALU_DEP_2)
	v_sub_nc_u32_e32 v0, 0x71, v27
	v_cmp_gt_u32_e32 vcc_lo, 0x72, v27
	v_cndmask_b32_e32 v0, 0, v0, vcc_lo
	v_cmp_eq_u32_e32 vcc_lo, 0, v27
	s_wait_loadcnt 0x5
	s_delay_alu instid0(VALU_DEP_2) | instskip(NEXT) | instid1(VALU_DEP_1)
	v_cndmask_b32_e64 v33, v0, 0x70, vcc_lo
	v_dual_cndmask_b32 v24, v2, v24, vcc_lo :: v_dual_add_nc_u32 v0, 21, v33
	v_add_nc_u32_e32 v3, 20, v33
	s_delay_alu instid0(VALU_DEP_2) | instskip(NEXT) | instid1(VALU_DEP_2)
	v_lshlrev_b64_e64 v[0:1], v0, -1
	v_lshlrev_b64_e64 v[2:3], v3, 1
	s_delay_alu instid0(VALU_DEP_2) | instskip(NEXT) | instid1(VALU_DEP_3)
	v_bfi_b32 v65, v1, 0, 0
	v_bfi_b32 v64, v0, 0, v24
	v_lshrrev_b64 v[0:1], v33, v[24:25]
	s_delay_alu instid0(VALU_DEP_2) | instskip(NEXT) | instid1(VALU_DEP_2)
	v_cmp_eq_u64_e64 s7, v[64:65], v[2:3]
	v_mov_b64_e32 v[2:3], v[0:1]
	s_and_saveexec_b32 s43, s7
; %bb.14022:                            ;   in Loop: Header=BB6_12546 Depth=2
	v_bfe_u32 v24, v0, 21, 1
	s_delay_alu instid0(VALU_DEP_1) | instskip(NEXT) | instid1(VALU_DEP_1)
	v_add_nc_u64_e32 v[2:3], v[0:1], v[24:25]
	v_add_nc_u64_e32 v[2:3], -1, v[2:3]
; %bb.14023:                            ;   in Loop: Header=BB6_12546 Depth=2
	s_or_b32 exec_lo, exec_lo, s43
	v_add_nc_u32_e32 v1, 0xffffff81, v27
	v_lshrrev_b32_e32 v3, 23, v0
	s_mov_b32 s7, exec_lo
	s_delay_alu instid0(VALU_DEP_2) | instskip(NEXT) | instid1(VALU_DEP_1)
	v_cndmask_b32_e64 v1, v1, 0xffffff82, vcc_lo
	v_add3_u32 v3, v33, v1, v3
	v_and_b32_e32 v1, 0x1fffff, v2
                                        ; implicit-def: $vgpr2
	s_delay_alu instid0(VALU_DEP_1) | instskip(NEXT) | instid1(VALU_DEP_1)
	v_dual_add_nc_u32 v27, 14, v3 :: v_dual_add_nc_u32 v24, v1, v0
                                        ; implicit-def: $vgpr0_vgpr1
	v_cmpx_ne_u32_e32 0, v27
	s_xor_b32 s7, exec_lo, s7
; %bb.14024:                            ;   in Loop: Header=BB6_12546 Depth=2
	s_delay_alu instid0(VALU_DEP_2) | instskip(SKIP_1) | instid1(VALU_DEP_1)
	v_cmp_lt_u64_e32 vcc_lo, 0xffffff, v[24:25]
	v_add_nc_u32_e32 v0, 15, v3
	v_cndmask_b32_e32 v2, v27, v0, vcc_lo
	v_cndmask_b32_e64 v0, 0, 1, vcc_lo
	s_delay_alu instid0(VALU_DEP_1)
	v_lshrrev_b64 v[0:1], v0, v[24:25]
; %bb.14025:                            ;   in Loop: Header=BB6_12546 Depth=2
	s_and_not1_saveexec_b32 s7, s7
; %bb.14026:                            ;   in Loop: Header=BB6_12546 Depth=2
	v_mov_b64_e32 v[0:1], v[24:25]
	v_bfe_u32 v2, v24, 23, 1
; %bb.14027:                            ;   in Loop: Header=BB6_12546 Depth=2
	s_or_b32 exec_lo, exec_lo, s7
	s_delay_alu instid0(VALU_DEP_2) | instskip(NEXT) | instid1(VALU_DEP_2)
	v_lshrrev_b64 v[0:1], 21, v[0:1]
	v_cmp_gt_i32_e32 vcc_lo, 32, v2
	v_cmp_ne_u32_e64 s7, 0, v2
                                        ; implicit-def: $vgpr64
	s_delay_alu instid0(VALU_DEP_3) | instskip(NEXT) | instid1(VALU_DEP_1)
	v_dual_cndmask_b32 v1, 0, v1 :: v_dual_cndmask_b32 v0, 3, v0
	v_cmp_ne_u64_e32 vcc_lo, 0, v[0:1]
	s_or_b32 s7, s7, vcc_lo
	s_delay_alu instid0(SALU_CYCLE_1) | instskip(NEXT) | instid1(SALU_CYCLE_1)
	s_and_saveexec_b32 s43, s7
	s_xor_b32 s7, exec_lo, s43
; %bb.14028:                            ;   in Loop: Header=BB6_12546 Depth=2
	v_min_i32_e32 v1, 31, v2
	s_delay_alu instid0(VALU_DEP_1) | instskip(NEXT) | instid1(VALU_DEP_1)
	v_lshl_or_b32 v1, v1, 2, v23
                                        ; implicit-def: $vgpr23
	v_and_or_b32 v64, v0, 3, v1
; %bb.14029:                            ;   in Loop: Header=BB6_12546 Depth=2
	s_and_not1_saveexec_b32 s7, s7
; %bb.14030:                            ;   in Loop: Header=BB6_12546 Depth=2
	v_mov_b32_e32 v64, v23
; %bb.14031:                            ;   in Loop: Header=BB6_12546 Depth=2
	s_or_b32 exec_lo, exec_lo, s7
.LBB6_14032:                            ;   in Loop: Header=BB6_12546 Depth=2
	s_delay_alu instid0(SALU_CYCLE_1)
	s_or_b32 exec_lo, exec_lo, s42
                                        ; implicit-def: $vgpr23
.LBB6_14033:                            ;   in Loop: Header=BB6_12546 Depth=2
	s_and_not1_saveexec_b32 s7, s41
; %bb.14034:                            ;   in Loop: Header=BB6_12546 Depth=2
	v_or_b32_e32 v64, 0x7b, v23
; %bb.14035:                            ;   in Loop: Header=BB6_12546 Depth=2
	s_or_b32 exec_lo, exec_lo, s7
                                        ; implicit-def: $vgpr1
.LBB6_14036:                            ;   in Loop: Header=BB6_12546 Depth=2
	s_and_not1_saveexec_b32 s7, s10
	s_cbranch_execz .LBB6_14042
; %bb.14037:                            ;   in Loop: Header=BB6_12546 Depth=2
	s_mov_b32 s10, exec_lo
                                        ; implicit-def: $vgpr64
	v_cmpx_ne_u64_e32 0, v[24:25]
	s_xor_b32 s10, exec_lo, s10
; %bb.14038:                            ;   in Loop: Header=BB6_12546 Depth=2
	v_lshrrev_b32_e32 v0, 24, v1
                                        ; implicit-def: $vgpr1
	s_delay_alu instid0(VALU_DEP_1)
	v_or_b32_e32 v64, 0x7f, v0
; %bb.14039:                            ;   in Loop: Header=BB6_12546 Depth=2
	s_and_not1_saveexec_b32 s10, s10
; %bb.14040:                            ;   in Loop: Header=BB6_12546 Depth=2
	v_cmp_lt_i32_e32 vcc_lo, -1, v1
	v_cndmask_b32_e64 v64, -4, 0x7c, vcc_lo
; %bb.14041:                            ;   in Loop: Header=BB6_12546 Depth=2
	s_or_b32 exec_lo, exec_lo, s10
.LBB6_14042:                            ;   in Loop: Header=BB6_12546 Depth=2
	s_delay_alu instid0(SALU_CYCLE_1)
	s_or_b32 exec_lo, exec_lo, s7
	v_and_b32_e32 v0, 0xff, v88
	v_cmp_ne_u16_e64 s7, 0, v88
	s_and_not1_b32 vcc_lo, exec_lo, s14
	s_mov_b32 s10, -1
                                        ; implicit-def: $vgpr1
	s_cbranch_vccnz .LBB6_14064
; %bb.14043:                            ;   in Loop: Header=BB6_12546 Depth=2
	v_dual_mov_b32 v2, 0 :: v_dual_mov_b32 v1, 0
	s_and_saveexec_b32 s10, s7
	s_cbranch_execz .LBB6_14053
; %bb.14044:                            ;   in Loop: Header=BB6_12546 Depth=2
	v_bfrev_b32_e32 v1, 1
	s_mov_b32 s41, exec_lo
	v_cmpx_ne_u16_e32 0xff80, v88
	s_cbranch_execz .LBB6_14052
; %bb.14045:                            ;   in Loop: Header=BB6_12546 Depth=2
	v_and_b32_e32 v1, 0x7c, v0
	v_and_b32_e32 v3, 3, v0
	s_delay_alu instid0(VALU_DEP_2) | instskip(SKIP_1) | instid1(SALU_CYCLE_1)
	v_cmp_ne_u32_e32 vcc_lo, 0x7c, v1
                                        ; implicit-def: $vgpr1
	s_and_saveexec_b32 s42, vcc_lo
	s_xor_b32 s42, exec_lo, s42
	s_cbranch_execz .LBB6_14049
; %bb.14046:                            ;   in Loop: Header=BB6_12546 Depth=2
	v_bfe_u32 v1, v0, 2, 5
	s_mov_b32 s43, exec_lo
	s_delay_alu instid0(VALU_DEP_1)
	v_cmpx_eq_u32_e32 0, v1
	s_cbranch_execz .LBB6_14048
; %bb.14047:                            ;   in Loop: Header=BB6_12546 Depth=2
	v_clz_i32_u32_e32 v1, v3
	s_delay_alu instid0(VALU_DEP_1) | instskip(SKIP_1) | instid1(VALU_DEP_2)
	v_min_u32_e32 v1, 32, v1
	v_mov_b32_e32 v89, v25
	v_subrev_nc_u32_e32 v3, 29, v1
	v_sub_nc_u32_e32 v1, 30, v1
	s_wait_loadcnt 0x0
	s_delay_alu instid0(VALU_DEP_2) | instskip(NEXT) | instid1(VALU_DEP_1)
	v_lshlrev_b64_e32 v[66:67], v3, v[88:89]
	v_and_b32_e32 v3, 3, v66
.LBB6_14048:                            ;   in Loop: Header=BB6_12546 Depth=2
	s_or_b32 exec_lo, exec_lo, s43
	v_bfe_i32 v23, v88, 0, 16
	s_delay_alu instid0(VALU_DEP_1) | instskip(NEXT) | instid1(VALU_DEP_1)
	v_and_b32_e32 v23, 0x80000000, v23
	v_lshl_add_u32 v1, v1, 23, v23
	s_delay_alu instid0(VALU_DEP_1) | instskip(NEXT) | instid1(VALU_DEP_1)
	v_lshl_or_b32 v1, v3, 21, v1
                                        ; implicit-def: $vgpr3
	v_add_nc_u32_e32 v1, 0x38000000, v1
.LBB6_14049:                            ;   in Loop: Header=BB6_12546 Depth=2
	s_and_not1_saveexec_b32 s42, s42
; %bb.14050:                            ;   in Loop: Header=BB6_12546 Depth=2
	v_cmp_lt_i16_e32 vcc_lo, -1, v88
	v_cndmask_b32_e32 v1, 0xff800000, v40, vcc_lo
	v_cmp_eq_u32_e32 vcc_lo, 0, v3
	s_delay_alu instid0(VALU_DEP_2)
	v_cndmask_b32_e32 v1, 0x7f800001, v1, vcc_lo
; %bb.14051:                            ;   in Loop: Header=BB6_12546 Depth=2
	s_or_b32 exec_lo, exec_lo, s42
.LBB6_14052:                            ;   in Loop: Header=BB6_12546 Depth=2
	s_delay_alu instid0(SALU_CYCLE_1)
	s_or_b32 exec_lo, exec_lo, s41
.LBB6_14053:                            ;   in Loop: Header=BB6_12546 Depth=2
	s_delay_alu instid0(SALU_CYCLE_1) | instskip(NEXT) | instid1(SALU_CYCLE_1)
	s_or_b32 exec_lo, exec_lo, s10
	s_mov_b32 s10, exec_lo
	v_cmpx_ne_u16_e32 0, v62
	s_cbranch_execz .LBB6_14063
; %bb.14054:                            ;   in Loop: Header=BB6_12546 Depth=2
	v_bfrev_b32_e32 v2, 1
	s_mov_b32 s41, exec_lo
	v_cmpx_ne_u16_e32 0xff80, v62
	s_cbranch_execz .LBB6_14062
; %bb.14055:                            ;   in Loop: Header=BB6_12546 Depth=2
	v_and_b32_e32 v2, 0x7c, v62
	v_and_b32_e32 v3, 3, v62
	s_delay_alu instid0(VALU_DEP_2) | instskip(SKIP_1) | instid1(SALU_CYCLE_1)
	v_cmp_ne_u32_e32 vcc_lo, 0x7c, v2
                                        ; implicit-def: $vgpr2
	s_and_saveexec_b32 s42, vcc_lo
	s_xor_b32 s42, exec_lo, s42
	s_cbranch_execz .LBB6_14059
; %bb.14056:                            ;   in Loop: Header=BB6_12546 Depth=2
	v_and_b32_e32 v2, 0xff, v62
	s_mov_b32 s43, exec_lo
	s_delay_alu instid0(VALU_DEP_1) | instskip(NEXT) | instid1(VALU_DEP_1)
	v_bfe_u32 v2, v2, 2, 5
	v_cmpx_eq_u32_e32 0, v2
	s_cbranch_execz .LBB6_14058
; %bb.14057:                            ;   in Loop: Header=BB6_12546 Depth=2
	v_clz_i32_u32_e32 v2, v3
	s_delay_alu instid0(VALU_DEP_1) | instskip(SKIP_1) | instid1(VALU_DEP_2)
	v_min_u32_e32 v2, 32, v2
	v_mov_b32_e32 v63, v25
	v_subrev_nc_u32_e32 v3, 29, v2
	v_sub_nc_u32_e32 v2, 30, v2
	s_wait_loadcnt 0x0
	s_delay_alu instid0(VALU_DEP_2) | instskip(NEXT) | instid1(VALU_DEP_1)
	v_lshlrev_b64_e32 v[66:67], v3, v[62:63]
	v_and_b32_e32 v3, 3, v66
.LBB6_14058:                            ;   in Loop: Header=BB6_12546 Depth=2
	s_or_b32 exec_lo, exec_lo, s43
	v_bfe_i32 v23, v62, 0, 16
	s_delay_alu instid0(VALU_DEP_1) | instskip(NEXT) | instid1(VALU_DEP_1)
	v_and_b32_e32 v23, 0x80000000, v23
	v_lshl_add_u32 v2, v2, 23, v23
	s_delay_alu instid0(VALU_DEP_1) | instskip(NEXT) | instid1(VALU_DEP_1)
	v_lshl_or_b32 v2, v3, 21, v2
                                        ; implicit-def: $vgpr3
	v_add_nc_u32_e32 v2, 0x38000000, v2
.LBB6_14059:                            ;   in Loop: Header=BB6_12546 Depth=2
	s_and_not1_saveexec_b32 s42, s42
; %bb.14060:                            ;   in Loop: Header=BB6_12546 Depth=2
	v_cmp_lt_i16_e32 vcc_lo, -1, v62
	v_cndmask_b32_e32 v2, 0xff800000, v40, vcc_lo
	v_cmp_eq_u32_e32 vcc_lo, 0, v3
	s_delay_alu instid0(VALU_DEP_2)
	v_cndmask_b32_e32 v2, 0x7f800001, v2, vcc_lo
; %bb.14061:                            ;   in Loop: Header=BB6_12546 Depth=2
	s_or_b32 exec_lo, exec_lo, s42
.LBB6_14062:                            ;   in Loop: Header=BB6_12546 Depth=2
	s_delay_alu instid0(SALU_CYCLE_1)
	s_or_b32 exec_lo, exec_lo, s41
.LBB6_14063:                            ;   in Loop: Header=BB6_12546 Depth=2
	s_delay_alu instid0(SALU_CYCLE_1) | instskip(NEXT) | instid1(VALU_DEP_1)
	s_or_b32 exec_lo, exec_lo, s10
	v_dual_max_num_f32 v2, v2, v2 :: v_dual_max_num_f32 v1, v1, v1
	s_mov_b32 s10, 0
	s_delay_alu instid0(VALU_DEP_1)
	v_max_num_f32_e32 v1, v1, v2
.LBB6_14064:                            ;   in Loop: Header=BB6_12546 Depth=2
	s_and_b32 vcc_lo, exec_lo, s10
	s_cbranch_vccz .LBB6_14086
; %bb.14065:                            ;   in Loop: Header=BB6_12546 Depth=2
	v_dual_mov_b32 v2, 0 :: v_dual_mov_b32 v1, 0
	s_and_saveexec_b32 s10, s7
	s_cbranch_execz .LBB6_14075
; %bb.14066:                            ;   in Loop: Header=BB6_12546 Depth=2
	v_bfrev_b32_e32 v1, 1
	s_mov_b32 s7, exec_lo
	v_cmpx_ne_u16_e32 0xff80, v88
	s_cbranch_execz .LBB6_14074
; %bb.14067:                            ;   in Loop: Header=BB6_12546 Depth=2
	v_and_b32_e32 v1, 0x7c, v0
	v_and_b32_e32 v3, 3, v0
	s_delay_alu instid0(VALU_DEP_2) | instskip(SKIP_1) | instid1(SALU_CYCLE_1)
	v_cmp_ne_u32_e32 vcc_lo, 0x7c, v1
                                        ; implicit-def: $vgpr1
	s_and_saveexec_b32 s41, vcc_lo
	s_xor_b32 s41, exec_lo, s41
	s_cbranch_execz .LBB6_14071
; %bb.14068:                            ;   in Loop: Header=BB6_12546 Depth=2
	v_bfe_u32 v0, v0, 2, 5
	s_mov_b32 s42, exec_lo
	s_delay_alu instid0(VALU_DEP_1)
	v_cmpx_eq_u32_e32 0, v0
	s_cbranch_execz .LBB6_14070
; %bb.14069:                            ;   in Loop: Header=BB6_12546 Depth=2
	v_clz_i32_u32_e32 v0, v3
	s_delay_alu instid0(VALU_DEP_1) | instskip(SKIP_1) | instid1(VALU_DEP_2)
	v_min_u32_e32 v0, 32, v0
	v_mov_b32_e32 v89, v25
	v_subrev_nc_u32_e32 v1, 29, v0
	v_sub_nc_u32_e32 v0, 30, v0
	s_wait_loadcnt 0x0
	s_delay_alu instid0(VALU_DEP_2) | instskip(NEXT) | instid1(VALU_DEP_1)
	v_lshlrev_b64_e32 v[66:67], v1, v[88:89]
	v_and_b32_e32 v3, 3, v66
.LBB6_14070:                            ;   in Loop: Header=BB6_12546 Depth=2
	s_or_b32 exec_lo, exec_lo, s42
	v_bfe_i32 v1, v88, 0, 16
                                        ; implicit-def: $vgpr88
	s_delay_alu instid0(VALU_DEP_1) | instskip(NEXT) | instid1(VALU_DEP_1)
	v_and_b32_e32 v1, 0x80000000, v1
	v_lshl_add_u32 v0, v0, 23, v1
	s_delay_alu instid0(VALU_DEP_1) | instskip(NEXT) | instid1(VALU_DEP_1)
	v_lshl_or_b32 v0, v3, 21, v0
                                        ; implicit-def: $vgpr3
	v_add_nc_u32_e32 v1, 0x38000000, v0
.LBB6_14071:                            ;   in Loop: Header=BB6_12546 Depth=2
	s_and_not1_saveexec_b32 s41, s41
; %bb.14072:                            ;   in Loop: Header=BB6_12546 Depth=2
	v_cmp_lt_i16_e32 vcc_lo, -1, v88
	v_cndmask_b32_e32 v0, 0xff800000, v40, vcc_lo
	v_cmp_eq_u32_e32 vcc_lo, 0, v3
	s_delay_alu instid0(VALU_DEP_2)
	v_cndmask_b32_e32 v1, 0x7f800001, v0, vcc_lo
; %bb.14073:                            ;   in Loop: Header=BB6_12546 Depth=2
	s_or_b32 exec_lo, exec_lo, s41
.LBB6_14074:                            ;   in Loop: Header=BB6_12546 Depth=2
	s_delay_alu instid0(SALU_CYCLE_1)
	s_or_b32 exec_lo, exec_lo, s7
.LBB6_14075:                            ;   in Loop: Header=BB6_12546 Depth=2
	s_delay_alu instid0(SALU_CYCLE_1) | instskip(NEXT) | instid1(SALU_CYCLE_1)
	s_or_b32 exec_lo, exec_lo, s10
	s_mov_b32 s7, exec_lo
	v_cmpx_ne_u16_e32 0, v62
	s_cbranch_execz .LBB6_14085
; %bb.14076:                            ;   in Loop: Header=BB6_12546 Depth=2
	v_bfrev_b32_e32 v2, 1
	s_mov_b32 s10, exec_lo
	v_cmpx_ne_u16_e32 0xff80, v62
	s_cbranch_execz .LBB6_14084
; %bb.14077:                            ;   in Loop: Header=BB6_12546 Depth=2
	v_and_b32_e32 v2, 0x7c, v62
	v_and_b32_e32 v0, 3, v62
	s_delay_alu instid0(VALU_DEP_2) | instskip(SKIP_1) | instid1(SALU_CYCLE_1)
	v_cmp_ne_u32_e32 vcc_lo, 0x7c, v2
                                        ; implicit-def: $vgpr2
	s_and_saveexec_b32 s41, vcc_lo
	s_xor_b32 s41, exec_lo, s41
	s_cbranch_execz .LBB6_14081
; %bb.14078:                            ;   in Loop: Header=BB6_12546 Depth=2
	v_and_b32_e32 v2, 0xff, v62
	s_mov_b32 s42, exec_lo
	s_delay_alu instid0(VALU_DEP_1) | instskip(NEXT) | instid1(VALU_DEP_1)
	v_bfe_u32 v2, v2, 2, 5
	v_cmpx_eq_u32_e32 0, v2
	s_cbranch_execz .LBB6_14080
; %bb.14079:                            ;   in Loop: Header=BB6_12546 Depth=2
	v_clz_i32_u32_e32 v0, v0
	s_delay_alu instid0(VALU_DEP_1) | instskip(SKIP_1) | instid1(VALU_DEP_2)
	v_min_u32_e32 v0, 32, v0
	v_mov_b32_e32 v63, v25
	v_subrev_nc_u32_e32 v2, 29, v0
	s_wait_loadcnt 0x0
	s_delay_alu instid0(VALU_DEP_1) | instskip(NEXT) | instid1(VALU_DEP_1)
	v_lshlrev_b64_e32 v[66:67], v2, v[62:63]
	v_dual_sub_nc_u32 v2, 30, v0 :: v_dual_bitop2_b32 v0, 3, v66 bitop3:0x40
.LBB6_14080:                            ;   in Loop: Header=BB6_12546 Depth=2
	s_or_b32 exec_lo, exec_lo, s42
	v_bfe_i32 v3, v62, 0, 16
                                        ; implicit-def: $vgpr62
	s_delay_alu instid0(VALU_DEP_1) | instskip(NEXT) | instid1(VALU_DEP_1)
	v_and_b32_e32 v3, 0x80000000, v3
	v_lshl_add_u32 v2, v2, 23, v3
	s_delay_alu instid0(VALU_DEP_1) | instskip(NEXT) | instid1(VALU_DEP_1)
	v_lshl_or_b32 v0, v0, 21, v2
	v_add_nc_u32_e32 v2, 0x38000000, v0
                                        ; implicit-def: $vgpr0
.LBB6_14081:                            ;   in Loop: Header=BB6_12546 Depth=2
	s_and_not1_saveexec_b32 s41, s41
; %bb.14082:                            ;   in Loop: Header=BB6_12546 Depth=2
	v_cmp_lt_i16_e32 vcc_lo, -1, v62
	v_cndmask_b32_e32 v2, 0xff800000, v40, vcc_lo
	v_cmp_eq_u32_e32 vcc_lo, 0, v0
	s_delay_alu instid0(VALU_DEP_2)
	v_cndmask_b32_e32 v2, 0x7f800001, v2, vcc_lo
; %bb.14083:                            ;   in Loop: Header=BB6_12546 Depth=2
	s_or_b32 exec_lo, exec_lo, s41
.LBB6_14084:                            ;   in Loop: Header=BB6_12546 Depth=2
	s_delay_alu instid0(SALU_CYCLE_1)
	s_or_b32 exec_lo, exec_lo, s10
.LBB6_14085:                            ;   in Loop: Header=BB6_12546 Depth=2
	s_delay_alu instid0(SALU_CYCLE_1) | instskip(NEXT) | instid1(VALU_DEP_1)
	s_or_b32 exec_lo, exec_lo, s7
	v_dual_max_num_f32 v0, v2, v2 :: v_dual_max_num_f32 v1, v1, v1
	s_delay_alu instid0(VALU_DEP_1)
	v_min_num_f32_e32 v1, v1, v0
.LBB6_14086:                            ;   in Loop: Header=BB6_12546 Depth=2
	s_delay_alu instid0(VALU_DEP_1) | instskip(SKIP_3) | instid1(VALU_DEP_2)
	v_and_b32_e32 v2, 0x7f800000, v1
	v_mov_b32_e32 v3, v25
	v_and_b32_e32 v24, 0x7fffff, v1
                                        ; implicit-def: $vgpr65
	s_mov_b32 s7, exec_lo
	v_cmpx_ne_u64_e32 0x7f800000, v[2:3]
	s_xor_b32 s10, exec_lo, s7
	s_cbranch_execz .LBB6_14104
; %bb.14087:                            ;   in Loop: Header=BB6_12546 Depth=2
	v_dual_mov_b32 v3, v25 :: v_dual_lshrrev_b32 v0, 24, v1
	v_and_b32_e32 v2, 0x7fffffff, v1
                                        ; implicit-def: $vgpr65
	s_mov_b32 s7, exec_lo
	s_delay_alu instid0(VALU_DEP_2) | instskip(NEXT) | instid1(VALU_DEP_2)
	v_and_b32_e32 v23, 0x80, v0
	v_cmpx_gt_u64_e32 0x47600001, v[2:3]
	s_xor_b32 s41, exec_lo, s7
	s_cbranch_execz .LBB6_14101
; %bb.14088:                            ;   in Loop: Header=BB6_12546 Depth=2
	v_mov_b32_e32 v65, 0
	s_mov_b32 s42, exec_lo
	v_cmpx_ne_u32_e32 0, v1
	s_cbranch_execz .LBB6_14100
; %bb.14089:                            ;   in Loop: Header=BB6_12546 Depth=2
	v_bfe_u32 v27, v1, 23, 8
	v_or_b32_e32 v2, 0x800000, v24
	s_delay_alu instid0(VALU_DEP_2) | instskip(SKIP_1) | instid1(VALU_DEP_2)
	v_sub_nc_u32_e32 v0, 0x71, v27
	v_cmp_gt_u32_e32 vcc_lo, 0x72, v27
	v_cndmask_b32_e32 v0, 0, v0, vcc_lo
	v_cmp_eq_u32_e32 vcc_lo, 0, v27
	s_wait_loadcnt 0x5
	s_delay_alu instid0(VALU_DEP_2) | instskip(NEXT) | instid1(VALU_DEP_1)
	v_cndmask_b32_e64 v33, v0, 0x70, vcc_lo
	v_dual_cndmask_b32 v24, v2, v24, vcc_lo :: v_dual_add_nc_u32 v0, 21, v33
	v_add_nc_u32_e32 v3, 20, v33
	s_delay_alu instid0(VALU_DEP_2) | instskip(NEXT) | instid1(VALU_DEP_2)
	v_lshlrev_b64_e64 v[0:1], v0, -1
	v_lshlrev_b64_e64 v[2:3], v3, 1
	s_wait_loadcnt 0x0
	s_delay_alu instid0(VALU_DEP_2) | instskip(NEXT) | instid1(VALU_DEP_3)
	v_bfi_b32 v67, v1, 0, 0
	v_bfi_b32 v66, v0, 0, v24
	v_lshrrev_b64 v[0:1], v33, v[24:25]
	s_delay_alu instid0(VALU_DEP_2) | instskip(NEXT) | instid1(VALU_DEP_2)
	v_cmp_eq_u64_e64 s7, v[66:67], v[2:3]
	v_mov_b64_e32 v[2:3], v[0:1]
	s_and_saveexec_b32 s43, s7
; %bb.14090:                            ;   in Loop: Header=BB6_12546 Depth=2
	v_bfe_u32 v24, v0, 21, 1
	s_delay_alu instid0(VALU_DEP_1) | instskip(NEXT) | instid1(VALU_DEP_1)
	v_add_nc_u64_e32 v[2:3], v[0:1], v[24:25]
	v_add_nc_u64_e32 v[2:3], -1, v[2:3]
; %bb.14091:                            ;   in Loop: Header=BB6_12546 Depth=2
	s_or_b32 exec_lo, exec_lo, s43
	v_add_nc_u32_e32 v1, 0xffffff81, v27
	v_lshrrev_b32_e32 v3, 23, v0
	s_mov_b32 s7, exec_lo
	s_delay_alu instid0(VALU_DEP_2) | instskip(NEXT) | instid1(VALU_DEP_1)
	v_cndmask_b32_e64 v1, v1, 0xffffff82, vcc_lo
	v_add3_u32 v3, v33, v1, v3
	v_and_b32_e32 v1, 0x1fffff, v2
                                        ; implicit-def: $vgpr2
	s_delay_alu instid0(VALU_DEP_1) | instskip(NEXT) | instid1(VALU_DEP_1)
	v_dual_add_nc_u32 v27, 14, v3 :: v_dual_add_nc_u32 v24, v1, v0
                                        ; implicit-def: $vgpr0_vgpr1
	v_cmpx_ne_u32_e32 0, v27
	s_xor_b32 s7, exec_lo, s7
; %bb.14092:                            ;   in Loop: Header=BB6_12546 Depth=2
	s_delay_alu instid0(VALU_DEP_2) | instskip(SKIP_1) | instid1(VALU_DEP_1)
	v_cmp_lt_u64_e32 vcc_lo, 0xffffff, v[24:25]
	v_add_nc_u32_e32 v0, 15, v3
	v_cndmask_b32_e32 v2, v27, v0, vcc_lo
	v_cndmask_b32_e64 v0, 0, 1, vcc_lo
	s_delay_alu instid0(VALU_DEP_1)
	v_lshrrev_b64 v[0:1], v0, v[24:25]
; %bb.14093:                            ;   in Loop: Header=BB6_12546 Depth=2
	s_and_not1_saveexec_b32 s7, s7
; %bb.14094:                            ;   in Loop: Header=BB6_12546 Depth=2
	v_mov_b64_e32 v[0:1], v[24:25]
	v_bfe_u32 v2, v24, 23, 1
; %bb.14095:                            ;   in Loop: Header=BB6_12546 Depth=2
	s_or_b32 exec_lo, exec_lo, s7
	s_delay_alu instid0(VALU_DEP_2) | instskip(NEXT) | instid1(VALU_DEP_2)
	v_lshrrev_b64 v[0:1], 21, v[0:1]
	v_cmp_gt_i32_e32 vcc_lo, 32, v2
	v_cmp_ne_u32_e64 s7, 0, v2
                                        ; implicit-def: $vgpr65
	s_delay_alu instid0(VALU_DEP_3) | instskip(NEXT) | instid1(VALU_DEP_1)
	v_dual_cndmask_b32 v1, 0, v1 :: v_dual_cndmask_b32 v0, 3, v0
	v_cmp_ne_u64_e32 vcc_lo, 0, v[0:1]
	s_or_b32 s7, s7, vcc_lo
	s_delay_alu instid0(SALU_CYCLE_1) | instskip(NEXT) | instid1(SALU_CYCLE_1)
	s_and_saveexec_b32 s43, s7
	s_xor_b32 s7, exec_lo, s43
; %bb.14096:                            ;   in Loop: Header=BB6_12546 Depth=2
	v_min_i32_e32 v1, 31, v2
	s_delay_alu instid0(VALU_DEP_1) | instskip(NEXT) | instid1(VALU_DEP_1)
	v_lshl_or_b32 v1, v1, 2, v23
                                        ; implicit-def: $vgpr23
	v_and_or_b32 v65, v0, 3, v1
; %bb.14097:                            ;   in Loop: Header=BB6_12546 Depth=2
	s_and_not1_saveexec_b32 s7, s7
; %bb.14098:                            ;   in Loop: Header=BB6_12546 Depth=2
	v_mov_b32_e32 v65, v23
; %bb.14099:                            ;   in Loop: Header=BB6_12546 Depth=2
	s_or_b32 exec_lo, exec_lo, s7
.LBB6_14100:                            ;   in Loop: Header=BB6_12546 Depth=2
	s_delay_alu instid0(SALU_CYCLE_1)
	s_or_b32 exec_lo, exec_lo, s42
                                        ; implicit-def: $vgpr23
.LBB6_14101:                            ;   in Loop: Header=BB6_12546 Depth=2
	s_and_not1_saveexec_b32 s7, s41
; %bb.14102:                            ;   in Loop: Header=BB6_12546 Depth=2
	v_or_b32_e32 v65, 0x7b, v23
; %bb.14103:                            ;   in Loop: Header=BB6_12546 Depth=2
	s_or_b32 exec_lo, exec_lo, s7
                                        ; implicit-def: $vgpr1
.LBB6_14104:                            ;   in Loop: Header=BB6_12546 Depth=2
	s_and_not1_saveexec_b32 s7, s10
	s_cbranch_execz .LBB6_14110
; %bb.14105:                            ;   in Loop: Header=BB6_12546 Depth=2
	s_mov_b32 s10, exec_lo
                                        ; implicit-def: $vgpr65
	v_cmpx_ne_u64_e32 0, v[24:25]
	s_xor_b32 s10, exec_lo, s10
; %bb.14106:                            ;   in Loop: Header=BB6_12546 Depth=2
	v_lshrrev_b32_e32 v0, 24, v1
                                        ; implicit-def: $vgpr1
	s_delay_alu instid0(VALU_DEP_1)
	v_or_b32_e32 v65, 0x7f, v0
; %bb.14107:                            ;   in Loop: Header=BB6_12546 Depth=2
	s_and_not1_saveexec_b32 s10, s10
; %bb.14108:                            ;   in Loop: Header=BB6_12546 Depth=2
	v_cmp_lt_i32_e32 vcc_lo, -1, v1
	v_cndmask_b32_e64 v65, -4, 0x7c, vcc_lo
; %bb.14109:                            ;   in Loop: Header=BB6_12546 Depth=2
	s_or_b32 exec_lo, exec_lo, s10
.LBB6_14110:                            ;   in Loop: Header=BB6_12546 Depth=2
	s_delay_alu instid0(SALU_CYCLE_1)
	s_or_b32 exec_lo, exec_lo, s7
	v_and_b32_e32 v0, 0xff, v76
	v_cmp_ne_u16_e64 s7, 0, v76
	s_and_not1_b32 vcc_lo, exec_lo, s14
	s_mov_b32 s10, -1
                                        ; implicit-def: $vgpr1
	s_cbranch_vccnz .LBB6_14132
; %bb.14111:                            ;   in Loop: Header=BB6_12546 Depth=2
	v_dual_mov_b32 v2, 0 :: v_dual_mov_b32 v1, 0
	s_and_saveexec_b32 s10, s7
	s_cbranch_execz .LBB6_14121
; %bb.14112:                            ;   in Loop: Header=BB6_12546 Depth=2
	v_bfrev_b32_e32 v1, 1
	s_mov_b32 s41, exec_lo
	v_cmpx_ne_u16_e32 0xff80, v76
	s_cbranch_execz .LBB6_14120
; %bb.14113:                            ;   in Loop: Header=BB6_12546 Depth=2
	v_and_b32_e32 v1, 0x7c, v0
	v_and_b32_e32 v3, 3, v0
	s_delay_alu instid0(VALU_DEP_2) | instskip(SKIP_1) | instid1(SALU_CYCLE_1)
	v_cmp_ne_u32_e32 vcc_lo, 0x7c, v1
                                        ; implicit-def: $vgpr1
	s_and_saveexec_b32 s42, vcc_lo
	s_xor_b32 s42, exec_lo, s42
	s_cbranch_execz .LBB6_14117
; %bb.14114:                            ;   in Loop: Header=BB6_12546 Depth=2
	v_bfe_u32 v1, v0, 2, 5
	s_mov_b32 s43, exec_lo
	s_delay_alu instid0(VALU_DEP_1)
	v_cmpx_eq_u32_e32 0, v1
	s_cbranch_execz .LBB6_14116
; %bb.14115:                            ;   in Loop: Header=BB6_12546 Depth=2
	v_clz_i32_u32_e32 v1, v3
	s_delay_alu instid0(VALU_DEP_1) | instskip(SKIP_1) | instid1(VALU_DEP_2)
	v_min_u32_e32 v1, 32, v1
	v_mov_b32_e32 v77, v25
	v_subrev_nc_u32_e32 v3, 29, v1
	v_sub_nc_u32_e32 v1, 30, v1
	s_wait_loadcnt 0x0
	s_delay_alu instid0(VALU_DEP_2) | instskip(NEXT) | instid1(VALU_DEP_1)
	v_lshlrev_b64_e32 v[66:67], v3, v[76:77]
	v_and_b32_e32 v3, 3, v66
.LBB6_14116:                            ;   in Loop: Header=BB6_12546 Depth=2
	s_or_b32 exec_lo, exec_lo, s43
	v_bfe_i32 v23, v76, 0, 16
	s_delay_alu instid0(VALU_DEP_1) | instskip(NEXT) | instid1(VALU_DEP_1)
	v_and_b32_e32 v23, 0x80000000, v23
	v_lshl_add_u32 v1, v1, 23, v23
	s_delay_alu instid0(VALU_DEP_1) | instskip(NEXT) | instid1(VALU_DEP_1)
	v_lshl_or_b32 v1, v3, 21, v1
                                        ; implicit-def: $vgpr3
	v_add_nc_u32_e32 v1, 0x38000000, v1
.LBB6_14117:                            ;   in Loop: Header=BB6_12546 Depth=2
	s_and_not1_saveexec_b32 s42, s42
; %bb.14118:                            ;   in Loop: Header=BB6_12546 Depth=2
	v_cmp_lt_i16_e32 vcc_lo, -1, v76
	v_cndmask_b32_e32 v1, 0xff800000, v40, vcc_lo
	v_cmp_eq_u32_e32 vcc_lo, 0, v3
	s_delay_alu instid0(VALU_DEP_2)
	v_cndmask_b32_e32 v1, 0x7f800001, v1, vcc_lo
; %bb.14119:                            ;   in Loop: Header=BB6_12546 Depth=2
	s_or_b32 exec_lo, exec_lo, s42
.LBB6_14120:                            ;   in Loop: Header=BB6_12546 Depth=2
	s_delay_alu instid0(SALU_CYCLE_1)
	s_or_b32 exec_lo, exec_lo, s41
.LBB6_14121:                            ;   in Loop: Header=BB6_12546 Depth=2
	s_delay_alu instid0(SALU_CYCLE_1) | instskip(NEXT) | instid1(SALU_CYCLE_1)
	s_or_b32 exec_lo, exec_lo, s10
	s_mov_b32 s10, exec_lo
	s_wait_loadcnt 0x1
	v_cmpx_ne_u16_e32 0, v68
	s_cbranch_execz .LBB6_14131
; %bb.14122:                            ;   in Loop: Header=BB6_12546 Depth=2
	v_bfrev_b32_e32 v2, 1
	s_mov_b32 s41, exec_lo
	v_cmpx_ne_u16_e32 0xff80, v68
	s_cbranch_execz .LBB6_14130
; %bb.14123:                            ;   in Loop: Header=BB6_12546 Depth=2
	v_and_b32_e32 v2, 0x7c, v68
	v_and_b32_e32 v3, 3, v68
	s_delay_alu instid0(VALU_DEP_2) | instskip(SKIP_1) | instid1(SALU_CYCLE_1)
	v_cmp_ne_u32_e32 vcc_lo, 0x7c, v2
                                        ; implicit-def: $vgpr2
	s_and_saveexec_b32 s42, vcc_lo
	s_xor_b32 s42, exec_lo, s42
	s_cbranch_execz .LBB6_14127
; %bb.14124:                            ;   in Loop: Header=BB6_12546 Depth=2
	v_and_b32_e32 v2, 0xff, v68
	s_mov_b32 s43, exec_lo
	s_delay_alu instid0(VALU_DEP_1) | instskip(NEXT) | instid1(VALU_DEP_1)
	v_bfe_u32 v2, v2, 2, 5
	v_cmpx_eq_u32_e32 0, v2
	s_cbranch_execz .LBB6_14126
; %bb.14125:                            ;   in Loop: Header=BB6_12546 Depth=2
	v_clz_i32_u32_e32 v2, v3
	s_delay_alu instid0(VALU_DEP_1) | instskip(SKIP_1) | instid1(VALU_DEP_2)
	v_min_u32_e32 v2, 32, v2
	v_mov_b32_e32 v69, v25
	v_subrev_nc_u32_e32 v3, 29, v2
	v_sub_nc_u32_e32 v2, 30, v2
	s_wait_loadcnt 0x0
	s_delay_alu instid0(VALU_DEP_2) | instskip(NEXT) | instid1(VALU_DEP_1)
	v_lshlrev_b64_e32 v[66:67], v3, v[68:69]
	v_and_b32_e32 v3, 3, v66
.LBB6_14126:                            ;   in Loop: Header=BB6_12546 Depth=2
	s_or_b32 exec_lo, exec_lo, s43
	v_bfe_i32 v23, v68, 0, 16
	s_delay_alu instid0(VALU_DEP_1) | instskip(NEXT) | instid1(VALU_DEP_1)
	v_and_b32_e32 v23, 0x80000000, v23
	v_lshl_add_u32 v2, v2, 23, v23
	s_delay_alu instid0(VALU_DEP_1) | instskip(NEXT) | instid1(VALU_DEP_1)
	v_lshl_or_b32 v2, v3, 21, v2
                                        ; implicit-def: $vgpr3
	v_add_nc_u32_e32 v2, 0x38000000, v2
.LBB6_14127:                            ;   in Loop: Header=BB6_12546 Depth=2
	s_and_not1_saveexec_b32 s42, s42
; %bb.14128:                            ;   in Loop: Header=BB6_12546 Depth=2
	v_cmp_lt_i16_e32 vcc_lo, -1, v68
	v_cndmask_b32_e32 v2, 0xff800000, v40, vcc_lo
	v_cmp_eq_u32_e32 vcc_lo, 0, v3
	s_delay_alu instid0(VALU_DEP_2)
	v_cndmask_b32_e32 v2, 0x7f800001, v2, vcc_lo
; %bb.14129:                            ;   in Loop: Header=BB6_12546 Depth=2
	s_or_b32 exec_lo, exec_lo, s42
.LBB6_14130:                            ;   in Loop: Header=BB6_12546 Depth=2
	s_delay_alu instid0(SALU_CYCLE_1)
	s_or_b32 exec_lo, exec_lo, s41
.LBB6_14131:                            ;   in Loop: Header=BB6_12546 Depth=2
	s_delay_alu instid0(SALU_CYCLE_1) | instskip(NEXT) | instid1(VALU_DEP_1)
	s_or_b32 exec_lo, exec_lo, s10
	v_dual_max_num_f32 v2, v2, v2 :: v_dual_max_num_f32 v1, v1, v1
	s_mov_b32 s10, 0
	s_delay_alu instid0(VALU_DEP_1)
	v_max_num_f32_e32 v1, v1, v2
.LBB6_14132:                            ;   in Loop: Header=BB6_12546 Depth=2
	s_and_b32 vcc_lo, exec_lo, s10
	s_cbranch_vccz .LBB6_14154
; %bb.14133:                            ;   in Loop: Header=BB6_12546 Depth=2
	v_dual_mov_b32 v2, 0 :: v_dual_mov_b32 v1, 0
	s_and_saveexec_b32 s10, s7
	s_cbranch_execz .LBB6_14143
; %bb.14134:                            ;   in Loop: Header=BB6_12546 Depth=2
	v_bfrev_b32_e32 v1, 1
	s_mov_b32 s7, exec_lo
	v_cmpx_ne_u16_e32 0xff80, v76
	s_cbranch_execz .LBB6_14142
; %bb.14135:                            ;   in Loop: Header=BB6_12546 Depth=2
	v_and_b32_e32 v1, 0x7c, v0
	v_and_b32_e32 v3, 3, v0
	s_delay_alu instid0(VALU_DEP_2) | instskip(SKIP_1) | instid1(SALU_CYCLE_1)
	v_cmp_ne_u32_e32 vcc_lo, 0x7c, v1
                                        ; implicit-def: $vgpr1
	s_and_saveexec_b32 s41, vcc_lo
	s_xor_b32 s41, exec_lo, s41
	s_cbranch_execz .LBB6_14139
; %bb.14136:                            ;   in Loop: Header=BB6_12546 Depth=2
	v_bfe_u32 v0, v0, 2, 5
	s_mov_b32 s42, exec_lo
	s_delay_alu instid0(VALU_DEP_1)
	v_cmpx_eq_u32_e32 0, v0
	s_cbranch_execz .LBB6_14138
; %bb.14137:                            ;   in Loop: Header=BB6_12546 Depth=2
	v_clz_i32_u32_e32 v0, v3
	s_delay_alu instid0(VALU_DEP_1) | instskip(SKIP_1) | instid1(VALU_DEP_2)
	v_min_u32_e32 v0, 32, v0
	v_mov_b32_e32 v77, v25
	v_subrev_nc_u32_e32 v1, 29, v0
	v_sub_nc_u32_e32 v0, 30, v0
	s_wait_loadcnt 0x0
	s_delay_alu instid0(VALU_DEP_2) | instskip(NEXT) | instid1(VALU_DEP_1)
	v_lshlrev_b64_e32 v[66:67], v1, v[76:77]
	v_and_b32_e32 v3, 3, v66
.LBB6_14138:                            ;   in Loop: Header=BB6_12546 Depth=2
	s_or_b32 exec_lo, exec_lo, s42
	v_bfe_i32 v1, v76, 0, 16
                                        ; implicit-def: $vgpr76
	s_delay_alu instid0(VALU_DEP_1) | instskip(NEXT) | instid1(VALU_DEP_1)
	v_and_b32_e32 v1, 0x80000000, v1
	v_lshl_add_u32 v0, v0, 23, v1
	s_delay_alu instid0(VALU_DEP_1) | instskip(NEXT) | instid1(VALU_DEP_1)
	v_lshl_or_b32 v0, v3, 21, v0
                                        ; implicit-def: $vgpr3
	v_add_nc_u32_e32 v1, 0x38000000, v0
.LBB6_14139:                            ;   in Loop: Header=BB6_12546 Depth=2
	s_and_not1_saveexec_b32 s41, s41
; %bb.14140:                            ;   in Loop: Header=BB6_12546 Depth=2
	v_cmp_lt_i16_e32 vcc_lo, -1, v76
	v_cndmask_b32_e32 v0, 0xff800000, v40, vcc_lo
	v_cmp_eq_u32_e32 vcc_lo, 0, v3
	s_delay_alu instid0(VALU_DEP_2)
	v_cndmask_b32_e32 v1, 0x7f800001, v0, vcc_lo
; %bb.14141:                            ;   in Loop: Header=BB6_12546 Depth=2
	s_or_b32 exec_lo, exec_lo, s41
.LBB6_14142:                            ;   in Loop: Header=BB6_12546 Depth=2
	s_delay_alu instid0(SALU_CYCLE_1)
	s_or_b32 exec_lo, exec_lo, s7
.LBB6_14143:                            ;   in Loop: Header=BB6_12546 Depth=2
	s_delay_alu instid0(SALU_CYCLE_1) | instskip(NEXT) | instid1(SALU_CYCLE_1)
	s_or_b32 exec_lo, exec_lo, s10
	s_mov_b32 s7, exec_lo
	s_wait_loadcnt 0x1
	v_cmpx_ne_u16_e32 0, v68
	s_cbranch_execz .LBB6_14153
; %bb.14144:                            ;   in Loop: Header=BB6_12546 Depth=2
	v_bfrev_b32_e32 v2, 1
	s_mov_b32 s10, exec_lo
	v_cmpx_ne_u16_e32 0xff80, v68
	s_cbranch_execz .LBB6_14152
; %bb.14145:                            ;   in Loop: Header=BB6_12546 Depth=2
	v_and_b32_e32 v2, 0x7c, v68
	v_and_b32_e32 v0, 3, v68
	s_delay_alu instid0(VALU_DEP_2) | instskip(SKIP_1) | instid1(SALU_CYCLE_1)
	v_cmp_ne_u32_e32 vcc_lo, 0x7c, v2
                                        ; implicit-def: $vgpr2
	s_and_saveexec_b32 s41, vcc_lo
	s_xor_b32 s41, exec_lo, s41
	s_cbranch_execz .LBB6_14149
; %bb.14146:                            ;   in Loop: Header=BB6_12546 Depth=2
	v_and_b32_e32 v2, 0xff, v68
	s_mov_b32 s42, exec_lo
	s_delay_alu instid0(VALU_DEP_1) | instskip(NEXT) | instid1(VALU_DEP_1)
	v_bfe_u32 v2, v2, 2, 5
	v_cmpx_eq_u32_e32 0, v2
	s_cbranch_execz .LBB6_14148
; %bb.14147:                            ;   in Loop: Header=BB6_12546 Depth=2
	v_clz_i32_u32_e32 v0, v0
	s_delay_alu instid0(VALU_DEP_1) | instskip(SKIP_1) | instid1(VALU_DEP_2)
	v_min_u32_e32 v0, 32, v0
	v_mov_b32_e32 v69, v25
	v_subrev_nc_u32_e32 v2, 29, v0
	s_wait_loadcnt 0x0
	s_delay_alu instid0(VALU_DEP_1) | instskip(NEXT) | instid1(VALU_DEP_1)
	v_lshlrev_b64_e32 v[66:67], v2, v[68:69]
	v_dual_sub_nc_u32 v2, 30, v0 :: v_dual_bitop2_b32 v0, 3, v66 bitop3:0x40
.LBB6_14148:                            ;   in Loop: Header=BB6_12546 Depth=2
	s_or_b32 exec_lo, exec_lo, s42
	v_bfe_i32 v3, v68, 0, 16
                                        ; implicit-def: $vgpr68
	s_delay_alu instid0(VALU_DEP_1) | instskip(NEXT) | instid1(VALU_DEP_1)
	v_and_b32_e32 v3, 0x80000000, v3
	v_lshl_add_u32 v2, v2, 23, v3
	s_delay_alu instid0(VALU_DEP_1) | instskip(NEXT) | instid1(VALU_DEP_1)
	v_lshl_or_b32 v0, v0, 21, v2
	v_add_nc_u32_e32 v2, 0x38000000, v0
                                        ; implicit-def: $vgpr0
.LBB6_14149:                            ;   in Loop: Header=BB6_12546 Depth=2
	s_and_not1_saveexec_b32 s41, s41
; %bb.14150:                            ;   in Loop: Header=BB6_12546 Depth=2
	v_cmp_lt_i16_e32 vcc_lo, -1, v68
	v_cndmask_b32_e32 v2, 0xff800000, v40, vcc_lo
	v_cmp_eq_u32_e32 vcc_lo, 0, v0
	s_delay_alu instid0(VALU_DEP_2)
	v_cndmask_b32_e32 v2, 0x7f800001, v2, vcc_lo
; %bb.14151:                            ;   in Loop: Header=BB6_12546 Depth=2
	s_or_b32 exec_lo, exec_lo, s41
.LBB6_14152:                            ;   in Loop: Header=BB6_12546 Depth=2
	s_delay_alu instid0(SALU_CYCLE_1)
	s_or_b32 exec_lo, exec_lo, s10
.LBB6_14153:                            ;   in Loop: Header=BB6_12546 Depth=2
	s_delay_alu instid0(SALU_CYCLE_1) | instskip(NEXT) | instid1(VALU_DEP_1)
	s_or_b32 exec_lo, exec_lo, s7
	v_dual_max_num_f32 v0, v2, v2 :: v_dual_max_num_f32 v1, v1, v1
	s_delay_alu instid0(VALU_DEP_1)
	v_min_num_f32_e32 v1, v1, v0
.LBB6_14154:                            ;   in Loop: Header=BB6_12546 Depth=2
	s_delay_alu instid0(VALU_DEP_1) | instskip(SKIP_3) | instid1(VALU_DEP_2)
	v_and_b32_e32 v2, 0x7f800000, v1
	v_mov_b32_e32 v3, v25
	v_and_b32_e32 v24, 0x7fffff, v1
                                        ; implicit-def: $vgpr66
	s_mov_b32 s7, exec_lo
	v_cmpx_ne_u64_e32 0x7f800000, v[2:3]
	s_xor_b32 s10, exec_lo, s7
	s_cbranch_execz .LBB6_14172
; %bb.14155:                            ;   in Loop: Header=BB6_12546 Depth=2
	v_dual_mov_b32 v3, v25 :: v_dual_lshrrev_b32 v0, 24, v1
	v_and_b32_e32 v2, 0x7fffffff, v1
                                        ; implicit-def: $vgpr66
	s_mov_b32 s7, exec_lo
	s_delay_alu instid0(VALU_DEP_2) | instskip(NEXT) | instid1(VALU_DEP_2)
	v_and_b32_e32 v23, 0x80, v0
	v_cmpx_gt_u64_e32 0x47600001, v[2:3]
	s_xor_b32 s41, exec_lo, s7
	s_cbranch_execz .LBB6_14169
; %bb.14156:                            ;   in Loop: Header=BB6_12546 Depth=2
	s_wait_loadcnt 0x0
	v_mov_b32_e32 v66, 0
	s_mov_b32 s42, exec_lo
	v_cmpx_ne_u32_e32 0, v1
	s_cbranch_execz .LBB6_14168
; %bb.14157:                            ;   in Loop: Header=BB6_12546 Depth=2
	v_bfe_u32 v27, v1, 23, 8
	v_or_b32_e32 v2, 0x800000, v24
	s_delay_alu instid0(VALU_DEP_2) | instskip(SKIP_1) | instid1(VALU_DEP_2)
	v_sub_nc_u32_e32 v0, 0x71, v27
	v_cmp_gt_u32_e32 vcc_lo, 0x72, v27
	v_cndmask_b32_e32 v0, 0, v0, vcc_lo
	v_cmp_eq_u32_e32 vcc_lo, 0, v27
	s_delay_alu instid0(VALU_DEP_2) | instskip(NEXT) | instid1(VALU_DEP_1)
	v_cndmask_b32_e64 v33, v0, 0x70, vcc_lo
	v_dual_cndmask_b32 v24, v2, v24, vcc_lo :: v_dual_add_nc_u32 v0, 21, v33
	v_add_nc_u32_e32 v3, 20, v33
	s_delay_alu instid0(VALU_DEP_2) | instskip(NEXT) | instid1(VALU_DEP_2)
	v_lshlrev_b64_e64 v[0:1], v0, -1
	v_lshlrev_b64_e64 v[2:3], v3, 1
	s_delay_alu instid0(VALU_DEP_2) | instskip(NEXT) | instid1(VALU_DEP_3)
	v_bfi_b32 v67, v1, 0, 0
	v_bfi_b32 v66, v0, 0, v24
	v_lshrrev_b64 v[0:1], v33, v[24:25]
	s_delay_alu instid0(VALU_DEP_2) | instskip(NEXT) | instid1(VALU_DEP_2)
	v_cmp_eq_u64_e64 s7, v[66:67], v[2:3]
	v_mov_b64_e32 v[2:3], v[0:1]
	s_and_saveexec_b32 s43, s7
; %bb.14158:                            ;   in Loop: Header=BB6_12546 Depth=2
	v_bfe_u32 v24, v0, 21, 1
	s_delay_alu instid0(VALU_DEP_1) | instskip(NEXT) | instid1(VALU_DEP_1)
	v_add_nc_u64_e32 v[2:3], v[0:1], v[24:25]
	v_add_nc_u64_e32 v[2:3], -1, v[2:3]
; %bb.14159:                            ;   in Loop: Header=BB6_12546 Depth=2
	s_or_b32 exec_lo, exec_lo, s43
	v_add_nc_u32_e32 v1, 0xffffff81, v27
	v_lshrrev_b32_e32 v3, 23, v0
	s_mov_b32 s7, exec_lo
	s_delay_alu instid0(VALU_DEP_2) | instskip(NEXT) | instid1(VALU_DEP_1)
	v_cndmask_b32_e64 v1, v1, 0xffffff82, vcc_lo
	v_add3_u32 v3, v33, v1, v3
	v_and_b32_e32 v1, 0x1fffff, v2
                                        ; implicit-def: $vgpr2
	s_delay_alu instid0(VALU_DEP_1) | instskip(NEXT) | instid1(VALU_DEP_1)
	v_dual_add_nc_u32 v27, 14, v3 :: v_dual_add_nc_u32 v24, v1, v0
                                        ; implicit-def: $vgpr0_vgpr1
	v_cmpx_ne_u32_e32 0, v27
	s_xor_b32 s7, exec_lo, s7
; %bb.14160:                            ;   in Loop: Header=BB6_12546 Depth=2
	s_delay_alu instid0(VALU_DEP_2) | instskip(SKIP_1) | instid1(VALU_DEP_1)
	v_cmp_lt_u64_e32 vcc_lo, 0xffffff, v[24:25]
	v_add_nc_u32_e32 v0, 15, v3
	v_cndmask_b32_e32 v2, v27, v0, vcc_lo
	v_cndmask_b32_e64 v0, 0, 1, vcc_lo
	s_delay_alu instid0(VALU_DEP_1)
	v_lshrrev_b64 v[0:1], v0, v[24:25]
; %bb.14161:                            ;   in Loop: Header=BB6_12546 Depth=2
	s_and_not1_saveexec_b32 s7, s7
; %bb.14162:                            ;   in Loop: Header=BB6_12546 Depth=2
	v_mov_b64_e32 v[0:1], v[24:25]
	v_bfe_u32 v2, v24, 23, 1
; %bb.14163:                            ;   in Loop: Header=BB6_12546 Depth=2
	s_or_b32 exec_lo, exec_lo, s7
	s_delay_alu instid0(VALU_DEP_2) | instskip(NEXT) | instid1(VALU_DEP_2)
	v_lshrrev_b64 v[0:1], 21, v[0:1]
	v_cmp_gt_i32_e32 vcc_lo, 32, v2
	v_cmp_ne_u32_e64 s7, 0, v2
                                        ; implicit-def: $vgpr66
	s_delay_alu instid0(VALU_DEP_3) | instskip(NEXT) | instid1(VALU_DEP_1)
	v_dual_cndmask_b32 v1, 0, v1 :: v_dual_cndmask_b32 v0, 3, v0
	v_cmp_ne_u64_e32 vcc_lo, 0, v[0:1]
	s_or_b32 s7, s7, vcc_lo
	s_delay_alu instid0(SALU_CYCLE_1) | instskip(NEXT) | instid1(SALU_CYCLE_1)
	s_and_saveexec_b32 s43, s7
	s_xor_b32 s7, exec_lo, s43
; %bb.14164:                            ;   in Loop: Header=BB6_12546 Depth=2
	v_min_i32_e32 v1, 31, v2
	s_delay_alu instid0(VALU_DEP_1) | instskip(NEXT) | instid1(VALU_DEP_1)
	v_lshl_or_b32 v1, v1, 2, v23
                                        ; implicit-def: $vgpr23
	v_and_or_b32 v66, v0, 3, v1
; %bb.14165:                            ;   in Loop: Header=BB6_12546 Depth=2
	s_and_not1_saveexec_b32 s7, s7
; %bb.14166:                            ;   in Loop: Header=BB6_12546 Depth=2
	v_mov_b32_e32 v66, v23
; %bb.14167:                            ;   in Loop: Header=BB6_12546 Depth=2
	s_or_b32 exec_lo, exec_lo, s7
.LBB6_14168:                            ;   in Loop: Header=BB6_12546 Depth=2
	s_delay_alu instid0(SALU_CYCLE_1)
	s_or_b32 exec_lo, exec_lo, s42
                                        ; implicit-def: $vgpr23
.LBB6_14169:                            ;   in Loop: Header=BB6_12546 Depth=2
	s_and_not1_saveexec_b32 s7, s41
	s_cbranch_execz .LBB6_14171
; %bb.14170:                            ;   in Loop: Header=BB6_12546 Depth=2
	s_wait_loadcnt 0x0
	v_or_b32_e32 v66, 0x7b, v23
.LBB6_14171:                            ;   in Loop: Header=BB6_12546 Depth=2
	s_or_b32 exec_lo, exec_lo, s7
                                        ; implicit-def: $vgpr1
.LBB6_14172:                            ;   in Loop: Header=BB6_12546 Depth=2
	s_and_not1_saveexec_b32 s7, s10
	s_cbranch_execz .LBB6_14178
; %bb.14173:                            ;   in Loop: Header=BB6_12546 Depth=2
	s_mov_b32 s10, exec_lo
                                        ; implicit-def: $vgpr66
	v_cmpx_ne_u64_e32 0, v[24:25]
	s_xor_b32 s10, exec_lo, s10
	s_cbranch_execz .LBB6_14175
; %bb.14174:                            ;   in Loop: Header=BB6_12546 Depth=2
	v_lshrrev_b32_e32 v0, 24, v1
                                        ; implicit-def: $vgpr1
	s_wait_loadcnt 0x0
	s_delay_alu instid0(VALU_DEP_1)
	v_or_b32_e32 v66, 0x7f, v0
.LBB6_14175:                            ;   in Loop: Header=BB6_12546 Depth=2
	s_and_not1_saveexec_b32 s10, s10
	s_cbranch_execz .LBB6_14177
; %bb.14176:                            ;   in Loop: Header=BB6_12546 Depth=2
	v_cmp_lt_i32_e32 vcc_lo, -1, v1
	s_wait_loadcnt 0x0
	v_cndmask_b32_e64 v66, -4, 0x7c, vcc_lo
.LBB6_14177:                            ;   in Loop: Header=BB6_12546 Depth=2
	s_or_b32 exec_lo, exec_lo, s10
.LBB6_14178:                            ;   in Loop: Header=BB6_12546 Depth=2
	s_delay_alu instid0(SALU_CYCLE_1)
	s_or_b32 exec_lo, exec_lo, s7
	v_and_b32_e32 v0, 0xff, v58
	v_cmp_ne_u16_e64 s7, 0, v58
	s_and_not1_b32 vcc_lo, exec_lo, s14
	s_mov_b32 s10, -1
                                        ; implicit-def: $vgpr1
	s_cbranch_vccnz .LBB6_14200
; %bb.14179:                            ;   in Loop: Header=BB6_12546 Depth=2
	v_dual_mov_b32 v2, 0 :: v_dual_mov_b32 v1, 0
	s_and_saveexec_b32 s10, s7
	s_cbranch_execz .LBB6_14189
; %bb.14180:                            ;   in Loop: Header=BB6_12546 Depth=2
	v_bfrev_b32_e32 v1, 1
	s_mov_b32 s41, exec_lo
	v_cmpx_ne_u16_e32 0xff80, v58
	s_cbranch_execz .LBB6_14188
; %bb.14181:                            ;   in Loop: Header=BB6_12546 Depth=2
	v_and_b32_e32 v1, 0x7c, v0
	v_and_b32_e32 v3, 3, v0
	s_delay_alu instid0(VALU_DEP_2) | instskip(SKIP_1) | instid1(SALU_CYCLE_1)
	v_cmp_ne_u32_e32 vcc_lo, 0x7c, v1
                                        ; implicit-def: $vgpr1
	s_and_saveexec_b32 s42, vcc_lo
	s_xor_b32 s42, exec_lo, s42
	s_cbranch_execz .LBB6_14185
; %bb.14182:                            ;   in Loop: Header=BB6_12546 Depth=2
	v_bfe_u32 v1, v0, 2, 5
	s_mov_b32 s43, exec_lo
	s_delay_alu instid0(VALU_DEP_1)
	v_cmpx_eq_u32_e32 0, v1
	s_cbranch_execz .LBB6_14184
; %bb.14183:                            ;   in Loop: Header=BB6_12546 Depth=2
	v_clz_i32_u32_e32 v1, v3
	s_delay_alu instid0(VALU_DEP_1) | instskip(SKIP_1) | instid1(VALU_DEP_2)
	v_min_u32_e32 v1, 32, v1
	v_mov_b32_e32 v59, v25
	v_subrev_nc_u32_e32 v3, 29, v1
	v_sub_nc_u32_e32 v1, 30, v1
	s_wait_loadcnt 0x1
	s_delay_alu instid0(VALU_DEP_2) | instskip(NEXT) | instid1(VALU_DEP_1)
	v_lshlrev_b64_e32 v[68:69], v3, v[58:59]
	v_and_b32_e32 v3, 3, v68
.LBB6_14184:                            ;   in Loop: Header=BB6_12546 Depth=2
	s_or_b32 exec_lo, exec_lo, s43
	v_bfe_i32 v23, v58, 0, 16
	s_delay_alu instid0(VALU_DEP_1) | instskip(NEXT) | instid1(VALU_DEP_1)
	v_and_b32_e32 v23, 0x80000000, v23
	v_lshl_add_u32 v1, v1, 23, v23
	s_delay_alu instid0(VALU_DEP_1) | instskip(NEXT) | instid1(VALU_DEP_1)
	v_lshl_or_b32 v1, v3, 21, v1
                                        ; implicit-def: $vgpr3
	v_add_nc_u32_e32 v1, 0x38000000, v1
.LBB6_14185:                            ;   in Loop: Header=BB6_12546 Depth=2
	s_and_not1_saveexec_b32 s42, s42
; %bb.14186:                            ;   in Loop: Header=BB6_12546 Depth=2
	v_cmp_lt_i16_e32 vcc_lo, -1, v58
	v_cndmask_b32_e32 v1, 0xff800000, v40, vcc_lo
	v_cmp_eq_u32_e32 vcc_lo, 0, v3
	s_delay_alu instid0(VALU_DEP_2)
	v_cndmask_b32_e32 v1, 0x7f800001, v1, vcc_lo
; %bb.14187:                            ;   in Loop: Header=BB6_12546 Depth=2
	s_or_b32 exec_lo, exec_lo, s42
.LBB6_14188:                            ;   in Loop: Header=BB6_12546 Depth=2
	s_delay_alu instid0(SALU_CYCLE_1)
	s_or_b32 exec_lo, exec_lo, s41
.LBB6_14189:                            ;   in Loop: Header=BB6_12546 Depth=2
	s_delay_alu instid0(SALU_CYCLE_1) | instskip(NEXT) | instid1(SALU_CYCLE_1)
	s_or_b32 exec_lo, exec_lo, s10
	s_mov_b32 s10, exec_lo
	v_cmpx_ne_u16_e32 0, v100
	s_cbranch_execz .LBB6_14199
; %bb.14190:                            ;   in Loop: Header=BB6_12546 Depth=2
	v_bfrev_b32_e32 v2, 1
	s_mov_b32 s41, exec_lo
	v_cmpx_ne_u16_e32 0xff80, v100
	s_cbranch_execz .LBB6_14198
; %bb.14191:                            ;   in Loop: Header=BB6_12546 Depth=2
	v_and_b32_e32 v2, 0x7c, v100
	v_and_b32_e32 v3, 3, v100
	s_delay_alu instid0(VALU_DEP_2) | instskip(SKIP_1) | instid1(SALU_CYCLE_1)
	v_cmp_ne_u32_e32 vcc_lo, 0x7c, v2
                                        ; implicit-def: $vgpr2
	s_and_saveexec_b32 s42, vcc_lo
	s_xor_b32 s42, exec_lo, s42
	s_cbranch_execz .LBB6_14195
; %bb.14192:                            ;   in Loop: Header=BB6_12546 Depth=2
	v_and_b32_e32 v2, 0xff, v100
	s_mov_b32 s43, exec_lo
	s_delay_alu instid0(VALU_DEP_1) | instskip(NEXT) | instid1(VALU_DEP_1)
	v_bfe_u32 v2, v2, 2, 5
	v_cmpx_eq_u32_e32 0, v2
	s_cbranch_execz .LBB6_14194
; %bb.14193:                            ;   in Loop: Header=BB6_12546 Depth=2
	v_clz_i32_u32_e32 v2, v3
	s_delay_alu instid0(VALU_DEP_1) | instskip(SKIP_1) | instid1(VALU_DEP_2)
	v_min_u32_e32 v2, 32, v2
	v_mov_b32_e32 v101, v25
	v_subrev_nc_u32_e32 v3, 29, v2
	v_sub_nc_u32_e32 v2, 30, v2
	s_wait_loadcnt 0x1
	s_delay_alu instid0(VALU_DEP_2) | instskip(NEXT) | instid1(VALU_DEP_1)
	v_lshlrev_b64_e32 v[68:69], v3, v[100:101]
	v_and_b32_e32 v3, 3, v68
.LBB6_14194:                            ;   in Loop: Header=BB6_12546 Depth=2
	s_or_b32 exec_lo, exec_lo, s43
	v_bfe_i32 v23, v100, 0, 16
	s_delay_alu instid0(VALU_DEP_1) | instskip(NEXT) | instid1(VALU_DEP_1)
	v_and_b32_e32 v23, 0x80000000, v23
	v_lshl_add_u32 v2, v2, 23, v23
	s_delay_alu instid0(VALU_DEP_1) | instskip(NEXT) | instid1(VALU_DEP_1)
	v_lshl_or_b32 v2, v3, 21, v2
                                        ; implicit-def: $vgpr3
	v_add_nc_u32_e32 v2, 0x38000000, v2
.LBB6_14195:                            ;   in Loop: Header=BB6_12546 Depth=2
	s_and_not1_saveexec_b32 s42, s42
; %bb.14196:                            ;   in Loop: Header=BB6_12546 Depth=2
	v_cmp_lt_i16_e32 vcc_lo, -1, v100
	v_cndmask_b32_e32 v2, 0xff800000, v40, vcc_lo
	v_cmp_eq_u32_e32 vcc_lo, 0, v3
	s_delay_alu instid0(VALU_DEP_2)
	v_cndmask_b32_e32 v2, 0x7f800001, v2, vcc_lo
; %bb.14197:                            ;   in Loop: Header=BB6_12546 Depth=2
	s_or_b32 exec_lo, exec_lo, s42
.LBB6_14198:                            ;   in Loop: Header=BB6_12546 Depth=2
	s_delay_alu instid0(SALU_CYCLE_1)
	s_or_b32 exec_lo, exec_lo, s41
.LBB6_14199:                            ;   in Loop: Header=BB6_12546 Depth=2
	s_delay_alu instid0(SALU_CYCLE_1) | instskip(NEXT) | instid1(VALU_DEP_1)
	s_or_b32 exec_lo, exec_lo, s10
	v_dual_max_num_f32 v2, v2, v2 :: v_dual_max_num_f32 v1, v1, v1
	s_mov_b32 s10, 0
	s_delay_alu instid0(VALU_DEP_1)
	v_max_num_f32_e32 v1, v1, v2
.LBB6_14200:                            ;   in Loop: Header=BB6_12546 Depth=2
	s_and_b32 vcc_lo, exec_lo, s10
	s_cbranch_vccz .LBB6_14222
; %bb.14201:                            ;   in Loop: Header=BB6_12546 Depth=2
	v_dual_mov_b32 v2, 0 :: v_dual_mov_b32 v1, 0
	s_and_saveexec_b32 s10, s7
	s_cbranch_execz .LBB6_14211
; %bb.14202:                            ;   in Loop: Header=BB6_12546 Depth=2
	v_bfrev_b32_e32 v1, 1
	s_mov_b32 s7, exec_lo
	v_cmpx_ne_u16_e32 0xff80, v58
	s_cbranch_execz .LBB6_14210
; %bb.14203:                            ;   in Loop: Header=BB6_12546 Depth=2
	v_and_b32_e32 v1, 0x7c, v0
	v_and_b32_e32 v3, 3, v0
	s_delay_alu instid0(VALU_DEP_2) | instskip(SKIP_1) | instid1(SALU_CYCLE_1)
	v_cmp_ne_u32_e32 vcc_lo, 0x7c, v1
                                        ; implicit-def: $vgpr1
	s_and_saveexec_b32 s41, vcc_lo
	s_xor_b32 s41, exec_lo, s41
	s_cbranch_execz .LBB6_14207
; %bb.14204:                            ;   in Loop: Header=BB6_12546 Depth=2
	v_bfe_u32 v0, v0, 2, 5
	s_mov_b32 s42, exec_lo
	s_delay_alu instid0(VALU_DEP_1)
	v_cmpx_eq_u32_e32 0, v0
	s_cbranch_execz .LBB6_14206
; %bb.14205:                            ;   in Loop: Header=BB6_12546 Depth=2
	v_clz_i32_u32_e32 v0, v3
	s_delay_alu instid0(VALU_DEP_1) | instskip(SKIP_1) | instid1(VALU_DEP_2)
	v_min_u32_e32 v0, 32, v0
	v_mov_b32_e32 v59, v25
	v_subrev_nc_u32_e32 v1, 29, v0
	v_sub_nc_u32_e32 v0, 30, v0
	s_wait_loadcnt 0x1
	s_delay_alu instid0(VALU_DEP_2) | instskip(NEXT) | instid1(VALU_DEP_1)
	v_lshlrev_b64_e32 v[68:69], v1, v[58:59]
	v_and_b32_e32 v3, 3, v68
.LBB6_14206:                            ;   in Loop: Header=BB6_12546 Depth=2
	s_or_b32 exec_lo, exec_lo, s42
	v_bfe_i32 v1, v58, 0, 16
                                        ; implicit-def: $vgpr58
	s_delay_alu instid0(VALU_DEP_1) | instskip(NEXT) | instid1(VALU_DEP_1)
	v_and_b32_e32 v1, 0x80000000, v1
	v_lshl_add_u32 v0, v0, 23, v1
	s_delay_alu instid0(VALU_DEP_1) | instskip(NEXT) | instid1(VALU_DEP_1)
	v_lshl_or_b32 v0, v3, 21, v0
                                        ; implicit-def: $vgpr3
	v_add_nc_u32_e32 v1, 0x38000000, v0
.LBB6_14207:                            ;   in Loop: Header=BB6_12546 Depth=2
	s_and_not1_saveexec_b32 s41, s41
; %bb.14208:                            ;   in Loop: Header=BB6_12546 Depth=2
	v_cmp_lt_i16_e32 vcc_lo, -1, v58
	v_cndmask_b32_e32 v0, 0xff800000, v40, vcc_lo
	v_cmp_eq_u32_e32 vcc_lo, 0, v3
	s_delay_alu instid0(VALU_DEP_2)
	v_cndmask_b32_e32 v1, 0x7f800001, v0, vcc_lo
; %bb.14209:                            ;   in Loop: Header=BB6_12546 Depth=2
	s_or_b32 exec_lo, exec_lo, s41
.LBB6_14210:                            ;   in Loop: Header=BB6_12546 Depth=2
	s_delay_alu instid0(SALU_CYCLE_1)
	s_or_b32 exec_lo, exec_lo, s7
.LBB6_14211:                            ;   in Loop: Header=BB6_12546 Depth=2
	s_delay_alu instid0(SALU_CYCLE_1) | instskip(NEXT) | instid1(SALU_CYCLE_1)
	s_or_b32 exec_lo, exec_lo, s10
	s_mov_b32 s7, exec_lo
	v_cmpx_ne_u16_e32 0, v100
	s_cbranch_execz .LBB6_14221
; %bb.14212:                            ;   in Loop: Header=BB6_12546 Depth=2
	v_bfrev_b32_e32 v2, 1
	s_mov_b32 s10, exec_lo
	v_cmpx_ne_u16_e32 0xff80, v100
	s_cbranch_execz .LBB6_14220
; %bb.14213:                            ;   in Loop: Header=BB6_12546 Depth=2
	v_and_b32_e32 v2, 0x7c, v100
	v_and_b32_e32 v0, 3, v100
	s_delay_alu instid0(VALU_DEP_2) | instskip(SKIP_1) | instid1(SALU_CYCLE_1)
	v_cmp_ne_u32_e32 vcc_lo, 0x7c, v2
                                        ; implicit-def: $vgpr2
	s_and_saveexec_b32 s41, vcc_lo
	s_xor_b32 s41, exec_lo, s41
	s_cbranch_execz .LBB6_14217
; %bb.14214:                            ;   in Loop: Header=BB6_12546 Depth=2
	v_and_b32_e32 v2, 0xff, v100
	s_mov_b32 s42, exec_lo
	s_delay_alu instid0(VALU_DEP_1) | instskip(NEXT) | instid1(VALU_DEP_1)
	v_bfe_u32 v2, v2, 2, 5
	v_cmpx_eq_u32_e32 0, v2
	s_cbranch_execz .LBB6_14216
; %bb.14215:                            ;   in Loop: Header=BB6_12546 Depth=2
	v_clz_i32_u32_e32 v0, v0
	s_delay_alu instid0(VALU_DEP_1) | instskip(SKIP_1) | instid1(VALU_DEP_2)
	v_min_u32_e32 v0, 32, v0
	v_mov_b32_e32 v101, v25
	v_subrev_nc_u32_e32 v2, 29, v0
	s_wait_loadcnt 0x1
	s_delay_alu instid0(VALU_DEP_1) | instskip(SKIP_1) | instid1(VALU_DEP_2)
	v_lshlrev_b64_e32 v[68:69], v2, v[100:101]
	v_sub_nc_u32_e32 v2, 30, v0
	v_and_b32_e32 v0, 3, v68
.LBB6_14216:                            ;   in Loop: Header=BB6_12546 Depth=2
	s_or_b32 exec_lo, exec_lo, s42
	v_bfe_i32 v3, v100, 0, 16
                                        ; implicit-def: $vgpr100
	s_delay_alu instid0(VALU_DEP_1) | instskip(NEXT) | instid1(VALU_DEP_1)
	v_and_b32_e32 v3, 0x80000000, v3
	v_lshl_add_u32 v2, v2, 23, v3
	s_delay_alu instid0(VALU_DEP_1) | instskip(NEXT) | instid1(VALU_DEP_1)
	v_lshl_or_b32 v0, v0, 21, v2
	v_add_nc_u32_e32 v2, 0x38000000, v0
                                        ; implicit-def: $vgpr0
.LBB6_14217:                            ;   in Loop: Header=BB6_12546 Depth=2
	s_and_not1_saveexec_b32 s41, s41
; %bb.14218:                            ;   in Loop: Header=BB6_12546 Depth=2
	v_cmp_lt_i16_e32 vcc_lo, -1, v100
	v_cndmask_b32_e32 v2, 0xff800000, v40, vcc_lo
	v_cmp_eq_u32_e32 vcc_lo, 0, v0
	s_delay_alu instid0(VALU_DEP_2)
	v_cndmask_b32_e32 v2, 0x7f800001, v2, vcc_lo
; %bb.14219:                            ;   in Loop: Header=BB6_12546 Depth=2
	s_or_b32 exec_lo, exec_lo, s41
.LBB6_14220:                            ;   in Loop: Header=BB6_12546 Depth=2
	s_delay_alu instid0(SALU_CYCLE_1)
	s_or_b32 exec_lo, exec_lo, s10
.LBB6_14221:                            ;   in Loop: Header=BB6_12546 Depth=2
	s_delay_alu instid0(SALU_CYCLE_1) | instskip(NEXT) | instid1(VALU_DEP_1)
	s_or_b32 exec_lo, exec_lo, s7
	v_dual_max_num_f32 v0, v2, v2 :: v_dual_max_num_f32 v1, v1, v1
	s_delay_alu instid0(VALU_DEP_1)
	v_min_num_f32_e32 v1, v1, v0
.LBB6_14222:                            ;   in Loop: Header=BB6_12546 Depth=2
	s_delay_alu instid0(VALU_DEP_1) | instskip(SKIP_3) | instid1(VALU_DEP_2)
	v_and_b32_e32 v2, 0x7f800000, v1
	v_mov_b32_e32 v3, v25
	v_and_b32_e32 v24, 0x7fffff, v1
                                        ; implicit-def: $vgpr67
	s_mov_b32 s7, exec_lo
	v_cmpx_ne_u64_e32 0x7f800000, v[2:3]
	s_xor_b32 s10, exec_lo, s7
	s_cbranch_execz .LBB6_14240
; %bb.14223:                            ;   in Loop: Header=BB6_12546 Depth=2
	v_dual_mov_b32 v3, v25 :: v_dual_lshrrev_b32 v0, 24, v1
	v_and_b32_e32 v2, 0x7fffffff, v1
                                        ; implicit-def: $vgpr67
	s_mov_b32 s7, exec_lo
	s_delay_alu instid0(VALU_DEP_2) | instskip(NEXT) | instid1(VALU_DEP_2)
	v_and_b32_e32 v23, 0x80, v0
	v_cmpx_gt_u64_e32 0x47600001, v[2:3]
	s_xor_b32 s41, exec_lo, s7
	s_cbranch_execz .LBB6_14237
; %bb.14224:                            ;   in Loop: Header=BB6_12546 Depth=2
	s_wait_loadcnt 0x0
	v_mov_b32_e32 v67, 0
	s_mov_b32 s42, exec_lo
	v_cmpx_ne_u32_e32 0, v1
	s_cbranch_execz .LBB6_14236
; %bb.14225:                            ;   in Loop: Header=BB6_12546 Depth=2
	v_bfe_u32 v27, v1, 23, 8
	v_or_b32_e32 v2, 0x800000, v24
	s_delay_alu instid0(VALU_DEP_2) | instskip(SKIP_1) | instid1(VALU_DEP_2)
	v_sub_nc_u32_e32 v0, 0x71, v27
	v_cmp_gt_u32_e32 vcc_lo, 0x72, v27
	v_cndmask_b32_e32 v0, 0, v0, vcc_lo
	v_cmp_eq_u32_e32 vcc_lo, 0, v27
	s_delay_alu instid0(VALU_DEP_2) | instskip(NEXT) | instid1(VALU_DEP_1)
	v_cndmask_b32_e64 v33, v0, 0x70, vcc_lo
	v_dual_cndmask_b32 v24, v2, v24, vcc_lo :: v_dual_add_nc_u32 v0, 21, v33
	v_add_nc_u32_e32 v3, 20, v33
	s_delay_alu instid0(VALU_DEP_2) | instskip(NEXT) | instid1(VALU_DEP_2)
	v_lshlrev_b64_e64 v[0:1], v0, -1
	v_lshlrev_b64_e64 v[2:3], v3, 1
	s_delay_alu instid0(VALU_DEP_2) | instskip(NEXT) | instid1(VALU_DEP_3)
	v_bfi_b32 v69, v1, 0, 0
	v_bfi_b32 v68, v0, 0, v24
	v_lshrrev_b64 v[0:1], v33, v[24:25]
	s_delay_alu instid0(VALU_DEP_2) | instskip(NEXT) | instid1(VALU_DEP_2)
	v_cmp_eq_u64_e64 s7, v[68:69], v[2:3]
	v_mov_b64_e32 v[2:3], v[0:1]
	s_and_saveexec_b32 s43, s7
; %bb.14226:                            ;   in Loop: Header=BB6_12546 Depth=2
	v_bfe_u32 v24, v0, 21, 1
	s_delay_alu instid0(VALU_DEP_1) | instskip(NEXT) | instid1(VALU_DEP_1)
	v_add_nc_u64_e32 v[2:3], v[0:1], v[24:25]
	v_add_nc_u64_e32 v[2:3], -1, v[2:3]
; %bb.14227:                            ;   in Loop: Header=BB6_12546 Depth=2
	s_or_b32 exec_lo, exec_lo, s43
	v_add_nc_u32_e32 v1, 0xffffff81, v27
	v_lshrrev_b32_e32 v3, 23, v0
	s_mov_b32 s7, exec_lo
	s_delay_alu instid0(VALU_DEP_2) | instskip(NEXT) | instid1(VALU_DEP_1)
	v_cndmask_b32_e64 v1, v1, 0xffffff82, vcc_lo
	v_add3_u32 v3, v33, v1, v3
	v_and_b32_e32 v1, 0x1fffff, v2
                                        ; implicit-def: $vgpr2
	s_delay_alu instid0(VALU_DEP_1) | instskip(NEXT) | instid1(VALU_DEP_1)
	v_dual_add_nc_u32 v27, 14, v3 :: v_dual_add_nc_u32 v24, v1, v0
                                        ; implicit-def: $vgpr0_vgpr1
	v_cmpx_ne_u32_e32 0, v27
	s_xor_b32 s7, exec_lo, s7
; %bb.14228:                            ;   in Loop: Header=BB6_12546 Depth=2
	s_delay_alu instid0(VALU_DEP_2) | instskip(SKIP_1) | instid1(VALU_DEP_1)
	v_cmp_lt_u64_e32 vcc_lo, 0xffffff, v[24:25]
	v_add_nc_u32_e32 v0, 15, v3
	v_cndmask_b32_e32 v2, v27, v0, vcc_lo
	v_cndmask_b32_e64 v0, 0, 1, vcc_lo
	s_delay_alu instid0(VALU_DEP_1)
	v_lshrrev_b64 v[0:1], v0, v[24:25]
; %bb.14229:                            ;   in Loop: Header=BB6_12546 Depth=2
	s_and_not1_saveexec_b32 s7, s7
; %bb.14230:                            ;   in Loop: Header=BB6_12546 Depth=2
	v_mov_b64_e32 v[0:1], v[24:25]
	v_bfe_u32 v2, v24, 23, 1
; %bb.14231:                            ;   in Loop: Header=BB6_12546 Depth=2
	s_or_b32 exec_lo, exec_lo, s7
	s_delay_alu instid0(VALU_DEP_2) | instskip(NEXT) | instid1(VALU_DEP_2)
	v_lshrrev_b64 v[0:1], 21, v[0:1]
	v_cmp_gt_i32_e32 vcc_lo, 32, v2
	v_cmp_ne_u32_e64 s7, 0, v2
                                        ; implicit-def: $vgpr67
	s_delay_alu instid0(VALU_DEP_3) | instskip(NEXT) | instid1(VALU_DEP_1)
	v_dual_cndmask_b32 v1, 0, v1 :: v_dual_cndmask_b32 v0, 3, v0
	v_cmp_ne_u64_e32 vcc_lo, 0, v[0:1]
	s_or_b32 s7, s7, vcc_lo
	s_delay_alu instid0(SALU_CYCLE_1) | instskip(NEXT) | instid1(SALU_CYCLE_1)
	s_and_saveexec_b32 s43, s7
	s_xor_b32 s7, exec_lo, s43
; %bb.14232:                            ;   in Loop: Header=BB6_12546 Depth=2
	v_min_i32_e32 v1, 31, v2
	s_delay_alu instid0(VALU_DEP_1) | instskip(NEXT) | instid1(VALU_DEP_1)
	v_lshl_or_b32 v1, v1, 2, v23
                                        ; implicit-def: $vgpr23
	v_and_or_b32 v67, v0, 3, v1
; %bb.14233:                            ;   in Loop: Header=BB6_12546 Depth=2
	s_and_not1_saveexec_b32 s7, s7
; %bb.14234:                            ;   in Loop: Header=BB6_12546 Depth=2
	v_mov_b32_e32 v67, v23
; %bb.14235:                            ;   in Loop: Header=BB6_12546 Depth=2
	s_or_b32 exec_lo, exec_lo, s7
.LBB6_14236:                            ;   in Loop: Header=BB6_12546 Depth=2
	s_delay_alu instid0(SALU_CYCLE_1)
	s_or_b32 exec_lo, exec_lo, s42
                                        ; implicit-def: $vgpr23
.LBB6_14237:                            ;   in Loop: Header=BB6_12546 Depth=2
	s_and_not1_saveexec_b32 s7, s41
	s_cbranch_execz .LBB6_14239
; %bb.14238:                            ;   in Loop: Header=BB6_12546 Depth=2
	s_wait_loadcnt 0x0
	v_or_b32_e32 v67, 0x7b, v23
.LBB6_14239:                            ;   in Loop: Header=BB6_12546 Depth=2
	s_or_b32 exec_lo, exec_lo, s7
                                        ; implicit-def: $vgpr1
.LBB6_14240:                            ;   in Loop: Header=BB6_12546 Depth=2
	s_and_not1_saveexec_b32 s7, s10
	s_cbranch_execz .LBB6_14246
; %bb.14241:                            ;   in Loop: Header=BB6_12546 Depth=2
	s_mov_b32 s10, exec_lo
                                        ; implicit-def: $vgpr67
	v_cmpx_ne_u64_e32 0, v[24:25]
	s_xor_b32 s10, exec_lo, s10
	s_cbranch_execz .LBB6_14243
; %bb.14242:                            ;   in Loop: Header=BB6_12546 Depth=2
	v_lshrrev_b32_e32 v0, 24, v1
                                        ; implicit-def: $vgpr1
	s_wait_loadcnt 0x0
	s_delay_alu instid0(VALU_DEP_1)
	v_or_b32_e32 v67, 0x7f, v0
.LBB6_14243:                            ;   in Loop: Header=BB6_12546 Depth=2
	s_and_not1_saveexec_b32 s10, s10
	s_cbranch_execz .LBB6_14245
; %bb.14244:                            ;   in Loop: Header=BB6_12546 Depth=2
	v_cmp_lt_i32_e32 vcc_lo, -1, v1
	s_wait_loadcnt 0x0
	v_cndmask_b32_e64 v67, -4, 0x7c, vcc_lo
.LBB6_14245:                            ;   in Loop: Header=BB6_12546 Depth=2
	s_or_b32 exec_lo, exec_lo, s10
.LBB6_14246:                            ;   in Loop: Header=BB6_12546 Depth=2
	s_delay_alu instid0(SALU_CYCLE_1)
	s_or_b32 exec_lo, exec_lo, s7
	s_wait_loadcnt 0x3
	v_and_b32_e32 v0, 0xff, v96
	v_cmp_ne_u16_e64 s7, 0, v96
	s_and_not1_b32 vcc_lo, exec_lo, s14
	s_mov_b32 s10, -1
                                        ; implicit-def: $vgpr1
	s_cbranch_vccnz .LBB6_14268
; %bb.14247:                            ;   in Loop: Header=BB6_12546 Depth=2
	v_dual_mov_b32 v2, 0 :: v_dual_mov_b32 v1, 0
	s_and_saveexec_b32 s10, s7
	s_cbranch_execz .LBB6_14257
; %bb.14248:                            ;   in Loop: Header=BB6_12546 Depth=2
	v_bfrev_b32_e32 v1, 1
	s_mov_b32 s41, exec_lo
	v_cmpx_ne_u16_e32 0xff80, v96
	s_cbranch_execz .LBB6_14256
; %bb.14249:                            ;   in Loop: Header=BB6_12546 Depth=2
	v_and_b32_e32 v1, 0x7c, v0
	v_and_b32_e32 v3, 3, v0
	s_delay_alu instid0(VALU_DEP_2) | instskip(SKIP_1) | instid1(SALU_CYCLE_1)
	v_cmp_ne_u32_e32 vcc_lo, 0x7c, v1
                                        ; implicit-def: $vgpr1
	s_and_saveexec_b32 s42, vcc_lo
	s_xor_b32 s42, exec_lo, s42
	s_cbranch_execz .LBB6_14253
; %bb.14250:                            ;   in Loop: Header=BB6_12546 Depth=2
	v_bfe_u32 v1, v0, 2, 5
	s_mov_b32 s43, exec_lo
	s_delay_alu instid0(VALU_DEP_1)
	v_cmpx_eq_u32_e32 0, v1
	s_cbranch_execz .LBB6_14252
; %bb.14251:                            ;   in Loop: Header=BB6_12546 Depth=2
	v_clz_i32_u32_e32 v1, v3
	s_delay_alu instid0(VALU_DEP_1) | instskip(SKIP_1) | instid1(VALU_DEP_2)
	v_min_u32_e32 v1, 32, v1
	v_mov_b32_e32 v97, v25
	v_subrev_nc_u32_e32 v3, 29, v1
	v_sub_nc_u32_e32 v1, 30, v1
	s_wait_loadcnt 0x1
	s_delay_alu instid0(VALU_DEP_2) | instskip(NEXT) | instid1(VALU_DEP_1)
	v_lshlrev_b64_e32 v[68:69], v3, v[96:97]
	v_and_b32_e32 v3, 3, v68
.LBB6_14252:                            ;   in Loop: Header=BB6_12546 Depth=2
	s_or_b32 exec_lo, exec_lo, s43
	v_bfe_i32 v23, v96, 0, 16
	s_delay_alu instid0(VALU_DEP_1) | instskip(NEXT) | instid1(VALU_DEP_1)
	v_and_b32_e32 v23, 0x80000000, v23
	v_lshl_add_u32 v1, v1, 23, v23
	s_delay_alu instid0(VALU_DEP_1) | instskip(NEXT) | instid1(VALU_DEP_1)
	v_lshl_or_b32 v1, v3, 21, v1
                                        ; implicit-def: $vgpr3
	v_add_nc_u32_e32 v1, 0x38000000, v1
.LBB6_14253:                            ;   in Loop: Header=BB6_12546 Depth=2
	s_and_not1_saveexec_b32 s42, s42
; %bb.14254:                            ;   in Loop: Header=BB6_12546 Depth=2
	v_cmp_lt_i16_e32 vcc_lo, -1, v96
	v_cndmask_b32_e32 v1, 0xff800000, v40, vcc_lo
	v_cmp_eq_u32_e32 vcc_lo, 0, v3
	s_delay_alu instid0(VALU_DEP_2)
	v_cndmask_b32_e32 v1, 0x7f800001, v1, vcc_lo
; %bb.14255:                            ;   in Loop: Header=BB6_12546 Depth=2
	s_or_b32 exec_lo, exec_lo, s42
.LBB6_14256:                            ;   in Loop: Header=BB6_12546 Depth=2
	s_delay_alu instid0(SALU_CYCLE_1)
	s_or_b32 exec_lo, exec_lo, s41
.LBB6_14257:                            ;   in Loop: Header=BB6_12546 Depth=2
	s_delay_alu instid0(SALU_CYCLE_1) | instskip(NEXT) | instid1(SALU_CYCLE_1)
	s_or_b32 exec_lo, exec_lo, s10
	s_mov_b32 s10, exec_lo
	v_cmpx_ne_u16_e32 0, v60
	s_cbranch_execz .LBB6_14267
; %bb.14258:                            ;   in Loop: Header=BB6_12546 Depth=2
	v_bfrev_b32_e32 v2, 1
	s_mov_b32 s41, exec_lo
	v_cmpx_ne_u16_e32 0xff80, v60
	s_cbranch_execz .LBB6_14266
; %bb.14259:                            ;   in Loop: Header=BB6_12546 Depth=2
	v_and_b32_e32 v2, 0x7c, v60
	v_and_b32_e32 v3, 3, v60
	s_delay_alu instid0(VALU_DEP_2) | instskip(SKIP_1) | instid1(SALU_CYCLE_1)
	v_cmp_ne_u32_e32 vcc_lo, 0x7c, v2
                                        ; implicit-def: $vgpr2
	s_and_saveexec_b32 s42, vcc_lo
	s_xor_b32 s42, exec_lo, s42
	s_cbranch_execz .LBB6_14263
; %bb.14260:                            ;   in Loop: Header=BB6_12546 Depth=2
	v_and_b32_e32 v2, 0xff, v60
	s_mov_b32 s43, exec_lo
	s_delay_alu instid0(VALU_DEP_1) | instskip(NEXT) | instid1(VALU_DEP_1)
	v_bfe_u32 v2, v2, 2, 5
	v_cmpx_eq_u32_e32 0, v2
	s_cbranch_execz .LBB6_14262
; %bb.14261:                            ;   in Loop: Header=BB6_12546 Depth=2
	v_clz_i32_u32_e32 v2, v3
	s_delay_alu instid0(VALU_DEP_1) | instskip(SKIP_1) | instid1(VALU_DEP_2)
	v_min_u32_e32 v2, 32, v2
	v_mov_b32_e32 v61, v25
	v_subrev_nc_u32_e32 v3, 29, v2
	v_sub_nc_u32_e32 v2, 30, v2
	s_wait_loadcnt 0x1
	s_delay_alu instid0(VALU_DEP_2) | instskip(NEXT) | instid1(VALU_DEP_1)
	v_lshlrev_b64_e32 v[68:69], v3, v[60:61]
	v_and_b32_e32 v3, 3, v68
.LBB6_14262:                            ;   in Loop: Header=BB6_12546 Depth=2
	s_or_b32 exec_lo, exec_lo, s43
	v_bfe_i32 v23, v60, 0, 16
	s_delay_alu instid0(VALU_DEP_1) | instskip(NEXT) | instid1(VALU_DEP_1)
	v_and_b32_e32 v23, 0x80000000, v23
	v_lshl_add_u32 v2, v2, 23, v23
	s_delay_alu instid0(VALU_DEP_1) | instskip(NEXT) | instid1(VALU_DEP_1)
	v_lshl_or_b32 v2, v3, 21, v2
                                        ; implicit-def: $vgpr3
	v_add_nc_u32_e32 v2, 0x38000000, v2
.LBB6_14263:                            ;   in Loop: Header=BB6_12546 Depth=2
	s_and_not1_saveexec_b32 s42, s42
; %bb.14264:                            ;   in Loop: Header=BB6_12546 Depth=2
	v_cmp_lt_i16_e32 vcc_lo, -1, v60
	v_cndmask_b32_e32 v2, 0xff800000, v40, vcc_lo
	v_cmp_eq_u32_e32 vcc_lo, 0, v3
	s_delay_alu instid0(VALU_DEP_2)
	v_cndmask_b32_e32 v2, 0x7f800001, v2, vcc_lo
; %bb.14265:                            ;   in Loop: Header=BB6_12546 Depth=2
	s_or_b32 exec_lo, exec_lo, s42
.LBB6_14266:                            ;   in Loop: Header=BB6_12546 Depth=2
	s_delay_alu instid0(SALU_CYCLE_1)
	s_or_b32 exec_lo, exec_lo, s41
.LBB6_14267:                            ;   in Loop: Header=BB6_12546 Depth=2
	s_delay_alu instid0(SALU_CYCLE_1) | instskip(NEXT) | instid1(VALU_DEP_1)
	s_or_b32 exec_lo, exec_lo, s10
	v_dual_max_num_f32 v2, v2, v2 :: v_dual_max_num_f32 v1, v1, v1
	s_mov_b32 s10, 0
	s_delay_alu instid0(VALU_DEP_1)
	v_max_num_f32_e32 v1, v1, v2
.LBB6_14268:                            ;   in Loop: Header=BB6_12546 Depth=2
	s_and_b32 vcc_lo, exec_lo, s10
	s_cbranch_vccz .LBB6_14290
; %bb.14269:                            ;   in Loop: Header=BB6_12546 Depth=2
	v_dual_mov_b32 v2, 0 :: v_dual_mov_b32 v1, 0
	s_and_saveexec_b32 s10, s7
	s_cbranch_execz .LBB6_14279
; %bb.14270:                            ;   in Loop: Header=BB6_12546 Depth=2
	v_bfrev_b32_e32 v1, 1
	s_mov_b32 s7, exec_lo
	v_cmpx_ne_u16_e32 0xff80, v96
	s_cbranch_execz .LBB6_14278
; %bb.14271:                            ;   in Loop: Header=BB6_12546 Depth=2
	v_and_b32_e32 v1, 0x7c, v0
	v_and_b32_e32 v3, 3, v0
	s_delay_alu instid0(VALU_DEP_2) | instskip(SKIP_1) | instid1(SALU_CYCLE_1)
	v_cmp_ne_u32_e32 vcc_lo, 0x7c, v1
                                        ; implicit-def: $vgpr1
	s_and_saveexec_b32 s41, vcc_lo
	s_xor_b32 s41, exec_lo, s41
	s_cbranch_execz .LBB6_14275
; %bb.14272:                            ;   in Loop: Header=BB6_12546 Depth=2
	v_bfe_u32 v0, v0, 2, 5
	s_mov_b32 s42, exec_lo
	s_delay_alu instid0(VALU_DEP_1)
	v_cmpx_eq_u32_e32 0, v0
	s_cbranch_execz .LBB6_14274
; %bb.14273:                            ;   in Loop: Header=BB6_12546 Depth=2
	v_clz_i32_u32_e32 v0, v3
	s_delay_alu instid0(VALU_DEP_1) | instskip(SKIP_1) | instid1(VALU_DEP_2)
	v_min_u32_e32 v0, 32, v0
	v_mov_b32_e32 v97, v25
	v_subrev_nc_u32_e32 v1, 29, v0
	v_sub_nc_u32_e32 v0, 30, v0
	s_wait_loadcnt 0x1
	s_delay_alu instid0(VALU_DEP_2) | instskip(NEXT) | instid1(VALU_DEP_1)
	v_lshlrev_b64_e32 v[68:69], v1, v[96:97]
	v_and_b32_e32 v3, 3, v68
.LBB6_14274:                            ;   in Loop: Header=BB6_12546 Depth=2
	s_or_b32 exec_lo, exec_lo, s42
	v_bfe_i32 v1, v96, 0, 16
                                        ; implicit-def: $vgpr96
	s_delay_alu instid0(VALU_DEP_1) | instskip(NEXT) | instid1(VALU_DEP_1)
	v_and_b32_e32 v1, 0x80000000, v1
	v_lshl_add_u32 v0, v0, 23, v1
	s_delay_alu instid0(VALU_DEP_1) | instskip(NEXT) | instid1(VALU_DEP_1)
	v_lshl_or_b32 v0, v3, 21, v0
                                        ; implicit-def: $vgpr3
	v_add_nc_u32_e32 v1, 0x38000000, v0
.LBB6_14275:                            ;   in Loop: Header=BB6_12546 Depth=2
	s_and_not1_saveexec_b32 s41, s41
; %bb.14276:                            ;   in Loop: Header=BB6_12546 Depth=2
	v_cmp_lt_i16_e32 vcc_lo, -1, v96
	v_cndmask_b32_e32 v0, 0xff800000, v40, vcc_lo
	v_cmp_eq_u32_e32 vcc_lo, 0, v3
	s_delay_alu instid0(VALU_DEP_2)
	v_cndmask_b32_e32 v1, 0x7f800001, v0, vcc_lo
; %bb.14277:                            ;   in Loop: Header=BB6_12546 Depth=2
	s_or_b32 exec_lo, exec_lo, s41
.LBB6_14278:                            ;   in Loop: Header=BB6_12546 Depth=2
	s_delay_alu instid0(SALU_CYCLE_1)
	s_or_b32 exec_lo, exec_lo, s7
.LBB6_14279:                            ;   in Loop: Header=BB6_12546 Depth=2
	s_delay_alu instid0(SALU_CYCLE_1) | instskip(NEXT) | instid1(SALU_CYCLE_1)
	s_or_b32 exec_lo, exec_lo, s10
	s_mov_b32 s7, exec_lo
	v_cmpx_ne_u16_e32 0, v60
	s_cbranch_execz .LBB6_14289
; %bb.14280:                            ;   in Loop: Header=BB6_12546 Depth=2
	v_bfrev_b32_e32 v2, 1
	s_mov_b32 s10, exec_lo
	v_cmpx_ne_u16_e32 0xff80, v60
	s_cbranch_execz .LBB6_14288
; %bb.14281:                            ;   in Loop: Header=BB6_12546 Depth=2
	v_and_b32_e32 v2, 0x7c, v60
	v_and_b32_e32 v0, 3, v60
	s_delay_alu instid0(VALU_DEP_2) | instskip(SKIP_1) | instid1(SALU_CYCLE_1)
	v_cmp_ne_u32_e32 vcc_lo, 0x7c, v2
                                        ; implicit-def: $vgpr2
	s_and_saveexec_b32 s41, vcc_lo
	s_xor_b32 s41, exec_lo, s41
	s_cbranch_execz .LBB6_14285
; %bb.14282:                            ;   in Loop: Header=BB6_12546 Depth=2
	v_and_b32_e32 v2, 0xff, v60
	s_mov_b32 s42, exec_lo
	s_delay_alu instid0(VALU_DEP_1) | instskip(NEXT) | instid1(VALU_DEP_1)
	v_bfe_u32 v2, v2, 2, 5
	v_cmpx_eq_u32_e32 0, v2
	s_cbranch_execz .LBB6_14284
; %bb.14283:                            ;   in Loop: Header=BB6_12546 Depth=2
	v_clz_i32_u32_e32 v0, v0
	s_delay_alu instid0(VALU_DEP_1) | instskip(SKIP_1) | instid1(VALU_DEP_2)
	v_min_u32_e32 v0, 32, v0
	v_mov_b32_e32 v61, v25
	v_subrev_nc_u32_e32 v2, 29, v0
	s_wait_loadcnt 0x1
	s_delay_alu instid0(VALU_DEP_1) | instskip(SKIP_1) | instid1(VALU_DEP_2)
	v_lshlrev_b64_e32 v[68:69], v2, v[60:61]
	v_sub_nc_u32_e32 v2, 30, v0
	v_and_b32_e32 v0, 3, v68
.LBB6_14284:                            ;   in Loop: Header=BB6_12546 Depth=2
	s_or_b32 exec_lo, exec_lo, s42
	v_bfe_i32 v3, v60, 0, 16
                                        ; implicit-def: $vgpr60
	s_delay_alu instid0(VALU_DEP_1) | instskip(NEXT) | instid1(VALU_DEP_1)
	v_and_b32_e32 v3, 0x80000000, v3
	v_lshl_add_u32 v2, v2, 23, v3
	s_delay_alu instid0(VALU_DEP_1) | instskip(NEXT) | instid1(VALU_DEP_1)
	v_lshl_or_b32 v0, v0, 21, v2
	v_add_nc_u32_e32 v2, 0x38000000, v0
                                        ; implicit-def: $vgpr0
.LBB6_14285:                            ;   in Loop: Header=BB6_12546 Depth=2
	s_and_not1_saveexec_b32 s41, s41
; %bb.14286:                            ;   in Loop: Header=BB6_12546 Depth=2
	v_cmp_lt_i16_e32 vcc_lo, -1, v60
	v_cndmask_b32_e32 v2, 0xff800000, v40, vcc_lo
	v_cmp_eq_u32_e32 vcc_lo, 0, v0
	s_delay_alu instid0(VALU_DEP_2)
	v_cndmask_b32_e32 v2, 0x7f800001, v2, vcc_lo
; %bb.14287:                            ;   in Loop: Header=BB6_12546 Depth=2
	s_or_b32 exec_lo, exec_lo, s41
.LBB6_14288:                            ;   in Loop: Header=BB6_12546 Depth=2
	s_delay_alu instid0(SALU_CYCLE_1)
	s_or_b32 exec_lo, exec_lo, s10
.LBB6_14289:                            ;   in Loop: Header=BB6_12546 Depth=2
	s_delay_alu instid0(SALU_CYCLE_1) | instskip(NEXT) | instid1(VALU_DEP_1)
	s_or_b32 exec_lo, exec_lo, s7
	v_dual_max_num_f32 v0, v2, v2 :: v_dual_max_num_f32 v1, v1, v1
	s_delay_alu instid0(VALU_DEP_1)
	v_min_num_f32_e32 v1, v1, v0
.LBB6_14290:                            ;   in Loop: Header=BB6_12546 Depth=2
	s_delay_alu instid0(VALU_DEP_1) | instskip(SKIP_3) | instid1(VALU_DEP_2)
	v_and_b32_e32 v2, 0x7f800000, v1
	v_mov_b32_e32 v3, v25
	v_and_b32_e32 v24, 0x7fffff, v1
                                        ; implicit-def: $vgpr50
	s_mov_b32 s7, exec_lo
	v_cmpx_ne_u64_e32 0x7f800000, v[2:3]
	s_xor_b32 s10, exec_lo, s7
	s_cbranch_execz .LBB6_14308
; %bb.14291:                            ;   in Loop: Header=BB6_12546 Depth=2
	v_dual_mov_b32 v3, v25 :: v_dual_lshrrev_b32 v0, 24, v1
	v_and_b32_e32 v2, 0x7fffffff, v1
                                        ; implicit-def: $vgpr50
	s_mov_b32 s7, exec_lo
	s_delay_alu instid0(VALU_DEP_2) | instskip(NEXT) | instid1(VALU_DEP_2)
	v_and_b32_e32 v23, 0x80, v0
	v_cmpx_gt_u64_e32 0x47600001, v[2:3]
	s_xor_b32 s41, exec_lo, s7
	s_cbranch_execz .LBB6_14305
; %bb.14292:                            ;   in Loop: Header=BB6_12546 Depth=2
	v_mov_b32_e32 v50, 0
	s_mov_b32 s42, exec_lo
	v_cmpx_ne_u32_e32 0, v1
	s_cbranch_execz .LBB6_14304
; %bb.14293:                            ;   in Loop: Header=BB6_12546 Depth=2
	v_bfe_u32 v27, v1, 23, 8
	v_or_b32_e32 v2, 0x800000, v24
	s_delay_alu instid0(VALU_DEP_2) | instskip(SKIP_1) | instid1(VALU_DEP_2)
	v_sub_nc_u32_e32 v0, 0x71, v27
	v_cmp_gt_u32_e32 vcc_lo, 0x72, v27
	v_cndmask_b32_e32 v0, 0, v0, vcc_lo
	v_cmp_eq_u32_e32 vcc_lo, 0, v27
	s_delay_alu instid0(VALU_DEP_2) | instskip(NEXT) | instid1(VALU_DEP_1)
	v_cndmask_b32_e64 v33, v0, 0x70, vcc_lo
	v_dual_cndmask_b32 v24, v2, v24, vcc_lo :: v_dual_add_nc_u32 v0, 21, v33
	v_add_nc_u32_e32 v3, 20, v33
	s_delay_alu instid0(VALU_DEP_2) | instskip(NEXT) | instid1(VALU_DEP_2)
	v_lshlrev_b64_e64 v[0:1], v0, -1
	v_lshlrev_b64_e64 v[2:3], v3, 1
	s_delay_alu instid0(VALU_DEP_2) | instskip(NEXT) | instid1(VALU_DEP_3)
	v_bfi_b32 v51, v1, 0, 0
	v_bfi_b32 v50, v0, 0, v24
	v_lshrrev_b64 v[0:1], v33, v[24:25]
	s_delay_alu instid0(VALU_DEP_2) | instskip(NEXT) | instid1(VALU_DEP_2)
	v_cmp_eq_u64_e64 s7, v[50:51], v[2:3]
	v_mov_b64_e32 v[2:3], v[0:1]
	s_and_saveexec_b32 s43, s7
; %bb.14294:                            ;   in Loop: Header=BB6_12546 Depth=2
	v_bfe_u32 v24, v0, 21, 1
	s_delay_alu instid0(VALU_DEP_1) | instskip(NEXT) | instid1(VALU_DEP_1)
	v_add_nc_u64_e32 v[2:3], v[0:1], v[24:25]
	v_add_nc_u64_e32 v[2:3], -1, v[2:3]
; %bb.14295:                            ;   in Loop: Header=BB6_12546 Depth=2
	s_or_b32 exec_lo, exec_lo, s43
	v_add_nc_u32_e32 v1, 0xffffff81, v27
	v_lshrrev_b32_e32 v3, 23, v0
	s_mov_b32 s7, exec_lo
	s_delay_alu instid0(VALU_DEP_2) | instskip(NEXT) | instid1(VALU_DEP_1)
	v_cndmask_b32_e64 v1, v1, 0xffffff82, vcc_lo
	v_add3_u32 v3, v33, v1, v3
	v_and_b32_e32 v1, 0x1fffff, v2
                                        ; implicit-def: $vgpr2
	s_delay_alu instid0(VALU_DEP_1) | instskip(NEXT) | instid1(VALU_DEP_1)
	v_dual_add_nc_u32 v27, 14, v3 :: v_dual_add_nc_u32 v24, v1, v0
                                        ; implicit-def: $vgpr0_vgpr1
	v_cmpx_ne_u32_e32 0, v27
	s_xor_b32 s7, exec_lo, s7
; %bb.14296:                            ;   in Loop: Header=BB6_12546 Depth=2
	s_delay_alu instid0(VALU_DEP_2) | instskip(SKIP_1) | instid1(VALU_DEP_1)
	v_cmp_lt_u64_e32 vcc_lo, 0xffffff, v[24:25]
	v_add_nc_u32_e32 v0, 15, v3
	v_cndmask_b32_e32 v2, v27, v0, vcc_lo
	v_cndmask_b32_e64 v0, 0, 1, vcc_lo
	s_delay_alu instid0(VALU_DEP_1)
	v_lshrrev_b64 v[0:1], v0, v[24:25]
; %bb.14297:                            ;   in Loop: Header=BB6_12546 Depth=2
	s_and_not1_saveexec_b32 s7, s7
; %bb.14298:                            ;   in Loop: Header=BB6_12546 Depth=2
	v_mov_b64_e32 v[0:1], v[24:25]
	v_bfe_u32 v2, v24, 23, 1
; %bb.14299:                            ;   in Loop: Header=BB6_12546 Depth=2
	s_or_b32 exec_lo, exec_lo, s7
	s_delay_alu instid0(VALU_DEP_2) | instskip(NEXT) | instid1(VALU_DEP_2)
	v_lshrrev_b64 v[0:1], 21, v[0:1]
	v_cmp_gt_i32_e32 vcc_lo, 32, v2
	v_cmp_ne_u32_e64 s7, 0, v2
                                        ; implicit-def: $vgpr50
	s_delay_alu instid0(VALU_DEP_3) | instskip(NEXT) | instid1(VALU_DEP_1)
	v_dual_cndmask_b32 v1, 0, v1 :: v_dual_cndmask_b32 v0, 3, v0
	v_cmp_ne_u64_e32 vcc_lo, 0, v[0:1]
	s_or_b32 s7, s7, vcc_lo
	s_delay_alu instid0(SALU_CYCLE_1) | instskip(NEXT) | instid1(SALU_CYCLE_1)
	s_and_saveexec_b32 s43, s7
	s_xor_b32 s7, exec_lo, s43
; %bb.14300:                            ;   in Loop: Header=BB6_12546 Depth=2
	v_min_i32_e32 v1, 31, v2
	s_delay_alu instid0(VALU_DEP_1) | instskip(NEXT) | instid1(VALU_DEP_1)
	v_lshl_or_b32 v1, v1, 2, v23
                                        ; implicit-def: $vgpr23
	v_and_or_b32 v50, v0, 3, v1
; %bb.14301:                            ;   in Loop: Header=BB6_12546 Depth=2
	s_and_not1_saveexec_b32 s7, s7
; %bb.14302:                            ;   in Loop: Header=BB6_12546 Depth=2
	v_mov_b32_e32 v50, v23
; %bb.14303:                            ;   in Loop: Header=BB6_12546 Depth=2
	s_or_b32 exec_lo, exec_lo, s7
.LBB6_14304:                            ;   in Loop: Header=BB6_12546 Depth=2
	s_delay_alu instid0(SALU_CYCLE_1)
	s_or_b32 exec_lo, exec_lo, s42
                                        ; implicit-def: $vgpr23
.LBB6_14305:                            ;   in Loop: Header=BB6_12546 Depth=2
	s_and_not1_saveexec_b32 s7, s41
; %bb.14306:                            ;   in Loop: Header=BB6_12546 Depth=2
	v_or_b32_e32 v50, 0x7b, v23
; %bb.14307:                            ;   in Loop: Header=BB6_12546 Depth=2
	s_or_b32 exec_lo, exec_lo, s7
                                        ; implicit-def: $vgpr1
.LBB6_14308:                            ;   in Loop: Header=BB6_12546 Depth=2
	s_and_not1_saveexec_b32 s7, s10
	s_cbranch_execz .LBB6_14314
; %bb.14309:                            ;   in Loop: Header=BB6_12546 Depth=2
	s_mov_b32 s10, exec_lo
                                        ; implicit-def: $vgpr50
	v_cmpx_ne_u64_e32 0, v[24:25]
	s_xor_b32 s10, exec_lo, s10
; %bb.14310:                            ;   in Loop: Header=BB6_12546 Depth=2
	v_lshrrev_b32_e32 v0, 24, v1
                                        ; implicit-def: $vgpr1
	s_delay_alu instid0(VALU_DEP_1)
	v_or_b32_e32 v50, 0x7f, v0
; %bb.14311:                            ;   in Loop: Header=BB6_12546 Depth=2
	s_and_not1_saveexec_b32 s10, s10
; %bb.14312:                            ;   in Loop: Header=BB6_12546 Depth=2
	v_cmp_lt_i32_e32 vcc_lo, -1, v1
	v_cndmask_b32_e64 v50, -4, 0x7c, vcc_lo
; %bb.14313:                            ;   in Loop: Header=BB6_12546 Depth=2
	s_or_b32 exec_lo, exec_lo, s10
.LBB6_14314:                            ;   in Loop: Header=BB6_12546 Depth=2
	s_delay_alu instid0(SALU_CYCLE_1)
	s_or_b32 exec_lo, exec_lo, s7
	v_and_b32_e32 v0, 0xff, v48
	v_cmp_ne_u16_e64 s7, 0, v48
	s_and_not1_b32 vcc_lo, exec_lo, s14
	s_mov_b32 s10, -1
                                        ; implicit-def: $vgpr1
	s_cbranch_vccnz .LBB6_14336
; %bb.14315:                            ;   in Loop: Header=BB6_12546 Depth=2
	v_dual_mov_b32 v2, 0 :: v_dual_mov_b32 v1, 0
	s_and_saveexec_b32 s10, s7
	s_cbranch_execz .LBB6_14325
; %bb.14316:                            ;   in Loop: Header=BB6_12546 Depth=2
	v_bfrev_b32_e32 v1, 1
	s_mov_b32 s41, exec_lo
	v_cmpx_ne_u16_e32 0xff80, v48
	s_cbranch_execz .LBB6_14324
; %bb.14317:                            ;   in Loop: Header=BB6_12546 Depth=2
	v_and_b32_e32 v1, 0x7c, v0
	v_and_b32_e32 v3, 3, v0
	s_delay_alu instid0(VALU_DEP_2) | instskip(SKIP_1) | instid1(SALU_CYCLE_1)
	v_cmp_ne_u32_e32 vcc_lo, 0x7c, v1
                                        ; implicit-def: $vgpr1
	s_and_saveexec_b32 s42, vcc_lo
	s_xor_b32 s42, exec_lo, s42
	s_cbranch_execz .LBB6_14321
; %bb.14318:                            ;   in Loop: Header=BB6_12546 Depth=2
	v_bfe_u32 v1, v0, 2, 5
	s_mov_b32 s43, exec_lo
	s_delay_alu instid0(VALU_DEP_1)
	v_cmpx_eq_u32_e32 0, v1
	s_cbranch_execz .LBB6_14320
; %bb.14319:                            ;   in Loop: Header=BB6_12546 Depth=2
	v_clz_i32_u32_e32 v1, v3
	s_delay_alu instid0(VALU_DEP_1) | instskip(SKIP_1) | instid1(VALU_DEP_2)
	v_min_u32_e32 v1, 32, v1
	v_mov_b32_e32 v49, v25
	v_subrev_nc_u32_e32 v3, 29, v1
	v_sub_nc_u32_e32 v1, 30, v1
	s_wait_loadcnt 0x1
	s_delay_alu instid0(VALU_DEP_2) | instskip(NEXT) | instid1(VALU_DEP_1)
	v_lshlrev_b64_e32 v[68:69], v3, v[48:49]
	v_and_b32_e32 v3, 3, v68
.LBB6_14320:                            ;   in Loop: Header=BB6_12546 Depth=2
	s_or_b32 exec_lo, exec_lo, s43
	v_bfe_i32 v23, v48, 0, 16
	s_delay_alu instid0(VALU_DEP_1) | instskip(NEXT) | instid1(VALU_DEP_1)
	v_and_b32_e32 v23, 0x80000000, v23
	v_lshl_add_u32 v1, v1, 23, v23
	s_delay_alu instid0(VALU_DEP_1) | instskip(NEXT) | instid1(VALU_DEP_1)
	v_lshl_or_b32 v1, v3, 21, v1
                                        ; implicit-def: $vgpr3
	v_add_nc_u32_e32 v1, 0x38000000, v1
.LBB6_14321:                            ;   in Loop: Header=BB6_12546 Depth=2
	s_and_not1_saveexec_b32 s42, s42
; %bb.14322:                            ;   in Loop: Header=BB6_12546 Depth=2
	v_cmp_lt_i16_e32 vcc_lo, -1, v48
	v_cndmask_b32_e32 v1, 0xff800000, v40, vcc_lo
	v_cmp_eq_u32_e32 vcc_lo, 0, v3
	s_delay_alu instid0(VALU_DEP_2)
	v_cndmask_b32_e32 v1, 0x7f800001, v1, vcc_lo
; %bb.14323:                            ;   in Loop: Header=BB6_12546 Depth=2
	s_or_b32 exec_lo, exec_lo, s42
.LBB6_14324:                            ;   in Loop: Header=BB6_12546 Depth=2
	s_delay_alu instid0(SALU_CYCLE_1)
	s_or_b32 exec_lo, exec_lo, s41
.LBB6_14325:                            ;   in Loop: Header=BB6_12546 Depth=2
	s_delay_alu instid0(SALU_CYCLE_1) | instskip(NEXT) | instid1(SALU_CYCLE_1)
	s_or_b32 exec_lo, exec_lo, s10
	s_mov_b32 s10, exec_lo
	v_cmpx_ne_u16_e32 0, v56
	s_cbranch_execz .LBB6_14335
; %bb.14326:                            ;   in Loop: Header=BB6_12546 Depth=2
	v_bfrev_b32_e32 v2, 1
	s_mov_b32 s41, exec_lo
	v_cmpx_ne_u16_e32 0xff80, v56
	s_cbranch_execz .LBB6_14334
; %bb.14327:                            ;   in Loop: Header=BB6_12546 Depth=2
	v_and_b32_e32 v2, 0x7c, v56
	v_and_b32_e32 v3, 3, v56
	s_delay_alu instid0(VALU_DEP_2) | instskip(SKIP_1) | instid1(SALU_CYCLE_1)
	v_cmp_ne_u32_e32 vcc_lo, 0x7c, v2
                                        ; implicit-def: $vgpr2
	s_and_saveexec_b32 s42, vcc_lo
	s_xor_b32 s42, exec_lo, s42
	s_cbranch_execz .LBB6_14331
; %bb.14328:                            ;   in Loop: Header=BB6_12546 Depth=2
	v_and_b32_e32 v2, 0xff, v56
	s_mov_b32 s43, exec_lo
	s_delay_alu instid0(VALU_DEP_1) | instskip(NEXT) | instid1(VALU_DEP_1)
	v_bfe_u32 v2, v2, 2, 5
	v_cmpx_eq_u32_e32 0, v2
	s_cbranch_execz .LBB6_14330
; %bb.14329:                            ;   in Loop: Header=BB6_12546 Depth=2
	v_clz_i32_u32_e32 v2, v3
	s_delay_alu instid0(VALU_DEP_1) | instskip(SKIP_1) | instid1(VALU_DEP_2)
	v_min_u32_e32 v2, 32, v2
	v_mov_b32_e32 v57, v25
	v_subrev_nc_u32_e32 v3, 29, v2
	v_sub_nc_u32_e32 v2, 30, v2
	s_wait_loadcnt 0x1
	s_delay_alu instid0(VALU_DEP_2) | instskip(NEXT) | instid1(VALU_DEP_1)
	v_lshlrev_b64_e32 v[68:69], v3, v[56:57]
	v_and_b32_e32 v3, 3, v68
.LBB6_14330:                            ;   in Loop: Header=BB6_12546 Depth=2
	s_or_b32 exec_lo, exec_lo, s43
	v_bfe_i32 v23, v56, 0, 16
	s_delay_alu instid0(VALU_DEP_1) | instskip(NEXT) | instid1(VALU_DEP_1)
	v_and_b32_e32 v23, 0x80000000, v23
	v_lshl_add_u32 v2, v2, 23, v23
	s_delay_alu instid0(VALU_DEP_1) | instskip(NEXT) | instid1(VALU_DEP_1)
	v_lshl_or_b32 v2, v3, 21, v2
                                        ; implicit-def: $vgpr3
	v_add_nc_u32_e32 v2, 0x38000000, v2
.LBB6_14331:                            ;   in Loop: Header=BB6_12546 Depth=2
	s_and_not1_saveexec_b32 s42, s42
; %bb.14332:                            ;   in Loop: Header=BB6_12546 Depth=2
	v_cmp_lt_i16_e32 vcc_lo, -1, v56
	v_cndmask_b32_e32 v2, 0xff800000, v40, vcc_lo
	v_cmp_eq_u32_e32 vcc_lo, 0, v3
	s_delay_alu instid0(VALU_DEP_2)
	v_cndmask_b32_e32 v2, 0x7f800001, v2, vcc_lo
; %bb.14333:                            ;   in Loop: Header=BB6_12546 Depth=2
	s_or_b32 exec_lo, exec_lo, s42
.LBB6_14334:                            ;   in Loop: Header=BB6_12546 Depth=2
	s_delay_alu instid0(SALU_CYCLE_1)
	s_or_b32 exec_lo, exec_lo, s41
.LBB6_14335:                            ;   in Loop: Header=BB6_12546 Depth=2
	s_delay_alu instid0(SALU_CYCLE_1) | instskip(NEXT) | instid1(VALU_DEP_1)
	s_or_b32 exec_lo, exec_lo, s10
	v_dual_max_num_f32 v2, v2, v2 :: v_dual_max_num_f32 v1, v1, v1
	s_mov_b32 s10, 0
	s_delay_alu instid0(VALU_DEP_1)
	v_max_num_f32_e32 v1, v1, v2
.LBB6_14336:                            ;   in Loop: Header=BB6_12546 Depth=2
	s_and_b32 vcc_lo, exec_lo, s10
	s_cbranch_vccz .LBB6_14358
; %bb.14337:                            ;   in Loop: Header=BB6_12546 Depth=2
	v_dual_mov_b32 v2, 0 :: v_dual_mov_b32 v1, 0
	s_and_saveexec_b32 s10, s7
	s_cbranch_execz .LBB6_14347
; %bb.14338:                            ;   in Loop: Header=BB6_12546 Depth=2
	v_bfrev_b32_e32 v1, 1
	s_mov_b32 s7, exec_lo
	v_cmpx_ne_u16_e32 0xff80, v48
	s_cbranch_execz .LBB6_14346
; %bb.14339:                            ;   in Loop: Header=BB6_12546 Depth=2
	v_and_b32_e32 v1, 0x7c, v0
	v_and_b32_e32 v3, 3, v0
	s_delay_alu instid0(VALU_DEP_2) | instskip(SKIP_1) | instid1(SALU_CYCLE_1)
	v_cmp_ne_u32_e32 vcc_lo, 0x7c, v1
                                        ; implicit-def: $vgpr1
	s_and_saveexec_b32 s41, vcc_lo
	s_xor_b32 s41, exec_lo, s41
	s_cbranch_execz .LBB6_14343
; %bb.14340:                            ;   in Loop: Header=BB6_12546 Depth=2
	v_bfe_u32 v0, v0, 2, 5
	s_mov_b32 s42, exec_lo
	s_delay_alu instid0(VALU_DEP_1)
	v_cmpx_eq_u32_e32 0, v0
	s_cbranch_execz .LBB6_14342
; %bb.14341:                            ;   in Loop: Header=BB6_12546 Depth=2
	v_clz_i32_u32_e32 v0, v3
	s_delay_alu instid0(VALU_DEP_1) | instskip(SKIP_1) | instid1(VALU_DEP_2)
	v_min_u32_e32 v0, 32, v0
	v_mov_b32_e32 v49, v25
	v_subrev_nc_u32_e32 v1, 29, v0
	v_sub_nc_u32_e32 v0, 30, v0
	s_wait_loadcnt 0x1
	s_delay_alu instid0(VALU_DEP_2) | instskip(NEXT) | instid1(VALU_DEP_1)
	v_lshlrev_b64_e32 v[68:69], v1, v[48:49]
	v_and_b32_e32 v3, 3, v68
.LBB6_14342:                            ;   in Loop: Header=BB6_12546 Depth=2
	s_or_b32 exec_lo, exec_lo, s42
	v_bfe_i32 v1, v48, 0, 16
                                        ; implicit-def: $vgpr48
	s_delay_alu instid0(VALU_DEP_1) | instskip(NEXT) | instid1(VALU_DEP_1)
	v_and_b32_e32 v1, 0x80000000, v1
	v_lshl_add_u32 v0, v0, 23, v1
	s_delay_alu instid0(VALU_DEP_1) | instskip(NEXT) | instid1(VALU_DEP_1)
	v_lshl_or_b32 v0, v3, 21, v0
                                        ; implicit-def: $vgpr3
	v_add_nc_u32_e32 v1, 0x38000000, v0
.LBB6_14343:                            ;   in Loop: Header=BB6_12546 Depth=2
	s_and_not1_saveexec_b32 s41, s41
; %bb.14344:                            ;   in Loop: Header=BB6_12546 Depth=2
	v_cmp_lt_i16_e32 vcc_lo, -1, v48
	v_cndmask_b32_e32 v0, 0xff800000, v40, vcc_lo
	v_cmp_eq_u32_e32 vcc_lo, 0, v3
	s_delay_alu instid0(VALU_DEP_2)
	v_cndmask_b32_e32 v1, 0x7f800001, v0, vcc_lo
; %bb.14345:                            ;   in Loop: Header=BB6_12546 Depth=2
	s_or_b32 exec_lo, exec_lo, s41
.LBB6_14346:                            ;   in Loop: Header=BB6_12546 Depth=2
	s_delay_alu instid0(SALU_CYCLE_1)
	s_or_b32 exec_lo, exec_lo, s7
.LBB6_14347:                            ;   in Loop: Header=BB6_12546 Depth=2
	s_delay_alu instid0(SALU_CYCLE_1) | instskip(NEXT) | instid1(SALU_CYCLE_1)
	s_or_b32 exec_lo, exec_lo, s10
	s_mov_b32 s7, exec_lo
	v_cmpx_ne_u16_e32 0, v56
	s_cbranch_execz .LBB6_14357
; %bb.14348:                            ;   in Loop: Header=BB6_12546 Depth=2
	v_bfrev_b32_e32 v2, 1
	s_mov_b32 s10, exec_lo
	v_cmpx_ne_u16_e32 0xff80, v56
	s_cbranch_execz .LBB6_14356
; %bb.14349:                            ;   in Loop: Header=BB6_12546 Depth=2
	v_and_b32_e32 v2, 0x7c, v56
	v_and_b32_e32 v0, 3, v56
	s_delay_alu instid0(VALU_DEP_2) | instskip(SKIP_1) | instid1(SALU_CYCLE_1)
	v_cmp_ne_u32_e32 vcc_lo, 0x7c, v2
                                        ; implicit-def: $vgpr2
	s_and_saveexec_b32 s41, vcc_lo
	s_xor_b32 s41, exec_lo, s41
	s_cbranch_execz .LBB6_14353
; %bb.14350:                            ;   in Loop: Header=BB6_12546 Depth=2
	v_and_b32_e32 v2, 0xff, v56
	s_mov_b32 s42, exec_lo
	s_delay_alu instid0(VALU_DEP_1) | instskip(NEXT) | instid1(VALU_DEP_1)
	v_bfe_u32 v2, v2, 2, 5
	v_cmpx_eq_u32_e32 0, v2
	s_cbranch_execz .LBB6_14352
; %bb.14351:                            ;   in Loop: Header=BB6_12546 Depth=2
	v_clz_i32_u32_e32 v0, v0
	s_delay_alu instid0(VALU_DEP_1) | instskip(SKIP_1) | instid1(VALU_DEP_2)
	v_min_u32_e32 v0, 32, v0
	v_mov_b32_e32 v57, v25
	v_subrev_nc_u32_e32 v2, 29, v0
	s_delay_alu instid0(VALU_DEP_1) | instskip(SKIP_1) | instid1(VALU_DEP_2)
	v_lshlrev_b64_e32 v[48:49], v2, v[56:57]
	v_sub_nc_u32_e32 v2, 30, v0
	v_and_b32_e32 v0, 3, v48
.LBB6_14352:                            ;   in Loop: Header=BB6_12546 Depth=2
	s_or_b32 exec_lo, exec_lo, s42
	v_bfe_i32 v3, v56, 0, 16
                                        ; implicit-def: $vgpr56
	s_delay_alu instid0(VALU_DEP_1) | instskip(NEXT) | instid1(VALU_DEP_1)
	v_and_b32_e32 v3, 0x80000000, v3
	v_lshl_add_u32 v2, v2, 23, v3
	s_delay_alu instid0(VALU_DEP_1) | instskip(NEXT) | instid1(VALU_DEP_1)
	v_lshl_or_b32 v0, v0, 21, v2
	v_add_nc_u32_e32 v2, 0x38000000, v0
                                        ; implicit-def: $vgpr0
.LBB6_14353:                            ;   in Loop: Header=BB6_12546 Depth=2
	s_and_not1_saveexec_b32 s41, s41
; %bb.14354:                            ;   in Loop: Header=BB6_12546 Depth=2
	v_cmp_lt_i16_e32 vcc_lo, -1, v56
	v_cndmask_b32_e32 v2, 0xff800000, v40, vcc_lo
	v_cmp_eq_u32_e32 vcc_lo, 0, v0
	s_delay_alu instid0(VALU_DEP_2)
	v_cndmask_b32_e32 v2, 0x7f800001, v2, vcc_lo
; %bb.14355:                            ;   in Loop: Header=BB6_12546 Depth=2
	s_or_b32 exec_lo, exec_lo, s41
.LBB6_14356:                            ;   in Loop: Header=BB6_12546 Depth=2
	s_delay_alu instid0(SALU_CYCLE_1)
	s_or_b32 exec_lo, exec_lo, s10
.LBB6_14357:                            ;   in Loop: Header=BB6_12546 Depth=2
	s_delay_alu instid0(SALU_CYCLE_1) | instskip(NEXT) | instid1(VALU_DEP_1)
	s_or_b32 exec_lo, exec_lo, s7
	v_dual_max_num_f32 v0, v2, v2 :: v_dual_max_num_f32 v1, v1, v1
	s_delay_alu instid0(VALU_DEP_1)
	v_min_num_f32_e32 v1, v1, v0
.LBB6_14358:                            ;   in Loop: Header=BB6_12546 Depth=2
	s_delay_alu instid0(VALU_DEP_1) | instskip(SKIP_3) | instid1(VALU_DEP_2)
	v_and_b32_e32 v2, 0x7f800000, v1
	v_mov_b32_e32 v3, v25
	v_and_b32_e32 v24, 0x7fffff, v1
                                        ; implicit-def: $vgpr38
	s_mov_b32 s7, exec_lo
	v_cmpx_ne_u64_e32 0x7f800000, v[2:3]
	s_xor_b32 s10, exec_lo, s7
	s_cbranch_execz .LBB6_14376
; %bb.14359:                            ;   in Loop: Header=BB6_12546 Depth=2
	v_dual_mov_b32 v3, v25 :: v_dual_lshrrev_b32 v0, 24, v1
	v_and_b32_e32 v2, 0x7fffffff, v1
                                        ; implicit-def: $vgpr38
	s_mov_b32 s7, exec_lo
	s_delay_alu instid0(VALU_DEP_2) | instskip(NEXT) | instid1(VALU_DEP_2)
	v_and_b32_e32 v23, 0x80, v0
	v_cmpx_gt_u64_e32 0x47600001, v[2:3]
	s_xor_b32 s41, exec_lo, s7
	s_cbranch_execz .LBB6_14373
; %bb.14360:                            ;   in Loop: Header=BB6_12546 Depth=2
	v_mov_b32_e32 v38, 0
	s_mov_b32 s42, exec_lo
	v_cmpx_ne_u32_e32 0, v1
	s_cbranch_execz .LBB6_14372
; %bb.14361:                            ;   in Loop: Header=BB6_12546 Depth=2
	v_bfe_u32 v27, v1, 23, 8
	v_or_b32_e32 v2, 0x800000, v24
	s_delay_alu instid0(VALU_DEP_2) | instskip(SKIP_1) | instid1(VALU_DEP_2)
	v_sub_nc_u32_e32 v0, 0x71, v27
	v_cmp_gt_u32_e32 vcc_lo, 0x72, v27
	v_cndmask_b32_e32 v0, 0, v0, vcc_lo
	v_cmp_eq_u32_e32 vcc_lo, 0, v27
	s_delay_alu instid0(VALU_DEP_2) | instskip(NEXT) | instid1(VALU_DEP_1)
	v_cndmask_b32_e64 v33, v0, 0x70, vcc_lo
	v_dual_cndmask_b32 v24, v2, v24, vcc_lo :: v_dual_add_nc_u32 v0, 21, v33
	v_add_nc_u32_e32 v3, 20, v33
	s_delay_alu instid0(VALU_DEP_2) | instskip(NEXT) | instid1(VALU_DEP_2)
	v_lshlrev_b64_e64 v[0:1], v0, -1
	v_lshlrev_b64_e64 v[2:3], v3, 1
	s_delay_alu instid0(VALU_DEP_2) | instskip(NEXT) | instid1(VALU_DEP_3)
	v_bfi_b32 v39, v1, 0, 0
	v_bfi_b32 v38, v0, 0, v24
	v_lshrrev_b64 v[0:1], v33, v[24:25]
	s_delay_alu instid0(VALU_DEP_2) | instskip(NEXT) | instid1(VALU_DEP_2)
	v_cmp_eq_u64_e64 s7, v[38:39], v[2:3]
	v_mov_b64_e32 v[2:3], v[0:1]
	s_and_saveexec_b32 s43, s7
; %bb.14362:                            ;   in Loop: Header=BB6_12546 Depth=2
	v_bfe_u32 v24, v0, 21, 1
	s_delay_alu instid0(VALU_DEP_1) | instskip(NEXT) | instid1(VALU_DEP_1)
	v_add_nc_u64_e32 v[2:3], v[0:1], v[24:25]
	v_add_nc_u64_e32 v[2:3], -1, v[2:3]
; %bb.14363:                            ;   in Loop: Header=BB6_12546 Depth=2
	s_or_b32 exec_lo, exec_lo, s43
	v_add_nc_u32_e32 v1, 0xffffff81, v27
	v_lshrrev_b32_e32 v3, 23, v0
	s_mov_b32 s7, exec_lo
	s_delay_alu instid0(VALU_DEP_2) | instskip(NEXT) | instid1(VALU_DEP_1)
	v_cndmask_b32_e64 v1, v1, 0xffffff82, vcc_lo
	v_add3_u32 v3, v33, v1, v3
	v_and_b32_e32 v1, 0x1fffff, v2
                                        ; implicit-def: $vgpr2
	s_delay_alu instid0(VALU_DEP_1) | instskip(NEXT) | instid1(VALU_DEP_1)
	v_dual_add_nc_u32 v27, 14, v3 :: v_dual_add_nc_u32 v24, v1, v0
                                        ; implicit-def: $vgpr0_vgpr1
	v_cmpx_ne_u32_e32 0, v27
	s_xor_b32 s7, exec_lo, s7
; %bb.14364:                            ;   in Loop: Header=BB6_12546 Depth=2
	s_delay_alu instid0(VALU_DEP_2) | instskip(SKIP_1) | instid1(VALU_DEP_1)
	v_cmp_lt_u64_e32 vcc_lo, 0xffffff, v[24:25]
	v_add_nc_u32_e32 v0, 15, v3
	v_cndmask_b32_e32 v2, v27, v0, vcc_lo
	v_cndmask_b32_e64 v0, 0, 1, vcc_lo
	s_delay_alu instid0(VALU_DEP_1)
	v_lshrrev_b64 v[0:1], v0, v[24:25]
; %bb.14365:                            ;   in Loop: Header=BB6_12546 Depth=2
	s_and_not1_saveexec_b32 s7, s7
; %bb.14366:                            ;   in Loop: Header=BB6_12546 Depth=2
	v_mov_b64_e32 v[0:1], v[24:25]
	v_bfe_u32 v2, v24, 23, 1
; %bb.14367:                            ;   in Loop: Header=BB6_12546 Depth=2
	s_or_b32 exec_lo, exec_lo, s7
	s_delay_alu instid0(VALU_DEP_2) | instskip(NEXT) | instid1(VALU_DEP_2)
	v_lshrrev_b64 v[0:1], 21, v[0:1]
	v_cmp_gt_i32_e32 vcc_lo, 32, v2
	v_cmp_ne_u32_e64 s7, 0, v2
                                        ; implicit-def: $vgpr38
	s_delay_alu instid0(VALU_DEP_3) | instskip(NEXT) | instid1(VALU_DEP_1)
	v_dual_cndmask_b32 v1, 0, v1 :: v_dual_cndmask_b32 v0, 3, v0
	v_cmp_ne_u64_e32 vcc_lo, 0, v[0:1]
	s_or_b32 s7, s7, vcc_lo
	s_delay_alu instid0(SALU_CYCLE_1) | instskip(NEXT) | instid1(SALU_CYCLE_1)
	s_and_saveexec_b32 s43, s7
	s_xor_b32 s7, exec_lo, s43
; %bb.14368:                            ;   in Loop: Header=BB6_12546 Depth=2
	v_min_i32_e32 v1, 31, v2
	s_delay_alu instid0(VALU_DEP_1) | instskip(NEXT) | instid1(VALU_DEP_1)
	v_lshl_or_b32 v1, v1, 2, v23
                                        ; implicit-def: $vgpr23
	v_and_or_b32 v38, v0, 3, v1
; %bb.14369:                            ;   in Loop: Header=BB6_12546 Depth=2
	s_and_not1_saveexec_b32 s7, s7
; %bb.14370:                            ;   in Loop: Header=BB6_12546 Depth=2
	v_mov_b32_e32 v38, v23
; %bb.14371:                            ;   in Loop: Header=BB6_12546 Depth=2
	s_or_b32 exec_lo, exec_lo, s7
.LBB6_14372:                            ;   in Loop: Header=BB6_12546 Depth=2
	s_delay_alu instid0(SALU_CYCLE_1)
	s_or_b32 exec_lo, exec_lo, s42
                                        ; implicit-def: $vgpr23
.LBB6_14373:                            ;   in Loop: Header=BB6_12546 Depth=2
	s_and_not1_saveexec_b32 s7, s41
; %bb.14374:                            ;   in Loop: Header=BB6_12546 Depth=2
	v_or_b32_e32 v38, 0x7b, v23
; %bb.14375:                            ;   in Loop: Header=BB6_12546 Depth=2
	s_or_b32 exec_lo, exec_lo, s7
                                        ; implicit-def: $vgpr1
.LBB6_14376:                            ;   in Loop: Header=BB6_12546 Depth=2
	s_and_not1_saveexec_b32 s7, s10
	s_cbranch_execz .LBB6_14382
; %bb.14377:                            ;   in Loop: Header=BB6_12546 Depth=2
	s_mov_b32 s10, exec_lo
                                        ; implicit-def: $vgpr38
	v_cmpx_ne_u64_e32 0, v[24:25]
	s_xor_b32 s10, exec_lo, s10
; %bb.14378:                            ;   in Loop: Header=BB6_12546 Depth=2
	v_lshrrev_b32_e32 v0, 24, v1
                                        ; implicit-def: $vgpr1
	s_delay_alu instid0(VALU_DEP_1)
	v_or_b32_e32 v38, 0x7f, v0
; %bb.14379:                            ;   in Loop: Header=BB6_12546 Depth=2
	s_and_not1_saveexec_b32 s10, s10
; %bb.14380:                            ;   in Loop: Header=BB6_12546 Depth=2
	v_cmp_lt_i32_e32 vcc_lo, -1, v1
	v_cndmask_b32_e64 v38, -4, 0x7c, vcc_lo
; %bb.14381:                            ;   in Loop: Header=BB6_12546 Depth=2
	s_or_b32 exec_lo, exec_lo, s10
.LBB6_14382:                            ;   in Loop: Header=BB6_12546 Depth=2
	s_delay_alu instid0(SALU_CYCLE_1)
	s_or_b32 exec_lo, exec_lo, s7
	v_and_b32_e32 v0, 0xff, v36
	v_cmp_ne_u16_e64 s7, 0, v36
	s_and_not1_b32 vcc_lo, exec_lo, s14
	s_mov_b32 s10, -1
                                        ; implicit-def: $vgpr1
	s_cbranch_vccnz .LBB6_14404
; %bb.14383:                            ;   in Loop: Header=BB6_12546 Depth=2
	v_dual_mov_b32 v2, 0 :: v_dual_mov_b32 v1, 0
	s_and_saveexec_b32 s10, s7
	s_cbranch_execz .LBB6_14393
; %bb.14384:                            ;   in Loop: Header=BB6_12546 Depth=2
	v_bfrev_b32_e32 v1, 1
	s_mov_b32 s41, exec_lo
	v_cmpx_ne_u16_e32 0xff80, v36
	s_cbranch_execz .LBB6_14392
; %bb.14385:                            ;   in Loop: Header=BB6_12546 Depth=2
	v_and_b32_e32 v1, 0x7c, v0
	v_and_b32_e32 v3, 3, v0
	s_delay_alu instid0(VALU_DEP_2) | instskip(SKIP_1) | instid1(SALU_CYCLE_1)
	v_cmp_ne_u32_e32 vcc_lo, 0x7c, v1
                                        ; implicit-def: $vgpr1
	s_and_saveexec_b32 s42, vcc_lo
	s_xor_b32 s42, exec_lo, s42
	s_cbranch_execz .LBB6_14389
; %bb.14386:                            ;   in Loop: Header=BB6_12546 Depth=2
	v_bfe_u32 v1, v0, 2, 5
	s_mov_b32 s43, exec_lo
	s_delay_alu instid0(VALU_DEP_1)
	v_cmpx_eq_u32_e32 0, v1
	s_cbranch_execz .LBB6_14388
; %bb.14387:                            ;   in Loop: Header=BB6_12546 Depth=2
	v_clz_i32_u32_e32 v1, v3
	s_delay_alu instid0(VALU_DEP_1) | instskip(SKIP_1) | instid1(VALU_DEP_2)
	v_min_u32_e32 v1, 32, v1
	v_mov_b32_e32 v37, v25
	v_subrev_nc_u32_e32 v3, 29, v1
	v_sub_nc_u32_e32 v1, 30, v1
	s_delay_alu instid0(VALU_DEP_2) | instskip(NEXT) | instid1(VALU_DEP_1)
	v_lshlrev_b64_e32 v[48:49], v3, v[36:37]
	v_and_b32_e32 v3, 3, v48
.LBB6_14388:                            ;   in Loop: Header=BB6_12546 Depth=2
	s_or_b32 exec_lo, exec_lo, s43
	v_bfe_i32 v23, v36, 0, 16
	s_delay_alu instid0(VALU_DEP_1) | instskip(NEXT) | instid1(VALU_DEP_1)
	v_and_b32_e32 v23, 0x80000000, v23
	v_lshl_add_u32 v1, v1, 23, v23
	s_delay_alu instid0(VALU_DEP_1) | instskip(NEXT) | instid1(VALU_DEP_1)
	v_lshl_or_b32 v1, v3, 21, v1
                                        ; implicit-def: $vgpr3
	v_add_nc_u32_e32 v1, 0x38000000, v1
.LBB6_14389:                            ;   in Loop: Header=BB6_12546 Depth=2
	s_and_not1_saveexec_b32 s42, s42
; %bb.14390:                            ;   in Loop: Header=BB6_12546 Depth=2
	v_cmp_lt_i16_e32 vcc_lo, -1, v36
	v_cndmask_b32_e32 v1, 0xff800000, v40, vcc_lo
	v_cmp_eq_u32_e32 vcc_lo, 0, v3
	s_delay_alu instid0(VALU_DEP_2)
	v_cndmask_b32_e32 v1, 0x7f800001, v1, vcc_lo
; %bb.14391:                            ;   in Loop: Header=BB6_12546 Depth=2
	s_or_b32 exec_lo, exec_lo, s42
.LBB6_14392:                            ;   in Loop: Header=BB6_12546 Depth=2
	s_delay_alu instid0(SALU_CYCLE_1)
	s_or_b32 exec_lo, exec_lo, s41
.LBB6_14393:                            ;   in Loop: Header=BB6_12546 Depth=2
	s_delay_alu instid0(SALU_CYCLE_1) | instskip(NEXT) | instid1(SALU_CYCLE_1)
	s_or_b32 exec_lo, exec_lo, s10
	s_mov_b32 s10, exec_lo
	v_cmpx_ne_u16_e32 0, v34
	s_cbranch_execz .LBB6_14403
; %bb.14394:                            ;   in Loop: Header=BB6_12546 Depth=2
	v_bfrev_b32_e32 v2, 1
	s_mov_b32 s41, exec_lo
	v_cmpx_ne_u16_e32 0xff80, v34
	s_cbranch_execz .LBB6_14402
; %bb.14395:                            ;   in Loop: Header=BB6_12546 Depth=2
	v_and_b32_e32 v2, 0x7c, v34
	v_and_b32_e32 v3, 3, v34
	s_delay_alu instid0(VALU_DEP_2) | instskip(SKIP_1) | instid1(SALU_CYCLE_1)
	v_cmp_ne_u32_e32 vcc_lo, 0x7c, v2
                                        ; implicit-def: $vgpr2
	s_and_saveexec_b32 s42, vcc_lo
	s_xor_b32 s42, exec_lo, s42
	s_cbranch_execz .LBB6_14399
; %bb.14396:                            ;   in Loop: Header=BB6_12546 Depth=2
	v_and_b32_e32 v2, 0xff, v34
	s_mov_b32 s43, exec_lo
	s_delay_alu instid0(VALU_DEP_1) | instskip(NEXT) | instid1(VALU_DEP_1)
	v_bfe_u32 v2, v2, 2, 5
	v_cmpx_eq_u32_e32 0, v2
	s_cbranch_execz .LBB6_14398
; %bb.14397:                            ;   in Loop: Header=BB6_12546 Depth=2
	v_clz_i32_u32_e32 v2, v3
	s_delay_alu instid0(VALU_DEP_1) | instskip(SKIP_1) | instid1(VALU_DEP_2)
	v_min_u32_e32 v2, 32, v2
	v_mov_b32_e32 v35, v25
	v_subrev_nc_u32_e32 v3, 29, v2
	v_sub_nc_u32_e32 v2, 30, v2
	s_delay_alu instid0(VALU_DEP_2) | instskip(NEXT) | instid1(VALU_DEP_1)
	v_lshlrev_b64_e32 v[48:49], v3, v[34:35]
	v_and_b32_e32 v3, 3, v48
.LBB6_14398:                            ;   in Loop: Header=BB6_12546 Depth=2
	s_or_b32 exec_lo, exec_lo, s43
	v_bfe_i32 v23, v34, 0, 16
	s_delay_alu instid0(VALU_DEP_1) | instskip(NEXT) | instid1(VALU_DEP_1)
	v_and_b32_e32 v23, 0x80000000, v23
	v_lshl_add_u32 v2, v2, 23, v23
	s_delay_alu instid0(VALU_DEP_1) | instskip(NEXT) | instid1(VALU_DEP_1)
	v_lshl_or_b32 v2, v3, 21, v2
                                        ; implicit-def: $vgpr3
	v_add_nc_u32_e32 v2, 0x38000000, v2
.LBB6_14399:                            ;   in Loop: Header=BB6_12546 Depth=2
	s_and_not1_saveexec_b32 s42, s42
; %bb.14400:                            ;   in Loop: Header=BB6_12546 Depth=2
	v_cmp_lt_i16_e32 vcc_lo, -1, v34
	v_cndmask_b32_e32 v2, 0xff800000, v40, vcc_lo
	v_cmp_eq_u32_e32 vcc_lo, 0, v3
	s_delay_alu instid0(VALU_DEP_2)
	v_cndmask_b32_e32 v2, 0x7f800001, v2, vcc_lo
; %bb.14401:                            ;   in Loop: Header=BB6_12546 Depth=2
	s_or_b32 exec_lo, exec_lo, s42
.LBB6_14402:                            ;   in Loop: Header=BB6_12546 Depth=2
	s_delay_alu instid0(SALU_CYCLE_1)
	s_or_b32 exec_lo, exec_lo, s41
.LBB6_14403:                            ;   in Loop: Header=BB6_12546 Depth=2
	s_delay_alu instid0(SALU_CYCLE_1) | instskip(NEXT) | instid1(VALU_DEP_1)
	s_or_b32 exec_lo, exec_lo, s10
	v_dual_max_num_f32 v2, v2, v2 :: v_dual_max_num_f32 v1, v1, v1
	s_mov_b32 s10, 0
	s_delay_alu instid0(VALU_DEP_1)
	v_max_num_f32_e32 v1, v1, v2
.LBB6_14404:                            ;   in Loop: Header=BB6_12546 Depth=2
	s_and_b32 vcc_lo, exec_lo, s10
	s_cbranch_vccz .LBB6_14426
; %bb.14405:                            ;   in Loop: Header=BB6_12546 Depth=2
	v_dual_mov_b32 v2, 0 :: v_dual_mov_b32 v1, 0
	s_and_saveexec_b32 s10, s7
	s_cbranch_execz .LBB6_14415
; %bb.14406:                            ;   in Loop: Header=BB6_12546 Depth=2
	v_bfrev_b32_e32 v1, 1
	s_mov_b32 s7, exec_lo
	v_cmpx_ne_u16_e32 0xff80, v36
	s_cbranch_execz .LBB6_14414
; %bb.14407:                            ;   in Loop: Header=BB6_12546 Depth=2
	v_and_b32_e32 v1, 0x7c, v0
	v_and_b32_e32 v3, 3, v0
	s_delay_alu instid0(VALU_DEP_2) | instskip(SKIP_1) | instid1(SALU_CYCLE_1)
	v_cmp_ne_u32_e32 vcc_lo, 0x7c, v1
                                        ; implicit-def: $vgpr1
	s_and_saveexec_b32 s41, vcc_lo
	s_xor_b32 s41, exec_lo, s41
	s_cbranch_execz .LBB6_14411
; %bb.14408:                            ;   in Loop: Header=BB6_12546 Depth=2
	v_bfe_u32 v0, v0, 2, 5
	s_mov_b32 s42, exec_lo
	s_delay_alu instid0(VALU_DEP_1)
	v_cmpx_eq_u32_e32 0, v0
	s_cbranch_execz .LBB6_14410
; %bb.14409:                            ;   in Loop: Header=BB6_12546 Depth=2
	v_clz_i32_u32_e32 v0, v3
	s_delay_alu instid0(VALU_DEP_1) | instskip(SKIP_1) | instid1(VALU_DEP_2)
	v_min_u32_e32 v0, 32, v0
	v_mov_b32_e32 v37, v25
	v_subrev_nc_u32_e32 v1, 29, v0
	v_sub_nc_u32_e32 v0, 30, v0
	s_delay_alu instid0(VALU_DEP_2) | instskip(NEXT) | instid1(VALU_DEP_1)
	v_lshlrev_b64_e32 v[48:49], v1, v[36:37]
	v_and_b32_e32 v3, 3, v48
.LBB6_14410:                            ;   in Loop: Header=BB6_12546 Depth=2
	s_or_b32 exec_lo, exec_lo, s42
	v_bfe_i32 v1, v36, 0, 16
                                        ; implicit-def: $vgpr36
	s_delay_alu instid0(VALU_DEP_1) | instskip(NEXT) | instid1(VALU_DEP_1)
	v_and_b32_e32 v1, 0x80000000, v1
	v_lshl_add_u32 v0, v0, 23, v1
	s_delay_alu instid0(VALU_DEP_1) | instskip(NEXT) | instid1(VALU_DEP_1)
	v_lshl_or_b32 v0, v3, 21, v0
                                        ; implicit-def: $vgpr3
	v_add_nc_u32_e32 v1, 0x38000000, v0
.LBB6_14411:                            ;   in Loop: Header=BB6_12546 Depth=2
	s_and_not1_saveexec_b32 s41, s41
; %bb.14412:                            ;   in Loop: Header=BB6_12546 Depth=2
	v_cmp_lt_i16_e32 vcc_lo, -1, v36
	v_cndmask_b32_e32 v0, 0xff800000, v40, vcc_lo
	v_cmp_eq_u32_e32 vcc_lo, 0, v3
	s_delay_alu instid0(VALU_DEP_2)
	v_cndmask_b32_e32 v1, 0x7f800001, v0, vcc_lo
; %bb.14413:                            ;   in Loop: Header=BB6_12546 Depth=2
	s_or_b32 exec_lo, exec_lo, s41
.LBB6_14414:                            ;   in Loop: Header=BB6_12546 Depth=2
	s_delay_alu instid0(SALU_CYCLE_1)
	s_or_b32 exec_lo, exec_lo, s7
.LBB6_14415:                            ;   in Loop: Header=BB6_12546 Depth=2
	s_delay_alu instid0(SALU_CYCLE_1) | instskip(NEXT) | instid1(SALU_CYCLE_1)
	s_or_b32 exec_lo, exec_lo, s10
	s_mov_b32 s7, exec_lo
	v_cmpx_ne_u16_e32 0, v34
	s_cbranch_execz .LBB6_14425
; %bb.14416:                            ;   in Loop: Header=BB6_12546 Depth=2
	v_bfrev_b32_e32 v2, 1
	s_mov_b32 s10, exec_lo
	v_cmpx_ne_u16_e32 0xff80, v34
	s_cbranch_execz .LBB6_14424
; %bb.14417:                            ;   in Loop: Header=BB6_12546 Depth=2
	v_and_b32_e32 v2, 0x7c, v34
	v_and_b32_e32 v0, 3, v34
	s_delay_alu instid0(VALU_DEP_2) | instskip(SKIP_1) | instid1(SALU_CYCLE_1)
	v_cmp_ne_u32_e32 vcc_lo, 0x7c, v2
                                        ; implicit-def: $vgpr2
	s_and_saveexec_b32 s41, vcc_lo
	s_xor_b32 s41, exec_lo, s41
	s_cbranch_execz .LBB6_14421
; %bb.14418:                            ;   in Loop: Header=BB6_12546 Depth=2
	v_and_b32_e32 v2, 0xff, v34
	s_mov_b32 s42, exec_lo
	s_delay_alu instid0(VALU_DEP_1) | instskip(NEXT) | instid1(VALU_DEP_1)
	v_bfe_u32 v2, v2, 2, 5
	v_cmpx_eq_u32_e32 0, v2
	s_cbranch_execz .LBB6_14420
; %bb.14419:                            ;   in Loop: Header=BB6_12546 Depth=2
	v_clz_i32_u32_e32 v0, v0
	s_delay_alu instid0(VALU_DEP_1) | instskip(SKIP_1) | instid1(VALU_DEP_2)
	v_min_u32_e32 v0, 32, v0
	v_mov_b32_e32 v35, v25
	v_subrev_nc_u32_e32 v2, 29, v0
	s_delay_alu instid0(VALU_DEP_1) | instskip(SKIP_1) | instid1(VALU_DEP_2)
	v_lshlrev_b64_e32 v[36:37], v2, v[34:35]
	v_sub_nc_u32_e32 v2, 30, v0
	v_and_b32_e32 v0, 3, v36
.LBB6_14420:                            ;   in Loop: Header=BB6_12546 Depth=2
	s_or_b32 exec_lo, exec_lo, s42
	v_bfe_i32 v3, v34, 0, 16
                                        ; implicit-def: $vgpr34
	s_delay_alu instid0(VALU_DEP_1) | instskip(NEXT) | instid1(VALU_DEP_1)
	v_and_b32_e32 v3, 0x80000000, v3
	v_lshl_add_u32 v2, v2, 23, v3
	s_delay_alu instid0(VALU_DEP_1) | instskip(NEXT) | instid1(VALU_DEP_1)
	v_lshl_or_b32 v0, v0, 21, v2
	v_add_nc_u32_e32 v2, 0x38000000, v0
                                        ; implicit-def: $vgpr0
.LBB6_14421:                            ;   in Loop: Header=BB6_12546 Depth=2
	s_and_not1_saveexec_b32 s41, s41
; %bb.14422:                            ;   in Loop: Header=BB6_12546 Depth=2
	v_cmp_lt_i16_e32 vcc_lo, -1, v34
	v_cndmask_b32_e32 v2, 0xff800000, v40, vcc_lo
	v_cmp_eq_u32_e32 vcc_lo, 0, v0
	s_delay_alu instid0(VALU_DEP_2)
	v_cndmask_b32_e32 v2, 0x7f800001, v2, vcc_lo
; %bb.14423:                            ;   in Loop: Header=BB6_12546 Depth=2
	s_or_b32 exec_lo, exec_lo, s41
.LBB6_14424:                            ;   in Loop: Header=BB6_12546 Depth=2
	s_delay_alu instid0(SALU_CYCLE_1)
	s_or_b32 exec_lo, exec_lo, s10
.LBB6_14425:                            ;   in Loop: Header=BB6_12546 Depth=2
	s_delay_alu instid0(SALU_CYCLE_1) | instskip(NEXT) | instid1(VALU_DEP_1)
	s_or_b32 exec_lo, exec_lo, s7
	v_dual_max_num_f32 v0, v2, v2 :: v_dual_max_num_f32 v1, v1, v1
	s_delay_alu instid0(VALU_DEP_1)
	v_min_num_f32_e32 v1, v1, v0
.LBB6_14426:                            ;   in Loop: Header=BB6_12546 Depth=2
	s_delay_alu instid0(VALU_DEP_1) | instskip(SKIP_3) | instid1(VALU_DEP_2)
	v_and_b32_e32 v2, 0x7f800000, v1
	v_mov_b32_e32 v3, v25
	v_and_b32_e32 v24, 0x7fffff, v1
                                        ; implicit-def: $vgpr34
	s_mov_b32 s7, exec_lo
	v_cmpx_ne_u64_e32 0x7f800000, v[2:3]
	s_xor_b32 s10, exec_lo, s7
	s_cbranch_execz .LBB6_14444
; %bb.14427:                            ;   in Loop: Header=BB6_12546 Depth=2
	v_dual_mov_b32 v3, v25 :: v_dual_lshrrev_b32 v0, 24, v1
	v_and_b32_e32 v2, 0x7fffffff, v1
                                        ; implicit-def: $vgpr34
	s_mov_b32 s7, exec_lo
	s_delay_alu instid0(VALU_DEP_2) | instskip(NEXT) | instid1(VALU_DEP_2)
	v_and_b32_e32 v23, 0x80, v0
	v_cmpx_gt_u64_e32 0x47600001, v[2:3]
	s_xor_b32 s41, exec_lo, s7
	s_cbranch_execz .LBB6_14441
; %bb.14428:                            ;   in Loop: Header=BB6_12546 Depth=2
	v_mov_b32_e32 v34, 0
	s_mov_b32 s42, exec_lo
	v_cmpx_ne_u32_e32 0, v1
	s_cbranch_execz .LBB6_14440
; %bb.14429:                            ;   in Loop: Header=BB6_12546 Depth=2
	v_bfe_u32 v27, v1, 23, 8
	v_or_b32_e32 v2, 0x800000, v24
	s_delay_alu instid0(VALU_DEP_2) | instskip(SKIP_1) | instid1(VALU_DEP_2)
	v_sub_nc_u32_e32 v0, 0x71, v27
	v_cmp_gt_u32_e32 vcc_lo, 0x72, v27
	v_cndmask_b32_e32 v0, 0, v0, vcc_lo
	v_cmp_eq_u32_e32 vcc_lo, 0, v27
	s_delay_alu instid0(VALU_DEP_2) | instskip(NEXT) | instid1(VALU_DEP_1)
	v_cndmask_b32_e64 v33, v0, 0x70, vcc_lo
	v_dual_cndmask_b32 v24, v2, v24, vcc_lo :: v_dual_add_nc_u32 v0, 21, v33
	v_add_nc_u32_e32 v3, 20, v33
	s_delay_alu instid0(VALU_DEP_2) | instskip(NEXT) | instid1(VALU_DEP_2)
	v_lshlrev_b64_e64 v[0:1], v0, -1
	v_lshlrev_b64_e64 v[2:3], v3, 1
	s_delay_alu instid0(VALU_DEP_2) | instskip(NEXT) | instid1(VALU_DEP_3)
	v_bfi_b32 v35, v1, 0, 0
	v_bfi_b32 v34, v0, 0, v24
	v_lshrrev_b64 v[0:1], v33, v[24:25]
	s_delay_alu instid0(VALU_DEP_2) | instskip(NEXT) | instid1(VALU_DEP_2)
	v_cmp_eq_u64_e64 s7, v[34:35], v[2:3]
	v_mov_b64_e32 v[2:3], v[0:1]
	s_and_saveexec_b32 s43, s7
; %bb.14430:                            ;   in Loop: Header=BB6_12546 Depth=2
	v_bfe_u32 v24, v0, 21, 1
	s_delay_alu instid0(VALU_DEP_1) | instskip(NEXT) | instid1(VALU_DEP_1)
	v_add_nc_u64_e32 v[2:3], v[0:1], v[24:25]
	v_add_nc_u64_e32 v[2:3], -1, v[2:3]
; %bb.14431:                            ;   in Loop: Header=BB6_12546 Depth=2
	s_or_b32 exec_lo, exec_lo, s43
	v_add_nc_u32_e32 v1, 0xffffff81, v27
	v_lshrrev_b32_e32 v3, 23, v0
	s_mov_b32 s7, exec_lo
	s_delay_alu instid0(VALU_DEP_2) | instskip(NEXT) | instid1(VALU_DEP_1)
	v_cndmask_b32_e64 v1, v1, 0xffffff82, vcc_lo
	v_add3_u32 v3, v33, v1, v3
	v_and_b32_e32 v1, 0x1fffff, v2
                                        ; implicit-def: $vgpr2
	s_delay_alu instid0(VALU_DEP_1) | instskip(NEXT) | instid1(VALU_DEP_1)
	v_dual_add_nc_u32 v27, 14, v3 :: v_dual_add_nc_u32 v24, v1, v0
                                        ; implicit-def: $vgpr0_vgpr1
	v_cmpx_ne_u32_e32 0, v27
	s_xor_b32 s7, exec_lo, s7
; %bb.14432:                            ;   in Loop: Header=BB6_12546 Depth=2
	s_delay_alu instid0(VALU_DEP_2) | instskip(SKIP_1) | instid1(VALU_DEP_1)
	v_cmp_lt_u64_e32 vcc_lo, 0xffffff, v[24:25]
	v_add_nc_u32_e32 v0, 15, v3
	v_cndmask_b32_e32 v2, v27, v0, vcc_lo
	v_cndmask_b32_e64 v0, 0, 1, vcc_lo
	s_delay_alu instid0(VALU_DEP_1)
	v_lshrrev_b64 v[0:1], v0, v[24:25]
; %bb.14433:                            ;   in Loop: Header=BB6_12546 Depth=2
	s_and_not1_saveexec_b32 s7, s7
; %bb.14434:                            ;   in Loop: Header=BB6_12546 Depth=2
	v_mov_b64_e32 v[0:1], v[24:25]
	v_bfe_u32 v2, v24, 23, 1
; %bb.14435:                            ;   in Loop: Header=BB6_12546 Depth=2
	s_or_b32 exec_lo, exec_lo, s7
	s_delay_alu instid0(VALU_DEP_2) | instskip(NEXT) | instid1(VALU_DEP_2)
	v_lshrrev_b64 v[0:1], 21, v[0:1]
	v_cmp_gt_i32_e32 vcc_lo, 32, v2
	v_cmp_ne_u32_e64 s7, 0, v2
                                        ; implicit-def: $vgpr34
	s_delay_alu instid0(VALU_DEP_3) | instskip(NEXT) | instid1(VALU_DEP_1)
	v_dual_cndmask_b32 v1, 0, v1 :: v_dual_cndmask_b32 v0, 3, v0
	v_cmp_ne_u64_e32 vcc_lo, 0, v[0:1]
	s_or_b32 s7, s7, vcc_lo
	s_delay_alu instid0(SALU_CYCLE_1) | instskip(NEXT) | instid1(SALU_CYCLE_1)
	s_and_saveexec_b32 s43, s7
	s_xor_b32 s7, exec_lo, s43
; %bb.14436:                            ;   in Loop: Header=BB6_12546 Depth=2
	v_min_i32_e32 v1, 31, v2
	s_delay_alu instid0(VALU_DEP_1) | instskip(NEXT) | instid1(VALU_DEP_1)
	v_lshl_or_b32 v1, v1, 2, v23
                                        ; implicit-def: $vgpr23
	v_and_or_b32 v34, v0, 3, v1
; %bb.14437:                            ;   in Loop: Header=BB6_12546 Depth=2
	s_and_not1_saveexec_b32 s7, s7
; %bb.14438:                            ;   in Loop: Header=BB6_12546 Depth=2
	v_mov_b32_e32 v34, v23
; %bb.14439:                            ;   in Loop: Header=BB6_12546 Depth=2
	s_or_b32 exec_lo, exec_lo, s7
.LBB6_14440:                            ;   in Loop: Header=BB6_12546 Depth=2
	s_delay_alu instid0(SALU_CYCLE_1)
	s_or_b32 exec_lo, exec_lo, s42
                                        ; implicit-def: $vgpr23
.LBB6_14441:                            ;   in Loop: Header=BB6_12546 Depth=2
	s_and_not1_saveexec_b32 s7, s41
; %bb.14442:                            ;   in Loop: Header=BB6_12546 Depth=2
	v_or_b32_e32 v34, 0x7b, v23
; %bb.14443:                            ;   in Loop: Header=BB6_12546 Depth=2
	s_or_b32 exec_lo, exec_lo, s7
                                        ; implicit-def: $vgpr1
.LBB6_14444:                            ;   in Loop: Header=BB6_12546 Depth=2
	s_and_not1_saveexec_b32 s7, s10
	s_cbranch_execz .LBB6_14450
; %bb.14445:                            ;   in Loop: Header=BB6_12546 Depth=2
	s_mov_b32 s10, exec_lo
                                        ; implicit-def: $vgpr34
	v_cmpx_ne_u64_e32 0, v[24:25]
	s_xor_b32 s10, exec_lo, s10
; %bb.14446:                            ;   in Loop: Header=BB6_12546 Depth=2
	v_lshrrev_b32_e32 v0, 24, v1
                                        ; implicit-def: $vgpr1
	s_delay_alu instid0(VALU_DEP_1)
	v_or_b32_e32 v34, 0x7f, v0
; %bb.14447:                            ;   in Loop: Header=BB6_12546 Depth=2
	s_and_not1_saveexec_b32 s10, s10
; %bb.14448:                            ;   in Loop: Header=BB6_12546 Depth=2
	v_cmp_lt_i32_e32 vcc_lo, -1, v1
	v_cndmask_b32_e64 v34, -4, 0x7c, vcc_lo
; %bb.14449:                            ;   in Loop: Header=BB6_12546 Depth=2
	s_or_b32 exec_lo, exec_lo, s10
.LBB6_14450:                            ;   in Loop: Header=BB6_12546 Depth=2
	s_delay_alu instid0(SALU_CYCLE_1)
	s_or_b32 exec_lo, exec_lo, s7
	v_and_b32_e32 v0, 0xff, v32
	v_cmp_ne_u16_e64 s7, 0, v32
	s_and_not1_b32 vcc_lo, exec_lo, s14
	s_mov_b32 s10, -1
                                        ; implicit-def: $vgpr1
	s_cbranch_vccnz .LBB6_14472
; %bb.14451:                            ;   in Loop: Header=BB6_12546 Depth=2
	v_dual_mov_b32 v2, 0 :: v_dual_mov_b32 v1, 0
	s_and_saveexec_b32 s10, s7
	s_cbranch_execz .LBB6_14461
; %bb.14452:                            ;   in Loop: Header=BB6_12546 Depth=2
	v_bfrev_b32_e32 v1, 1
	s_mov_b32 s41, exec_lo
	v_cmpx_ne_u16_e32 0xff80, v32
	s_cbranch_execz .LBB6_14460
; %bb.14453:                            ;   in Loop: Header=BB6_12546 Depth=2
	v_and_b32_e32 v1, 0x7c, v0
	v_and_b32_e32 v3, 3, v0
	s_delay_alu instid0(VALU_DEP_2) | instskip(SKIP_1) | instid1(SALU_CYCLE_1)
	v_cmp_ne_u32_e32 vcc_lo, 0x7c, v1
                                        ; implicit-def: $vgpr1
	s_and_saveexec_b32 s42, vcc_lo
	s_xor_b32 s42, exec_lo, s42
	s_cbranch_execz .LBB6_14457
; %bb.14454:                            ;   in Loop: Header=BB6_12546 Depth=2
	v_bfe_u32 v1, v0, 2, 5
	s_mov_b32 s43, exec_lo
	s_delay_alu instid0(VALU_DEP_1)
	v_cmpx_eq_u32_e32 0, v1
	s_cbranch_execz .LBB6_14456
; %bb.14455:                            ;   in Loop: Header=BB6_12546 Depth=2
	v_clz_i32_u32_e32 v1, v3
	s_delay_alu instid0(VALU_DEP_1) | instskip(SKIP_1) | instid1(VALU_DEP_2)
	v_min_u32_e32 v1, 32, v1
	v_mov_b32_e32 v33, v25
	v_subrev_nc_u32_e32 v3, 29, v1
	v_sub_nc_u32_e32 v1, 30, v1
	s_delay_alu instid0(VALU_DEP_2) | instskip(NEXT) | instid1(VALU_DEP_1)
	v_lshlrev_b64_e32 v[36:37], v3, v[32:33]
	v_and_b32_e32 v3, 3, v36
.LBB6_14456:                            ;   in Loop: Header=BB6_12546 Depth=2
	s_or_b32 exec_lo, exec_lo, s43
	v_bfe_i32 v23, v32, 0, 16
	s_delay_alu instid0(VALU_DEP_1) | instskip(NEXT) | instid1(VALU_DEP_1)
	v_and_b32_e32 v23, 0x80000000, v23
	v_lshl_add_u32 v1, v1, 23, v23
	s_delay_alu instid0(VALU_DEP_1) | instskip(NEXT) | instid1(VALU_DEP_1)
	v_lshl_or_b32 v1, v3, 21, v1
                                        ; implicit-def: $vgpr3
	v_add_nc_u32_e32 v1, 0x38000000, v1
.LBB6_14457:                            ;   in Loop: Header=BB6_12546 Depth=2
	s_and_not1_saveexec_b32 s42, s42
; %bb.14458:                            ;   in Loop: Header=BB6_12546 Depth=2
	v_cmp_lt_i16_e32 vcc_lo, -1, v32
	v_cndmask_b32_e32 v1, 0xff800000, v40, vcc_lo
	v_cmp_eq_u32_e32 vcc_lo, 0, v3
	s_delay_alu instid0(VALU_DEP_2)
	v_cndmask_b32_e32 v1, 0x7f800001, v1, vcc_lo
; %bb.14459:                            ;   in Loop: Header=BB6_12546 Depth=2
	s_or_b32 exec_lo, exec_lo, s42
.LBB6_14460:                            ;   in Loop: Header=BB6_12546 Depth=2
	s_delay_alu instid0(SALU_CYCLE_1)
	s_or_b32 exec_lo, exec_lo, s41
.LBB6_14461:                            ;   in Loop: Header=BB6_12546 Depth=2
	s_delay_alu instid0(SALU_CYCLE_1) | instskip(NEXT) | instid1(SALU_CYCLE_1)
	s_or_b32 exec_lo, exec_lo, s10
	s_mov_b32 s10, exec_lo
	v_cmpx_ne_u16_e32 0, v98
	s_cbranch_execz .LBB6_14471
; %bb.14462:                            ;   in Loop: Header=BB6_12546 Depth=2
	v_bfrev_b32_e32 v2, 1
	s_mov_b32 s41, exec_lo
	v_cmpx_ne_u16_e32 0xff80, v98
	s_cbranch_execz .LBB6_14470
; %bb.14463:                            ;   in Loop: Header=BB6_12546 Depth=2
	v_and_b32_e32 v2, 0x7c, v98
	v_and_b32_e32 v3, 3, v98
	s_delay_alu instid0(VALU_DEP_2) | instskip(SKIP_1) | instid1(SALU_CYCLE_1)
	v_cmp_ne_u32_e32 vcc_lo, 0x7c, v2
                                        ; implicit-def: $vgpr2
	s_and_saveexec_b32 s42, vcc_lo
	s_xor_b32 s42, exec_lo, s42
	s_cbranch_execz .LBB6_14467
; %bb.14464:                            ;   in Loop: Header=BB6_12546 Depth=2
	v_and_b32_e32 v2, 0xff, v98
	s_mov_b32 s43, exec_lo
	s_delay_alu instid0(VALU_DEP_1) | instskip(NEXT) | instid1(VALU_DEP_1)
	v_bfe_u32 v2, v2, 2, 5
	v_cmpx_eq_u32_e32 0, v2
	s_cbranch_execz .LBB6_14466
; %bb.14465:                            ;   in Loop: Header=BB6_12546 Depth=2
	v_clz_i32_u32_e32 v2, v3
	s_delay_alu instid0(VALU_DEP_1) | instskip(SKIP_1) | instid1(VALU_DEP_2)
	v_min_u32_e32 v2, 32, v2
	v_mov_b32_e32 v99, v25
	v_subrev_nc_u32_e32 v3, 29, v2
	v_sub_nc_u32_e32 v2, 30, v2
	s_delay_alu instid0(VALU_DEP_2) | instskip(NEXT) | instid1(VALU_DEP_1)
	v_lshlrev_b64_e32 v[36:37], v3, v[98:99]
	v_and_b32_e32 v3, 3, v36
.LBB6_14466:                            ;   in Loop: Header=BB6_12546 Depth=2
	s_or_b32 exec_lo, exec_lo, s43
	v_bfe_i32 v23, v98, 0, 16
	s_delay_alu instid0(VALU_DEP_1) | instskip(NEXT) | instid1(VALU_DEP_1)
	v_and_b32_e32 v23, 0x80000000, v23
	v_lshl_add_u32 v2, v2, 23, v23
	s_delay_alu instid0(VALU_DEP_1) | instskip(NEXT) | instid1(VALU_DEP_1)
	v_lshl_or_b32 v2, v3, 21, v2
                                        ; implicit-def: $vgpr3
	v_add_nc_u32_e32 v2, 0x38000000, v2
.LBB6_14467:                            ;   in Loop: Header=BB6_12546 Depth=2
	s_and_not1_saveexec_b32 s42, s42
; %bb.14468:                            ;   in Loop: Header=BB6_12546 Depth=2
	v_cmp_lt_i16_e32 vcc_lo, -1, v98
	v_cndmask_b32_e32 v2, 0xff800000, v40, vcc_lo
	v_cmp_eq_u32_e32 vcc_lo, 0, v3
	s_delay_alu instid0(VALU_DEP_2)
	v_cndmask_b32_e32 v2, 0x7f800001, v2, vcc_lo
; %bb.14469:                            ;   in Loop: Header=BB6_12546 Depth=2
	s_or_b32 exec_lo, exec_lo, s42
.LBB6_14470:                            ;   in Loop: Header=BB6_12546 Depth=2
	s_delay_alu instid0(SALU_CYCLE_1)
	s_or_b32 exec_lo, exec_lo, s41
.LBB6_14471:                            ;   in Loop: Header=BB6_12546 Depth=2
	s_delay_alu instid0(SALU_CYCLE_1) | instskip(NEXT) | instid1(VALU_DEP_1)
	s_or_b32 exec_lo, exec_lo, s10
	v_dual_max_num_f32 v2, v2, v2 :: v_dual_max_num_f32 v1, v1, v1
	s_mov_b32 s10, 0
	s_delay_alu instid0(VALU_DEP_1)
	v_max_num_f32_e32 v1, v1, v2
.LBB6_14472:                            ;   in Loop: Header=BB6_12546 Depth=2
	s_and_b32 vcc_lo, exec_lo, s10
	s_cbranch_vccz .LBB6_14494
; %bb.14473:                            ;   in Loop: Header=BB6_12546 Depth=2
	v_dual_mov_b32 v2, 0 :: v_dual_mov_b32 v1, 0
	s_and_saveexec_b32 s10, s7
	s_cbranch_execz .LBB6_14483
; %bb.14474:                            ;   in Loop: Header=BB6_12546 Depth=2
	v_bfrev_b32_e32 v1, 1
	s_mov_b32 s7, exec_lo
	v_cmpx_ne_u16_e32 0xff80, v32
	s_cbranch_execz .LBB6_14482
; %bb.14475:                            ;   in Loop: Header=BB6_12546 Depth=2
	v_and_b32_e32 v1, 0x7c, v0
	v_and_b32_e32 v3, 3, v0
	s_delay_alu instid0(VALU_DEP_2) | instskip(SKIP_1) | instid1(SALU_CYCLE_1)
	v_cmp_ne_u32_e32 vcc_lo, 0x7c, v1
                                        ; implicit-def: $vgpr1
	s_and_saveexec_b32 s41, vcc_lo
	s_xor_b32 s41, exec_lo, s41
	s_cbranch_execz .LBB6_14479
; %bb.14476:                            ;   in Loop: Header=BB6_12546 Depth=2
	v_bfe_u32 v0, v0, 2, 5
	s_mov_b32 s42, exec_lo
	s_delay_alu instid0(VALU_DEP_1)
	v_cmpx_eq_u32_e32 0, v0
	s_cbranch_execz .LBB6_14478
; %bb.14477:                            ;   in Loop: Header=BB6_12546 Depth=2
	v_clz_i32_u32_e32 v0, v3
	s_delay_alu instid0(VALU_DEP_1) | instskip(SKIP_1) | instid1(VALU_DEP_2)
	v_min_u32_e32 v0, 32, v0
	v_mov_b32_e32 v33, v25
	v_subrev_nc_u32_e32 v1, 29, v0
	v_sub_nc_u32_e32 v0, 30, v0
	s_delay_alu instid0(VALU_DEP_2) | instskip(NEXT) | instid1(VALU_DEP_1)
	v_lshlrev_b64_e32 v[36:37], v1, v[32:33]
	v_and_b32_e32 v3, 3, v36
.LBB6_14478:                            ;   in Loop: Header=BB6_12546 Depth=2
	s_or_b32 exec_lo, exec_lo, s42
	v_bfe_i32 v1, v32, 0, 16
                                        ; implicit-def: $vgpr32
	s_delay_alu instid0(VALU_DEP_1) | instskip(NEXT) | instid1(VALU_DEP_1)
	v_and_b32_e32 v1, 0x80000000, v1
	v_lshl_add_u32 v0, v0, 23, v1
	s_delay_alu instid0(VALU_DEP_1) | instskip(NEXT) | instid1(VALU_DEP_1)
	v_lshl_or_b32 v0, v3, 21, v0
                                        ; implicit-def: $vgpr3
	v_add_nc_u32_e32 v1, 0x38000000, v0
.LBB6_14479:                            ;   in Loop: Header=BB6_12546 Depth=2
	s_and_not1_saveexec_b32 s41, s41
; %bb.14480:                            ;   in Loop: Header=BB6_12546 Depth=2
	v_cmp_lt_i16_e32 vcc_lo, -1, v32
	v_cndmask_b32_e32 v0, 0xff800000, v40, vcc_lo
	v_cmp_eq_u32_e32 vcc_lo, 0, v3
	s_delay_alu instid0(VALU_DEP_2)
	v_cndmask_b32_e32 v1, 0x7f800001, v0, vcc_lo
; %bb.14481:                            ;   in Loop: Header=BB6_12546 Depth=2
	s_or_b32 exec_lo, exec_lo, s41
.LBB6_14482:                            ;   in Loop: Header=BB6_12546 Depth=2
	s_delay_alu instid0(SALU_CYCLE_1)
	s_or_b32 exec_lo, exec_lo, s7
.LBB6_14483:                            ;   in Loop: Header=BB6_12546 Depth=2
	s_delay_alu instid0(SALU_CYCLE_1) | instskip(NEXT) | instid1(SALU_CYCLE_1)
	s_or_b32 exec_lo, exec_lo, s10
	s_mov_b32 s7, exec_lo
	v_cmpx_ne_u16_e32 0, v98
	s_cbranch_execz .LBB6_14493
; %bb.14484:                            ;   in Loop: Header=BB6_12546 Depth=2
	v_bfrev_b32_e32 v2, 1
	s_mov_b32 s10, exec_lo
	v_cmpx_ne_u16_e32 0xff80, v98
	s_cbranch_execz .LBB6_14492
; %bb.14485:                            ;   in Loop: Header=BB6_12546 Depth=2
	v_and_b32_e32 v2, 0x7c, v98
	v_and_b32_e32 v0, 3, v98
	s_delay_alu instid0(VALU_DEP_2) | instskip(SKIP_1) | instid1(SALU_CYCLE_1)
	v_cmp_ne_u32_e32 vcc_lo, 0x7c, v2
                                        ; implicit-def: $vgpr2
	s_and_saveexec_b32 s41, vcc_lo
	s_xor_b32 s41, exec_lo, s41
	s_cbranch_execz .LBB6_14489
; %bb.14486:                            ;   in Loop: Header=BB6_12546 Depth=2
	v_and_b32_e32 v2, 0xff, v98
	s_mov_b32 s42, exec_lo
	s_delay_alu instid0(VALU_DEP_1) | instskip(NEXT) | instid1(VALU_DEP_1)
	v_bfe_u32 v2, v2, 2, 5
	v_cmpx_eq_u32_e32 0, v2
	s_cbranch_execz .LBB6_14488
; %bb.14487:                            ;   in Loop: Header=BB6_12546 Depth=2
	v_clz_i32_u32_e32 v0, v0
	s_delay_alu instid0(VALU_DEP_1) | instskip(SKIP_1) | instid1(VALU_DEP_2)
	v_min_u32_e32 v0, 32, v0
	v_mov_b32_e32 v99, v25
	v_subrev_nc_u32_e32 v2, 29, v0
	s_delay_alu instid0(VALU_DEP_1) | instskip(SKIP_1) | instid1(VALU_DEP_2)
	v_lshlrev_b64_e32 v[32:33], v2, v[98:99]
	v_sub_nc_u32_e32 v2, 30, v0
	v_and_b32_e32 v0, 3, v32
.LBB6_14488:                            ;   in Loop: Header=BB6_12546 Depth=2
	s_or_b32 exec_lo, exec_lo, s42
	v_bfe_i32 v3, v98, 0, 16
                                        ; implicit-def: $vgpr98
	s_delay_alu instid0(VALU_DEP_1) | instskip(NEXT) | instid1(VALU_DEP_1)
	v_and_b32_e32 v3, 0x80000000, v3
	v_lshl_add_u32 v2, v2, 23, v3
	s_delay_alu instid0(VALU_DEP_1) | instskip(NEXT) | instid1(VALU_DEP_1)
	v_lshl_or_b32 v0, v0, 21, v2
	v_add_nc_u32_e32 v2, 0x38000000, v0
                                        ; implicit-def: $vgpr0
.LBB6_14489:                            ;   in Loop: Header=BB6_12546 Depth=2
	s_and_not1_saveexec_b32 s41, s41
; %bb.14490:                            ;   in Loop: Header=BB6_12546 Depth=2
	v_cmp_lt_i16_e32 vcc_lo, -1, v98
	v_cndmask_b32_e32 v2, 0xff800000, v40, vcc_lo
	v_cmp_eq_u32_e32 vcc_lo, 0, v0
	s_delay_alu instid0(VALU_DEP_2)
	v_cndmask_b32_e32 v2, 0x7f800001, v2, vcc_lo
; %bb.14491:                            ;   in Loop: Header=BB6_12546 Depth=2
	s_or_b32 exec_lo, exec_lo, s41
.LBB6_14492:                            ;   in Loop: Header=BB6_12546 Depth=2
	s_delay_alu instid0(SALU_CYCLE_1)
	s_or_b32 exec_lo, exec_lo, s10
.LBB6_14493:                            ;   in Loop: Header=BB6_12546 Depth=2
	s_delay_alu instid0(SALU_CYCLE_1) | instskip(NEXT) | instid1(VALU_DEP_1)
	s_or_b32 exec_lo, exec_lo, s7
	v_dual_max_num_f32 v0, v2, v2 :: v_dual_max_num_f32 v1, v1, v1
	s_delay_alu instid0(VALU_DEP_1)
	v_min_num_f32_e32 v1, v1, v0
.LBB6_14494:                            ;   in Loop: Header=BB6_12546 Depth=2
	s_delay_alu instid0(VALU_DEP_1) | instskip(SKIP_3) | instid1(VALU_DEP_2)
	v_and_b32_e32 v2, 0x7f800000, v1
	v_mov_b32_e32 v3, v25
	v_and_b32_e32 v24, 0x7fffff, v1
                                        ; implicit-def: $vgpr32
	s_mov_b32 s7, exec_lo
	v_cmpx_ne_u64_e32 0x7f800000, v[2:3]
	s_xor_b32 s10, exec_lo, s7
	s_cbranch_execz .LBB6_14512
; %bb.14495:                            ;   in Loop: Header=BB6_12546 Depth=2
	v_dual_mov_b32 v3, v25 :: v_dual_lshrrev_b32 v0, 24, v1
	v_and_b32_e32 v2, 0x7fffffff, v1
                                        ; implicit-def: $vgpr32
	s_mov_b32 s7, exec_lo
	s_delay_alu instid0(VALU_DEP_2) | instskip(NEXT) | instid1(VALU_DEP_2)
	v_and_b32_e32 v23, 0x80, v0
	v_cmpx_gt_u64_e32 0x47600001, v[2:3]
	s_xor_b32 s41, exec_lo, s7
	s_cbranch_execz .LBB6_14509
; %bb.14496:                            ;   in Loop: Header=BB6_12546 Depth=2
	v_mov_b32_e32 v32, 0
	s_mov_b32 s42, exec_lo
	v_cmpx_ne_u32_e32 0, v1
	s_cbranch_execz .LBB6_14508
; %bb.14497:                            ;   in Loop: Header=BB6_12546 Depth=2
	v_bfe_u32 v27, v1, 23, 8
	v_or_b32_e32 v2, 0x800000, v24
	s_delay_alu instid0(VALU_DEP_2) | instskip(SKIP_1) | instid1(VALU_DEP_2)
	v_sub_nc_u32_e32 v0, 0x71, v27
	v_cmp_gt_u32_e32 vcc_lo, 0x72, v27
	v_cndmask_b32_e32 v0, 0, v0, vcc_lo
	v_cmp_eq_u32_e32 vcc_lo, 0, v27
	s_delay_alu instid0(VALU_DEP_2) | instskip(SKIP_1) | instid1(VALU_DEP_2)
	v_cndmask_b32_e64 v32, v0, 0x70, vcc_lo
	v_cndmask_b32_e32 v24, v2, v24, vcc_lo
	v_dual_add_nc_u32 v0, 21, v32 :: v_dual_add_nc_u32 v3, 20, v32
	s_delay_alu instid0(VALU_DEP_1) | instskip(NEXT) | instid1(VALU_DEP_2)
	v_lshlrev_b64_e64 v[0:1], v0, -1
	v_lshlrev_b64_e64 v[2:3], v3, 1
	s_delay_alu instid0(VALU_DEP_2) | instskip(NEXT) | instid1(VALU_DEP_3)
	v_bfi_b32 v37, v1, 0, 0
	v_bfi_b32 v36, v0, 0, v24
	v_lshrrev_b64 v[0:1], v32, v[24:25]
	s_delay_alu instid0(VALU_DEP_2) | instskip(NEXT) | instid1(VALU_DEP_2)
	v_cmp_eq_u64_e64 s7, v[36:37], v[2:3]
	v_mov_b64_e32 v[2:3], v[0:1]
	s_and_saveexec_b32 s43, s7
; %bb.14498:                            ;   in Loop: Header=BB6_12546 Depth=2
	v_bfe_u32 v24, v0, 21, 1
	s_delay_alu instid0(VALU_DEP_1) | instskip(NEXT) | instid1(VALU_DEP_1)
	v_add_nc_u64_e32 v[2:3], v[0:1], v[24:25]
	v_add_nc_u64_e32 v[2:3], -1, v[2:3]
; %bb.14499:                            ;   in Loop: Header=BB6_12546 Depth=2
	s_or_b32 exec_lo, exec_lo, s43
	v_add_nc_u32_e32 v1, 0xffffff81, v27
	v_lshrrev_b32_e32 v3, 23, v0
	s_mov_b32 s7, exec_lo
	s_delay_alu instid0(VALU_DEP_2) | instskip(NEXT) | instid1(VALU_DEP_1)
	v_cndmask_b32_e64 v1, v1, 0xffffff82, vcc_lo
	v_add3_u32 v3, v32, v1, v3
	v_and_b32_e32 v1, 0x1fffff, v2
                                        ; implicit-def: $vgpr2
	s_delay_alu instid0(VALU_DEP_1) | instskip(NEXT) | instid1(VALU_DEP_1)
	v_dual_add_nc_u32 v27, 14, v3 :: v_dual_add_nc_u32 v24, v1, v0
                                        ; implicit-def: $vgpr0_vgpr1
	v_cmpx_ne_u32_e32 0, v27
	s_xor_b32 s7, exec_lo, s7
; %bb.14500:                            ;   in Loop: Header=BB6_12546 Depth=2
	s_delay_alu instid0(VALU_DEP_2) | instskip(SKIP_1) | instid1(VALU_DEP_1)
	v_cmp_lt_u64_e32 vcc_lo, 0xffffff, v[24:25]
	v_add_nc_u32_e32 v0, 15, v3
	v_cndmask_b32_e32 v2, v27, v0, vcc_lo
	v_cndmask_b32_e64 v0, 0, 1, vcc_lo
	s_delay_alu instid0(VALU_DEP_1)
	v_lshrrev_b64 v[0:1], v0, v[24:25]
; %bb.14501:                            ;   in Loop: Header=BB6_12546 Depth=2
	s_and_not1_saveexec_b32 s7, s7
; %bb.14502:                            ;   in Loop: Header=BB6_12546 Depth=2
	v_mov_b64_e32 v[0:1], v[24:25]
	v_bfe_u32 v2, v24, 23, 1
; %bb.14503:                            ;   in Loop: Header=BB6_12546 Depth=2
	s_or_b32 exec_lo, exec_lo, s7
	s_delay_alu instid0(VALU_DEP_2) | instskip(NEXT) | instid1(VALU_DEP_2)
	v_lshrrev_b64 v[0:1], 21, v[0:1]
	v_cmp_gt_i32_e32 vcc_lo, 32, v2
	v_cmp_ne_u32_e64 s7, 0, v2
                                        ; implicit-def: $vgpr32
	s_delay_alu instid0(VALU_DEP_3) | instskip(NEXT) | instid1(VALU_DEP_1)
	v_dual_cndmask_b32 v1, 0, v1 :: v_dual_cndmask_b32 v0, 3, v0
	v_cmp_ne_u64_e32 vcc_lo, 0, v[0:1]
	s_or_b32 s7, s7, vcc_lo
	s_delay_alu instid0(SALU_CYCLE_1) | instskip(NEXT) | instid1(SALU_CYCLE_1)
	s_and_saveexec_b32 s43, s7
	s_xor_b32 s7, exec_lo, s43
; %bb.14504:                            ;   in Loop: Header=BB6_12546 Depth=2
	v_min_i32_e32 v1, 31, v2
	s_delay_alu instid0(VALU_DEP_1) | instskip(NEXT) | instid1(VALU_DEP_1)
	v_lshl_or_b32 v1, v1, 2, v23
                                        ; implicit-def: $vgpr23
	v_and_or_b32 v32, v0, 3, v1
; %bb.14505:                            ;   in Loop: Header=BB6_12546 Depth=2
	s_and_not1_saveexec_b32 s7, s7
; %bb.14506:                            ;   in Loop: Header=BB6_12546 Depth=2
	v_mov_b32_e32 v32, v23
; %bb.14507:                            ;   in Loop: Header=BB6_12546 Depth=2
	s_or_b32 exec_lo, exec_lo, s7
.LBB6_14508:                            ;   in Loop: Header=BB6_12546 Depth=2
	s_delay_alu instid0(SALU_CYCLE_1)
	s_or_b32 exec_lo, exec_lo, s42
                                        ; implicit-def: $vgpr23
.LBB6_14509:                            ;   in Loop: Header=BB6_12546 Depth=2
	s_and_not1_saveexec_b32 s7, s41
; %bb.14510:                            ;   in Loop: Header=BB6_12546 Depth=2
	v_or_b32_e32 v32, 0x7b, v23
; %bb.14511:                            ;   in Loop: Header=BB6_12546 Depth=2
	s_or_b32 exec_lo, exec_lo, s7
                                        ; implicit-def: $vgpr1
.LBB6_14512:                            ;   in Loop: Header=BB6_12546 Depth=2
	s_and_not1_saveexec_b32 s7, s10
	s_cbranch_execz .LBB6_14518
; %bb.14513:                            ;   in Loop: Header=BB6_12546 Depth=2
	s_mov_b32 s10, exec_lo
                                        ; implicit-def: $vgpr32
	v_cmpx_ne_u64_e32 0, v[24:25]
	s_xor_b32 s10, exec_lo, s10
; %bb.14514:                            ;   in Loop: Header=BB6_12546 Depth=2
	v_lshrrev_b32_e32 v0, 24, v1
                                        ; implicit-def: $vgpr1
	s_delay_alu instid0(VALU_DEP_1)
	v_or_b32_e32 v32, 0x7f, v0
; %bb.14515:                            ;   in Loop: Header=BB6_12546 Depth=2
	s_and_not1_saveexec_b32 s10, s10
; %bb.14516:                            ;   in Loop: Header=BB6_12546 Depth=2
	v_cmp_lt_i32_e32 vcc_lo, -1, v1
	v_cndmask_b32_e64 v32, -4, 0x7c, vcc_lo
; %bb.14517:                            ;   in Loop: Header=BB6_12546 Depth=2
	s_or_b32 exec_lo, exec_lo, s10
.LBB6_14518:                            ;   in Loop: Header=BB6_12546 Depth=2
	s_delay_alu instid0(SALU_CYCLE_1)
	s_or_b32 exec_lo, exec_lo, s7
	v_and_b32_e32 v0, 0xff, v26
	v_cmp_ne_u16_e64 s7, 0, v26
	s_and_not1_b32 vcc_lo, exec_lo, s14
	s_mov_b32 s10, -1
                                        ; implicit-def: $vgpr1
	s_cbranch_vccnz .LBB6_14540
; %bb.14519:                            ;   in Loop: Header=BB6_12546 Depth=2
	v_dual_mov_b32 v2, 0 :: v_dual_mov_b32 v1, 0
	s_and_saveexec_b32 s10, s7
	s_cbranch_execz .LBB6_14529
; %bb.14520:                            ;   in Loop: Header=BB6_12546 Depth=2
	v_bfrev_b32_e32 v1, 1
	s_mov_b32 s41, exec_lo
	v_cmpx_ne_u16_e32 0xff80, v26
	s_cbranch_execz .LBB6_14528
; %bb.14521:                            ;   in Loop: Header=BB6_12546 Depth=2
	v_and_b32_e32 v1, 0x7c, v0
	v_and_b32_e32 v3, 3, v0
	s_delay_alu instid0(VALU_DEP_2) | instskip(SKIP_1) | instid1(SALU_CYCLE_1)
	v_cmp_ne_u32_e32 vcc_lo, 0x7c, v1
                                        ; implicit-def: $vgpr1
	s_and_saveexec_b32 s42, vcc_lo
	s_xor_b32 s42, exec_lo, s42
	s_cbranch_execz .LBB6_14525
; %bb.14522:                            ;   in Loop: Header=BB6_12546 Depth=2
	v_bfe_u32 v1, v0, 2, 5
	s_mov_b32 s43, exec_lo
	s_delay_alu instid0(VALU_DEP_1)
	v_cmpx_eq_u32_e32 0, v1
	s_cbranch_execz .LBB6_14524
; %bb.14523:                            ;   in Loop: Header=BB6_12546 Depth=2
	v_clz_i32_u32_e32 v1, v3
	s_delay_alu instid0(VALU_DEP_1) | instskip(SKIP_1) | instid1(VALU_DEP_2)
	v_min_u32_e32 v1, 32, v1
	v_mov_b32_e32 v27, v25
	v_subrev_nc_u32_e32 v3, 29, v1
	v_sub_nc_u32_e32 v1, 30, v1
	s_delay_alu instid0(VALU_DEP_2) | instskip(NEXT) | instid1(VALU_DEP_1)
	v_lshlrev_b64_e32 v[36:37], v3, v[26:27]
	v_and_b32_e32 v3, 3, v36
.LBB6_14524:                            ;   in Loop: Header=BB6_12546 Depth=2
	s_or_b32 exec_lo, exec_lo, s43
	v_bfe_i32 v23, v26, 0, 16
	s_delay_alu instid0(VALU_DEP_1) | instskip(NEXT) | instid1(VALU_DEP_1)
	v_and_b32_e32 v23, 0x80000000, v23
	v_lshl_add_u32 v1, v1, 23, v23
	s_delay_alu instid0(VALU_DEP_1) | instskip(NEXT) | instid1(VALU_DEP_1)
	v_lshl_or_b32 v1, v3, 21, v1
                                        ; implicit-def: $vgpr3
	v_add_nc_u32_e32 v1, 0x38000000, v1
.LBB6_14525:                            ;   in Loop: Header=BB6_12546 Depth=2
	s_and_not1_saveexec_b32 s42, s42
; %bb.14526:                            ;   in Loop: Header=BB6_12546 Depth=2
	v_cmp_lt_i16_e32 vcc_lo, -1, v26
	v_cndmask_b32_e32 v1, 0xff800000, v40, vcc_lo
	v_cmp_eq_u32_e32 vcc_lo, 0, v3
	s_delay_alu instid0(VALU_DEP_2)
	v_cndmask_b32_e32 v1, 0x7f800001, v1, vcc_lo
; %bb.14527:                            ;   in Loop: Header=BB6_12546 Depth=2
	s_or_b32 exec_lo, exec_lo, s42
.LBB6_14528:                            ;   in Loop: Header=BB6_12546 Depth=2
	s_delay_alu instid0(SALU_CYCLE_1)
	s_or_b32 exec_lo, exec_lo, s41
.LBB6_14529:                            ;   in Loop: Header=BB6_12546 Depth=2
	s_delay_alu instid0(SALU_CYCLE_1) | instskip(NEXT) | instid1(SALU_CYCLE_1)
	s_or_b32 exec_lo, exec_lo, s10
	s_mov_b32 s10, exec_lo
	v_cmpx_ne_u16_e32 0, v86
	s_cbranch_execz .LBB6_14539
; %bb.14530:                            ;   in Loop: Header=BB6_12546 Depth=2
	v_bfrev_b32_e32 v2, 1
	s_mov_b32 s41, exec_lo
	v_cmpx_ne_u16_e32 0xff80, v86
	s_cbranch_execz .LBB6_14538
; %bb.14531:                            ;   in Loop: Header=BB6_12546 Depth=2
	v_and_b32_e32 v2, 0x7c, v86
	v_and_b32_e32 v3, 3, v86
	s_delay_alu instid0(VALU_DEP_2) | instskip(SKIP_1) | instid1(SALU_CYCLE_1)
	v_cmp_ne_u32_e32 vcc_lo, 0x7c, v2
                                        ; implicit-def: $vgpr2
	s_and_saveexec_b32 s42, vcc_lo
	s_xor_b32 s42, exec_lo, s42
	s_cbranch_execz .LBB6_14535
; %bb.14532:                            ;   in Loop: Header=BB6_12546 Depth=2
	v_and_b32_e32 v2, 0xff, v86
	s_mov_b32 s43, exec_lo
	s_delay_alu instid0(VALU_DEP_1) | instskip(NEXT) | instid1(VALU_DEP_1)
	v_bfe_u32 v2, v2, 2, 5
	v_cmpx_eq_u32_e32 0, v2
	s_cbranch_execz .LBB6_14534
; %bb.14533:                            ;   in Loop: Header=BB6_12546 Depth=2
	v_clz_i32_u32_e32 v2, v3
	s_delay_alu instid0(VALU_DEP_1) | instskip(SKIP_1) | instid1(VALU_DEP_2)
	v_min_u32_e32 v2, 32, v2
	v_mov_b32_e32 v87, v25
	v_subrev_nc_u32_e32 v3, 29, v2
	v_sub_nc_u32_e32 v2, 30, v2
	s_delay_alu instid0(VALU_DEP_2) | instskip(NEXT) | instid1(VALU_DEP_1)
	v_lshlrev_b64_e32 v[36:37], v3, v[86:87]
	v_and_b32_e32 v3, 3, v36
.LBB6_14534:                            ;   in Loop: Header=BB6_12546 Depth=2
	s_or_b32 exec_lo, exec_lo, s43
	v_bfe_i32 v23, v86, 0, 16
	s_delay_alu instid0(VALU_DEP_1) | instskip(NEXT) | instid1(VALU_DEP_1)
	v_and_b32_e32 v23, 0x80000000, v23
	v_lshl_add_u32 v2, v2, 23, v23
	s_delay_alu instid0(VALU_DEP_1) | instskip(NEXT) | instid1(VALU_DEP_1)
	v_lshl_or_b32 v2, v3, 21, v2
                                        ; implicit-def: $vgpr3
	v_add_nc_u32_e32 v2, 0x38000000, v2
.LBB6_14535:                            ;   in Loop: Header=BB6_12546 Depth=2
	s_and_not1_saveexec_b32 s42, s42
; %bb.14536:                            ;   in Loop: Header=BB6_12546 Depth=2
	v_cmp_lt_i16_e32 vcc_lo, -1, v86
	v_cndmask_b32_e32 v2, 0xff800000, v40, vcc_lo
	v_cmp_eq_u32_e32 vcc_lo, 0, v3
	s_delay_alu instid0(VALU_DEP_2)
	v_cndmask_b32_e32 v2, 0x7f800001, v2, vcc_lo
; %bb.14537:                            ;   in Loop: Header=BB6_12546 Depth=2
	s_or_b32 exec_lo, exec_lo, s42
.LBB6_14538:                            ;   in Loop: Header=BB6_12546 Depth=2
	s_delay_alu instid0(SALU_CYCLE_1)
	s_or_b32 exec_lo, exec_lo, s41
.LBB6_14539:                            ;   in Loop: Header=BB6_12546 Depth=2
	s_delay_alu instid0(SALU_CYCLE_1) | instskip(NEXT) | instid1(VALU_DEP_1)
	s_or_b32 exec_lo, exec_lo, s10
	v_dual_max_num_f32 v2, v2, v2 :: v_dual_max_num_f32 v1, v1, v1
	s_mov_b32 s10, 0
	s_delay_alu instid0(VALU_DEP_1)
	v_max_num_f32_e32 v1, v1, v2
.LBB6_14540:                            ;   in Loop: Header=BB6_12546 Depth=2
	s_and_b32 vcc_lo, exec_lo, s10
	s_cbranch_vccz .LBB6_14562
; %bb.14541:                            ;   in Loop: Header=BB6_12546 Depth=2
	v_dual_mov_b32 v2, 0 :: v_dual_mov_b32 v1, 0
	s_and_saveexec_b32 s10, s7
	s_cbranch_execz .LBB6_14551
; %bb.14542:                            ;   in Loop: Header=BB6_12546 Depth=2
	v_bfrev_b32_e32 v1, 1
	s_mov_b32 s7, exec_lo
	v_cmpx_ne_u16_e32 0xff80, v26
	s_cbranch_execz .LBB6_14550
; %bb.14543:                            ;   in Loop: Header=BB6_12546 Depth=2
	v_and_b32_e32 v1, 0x7c, v0
	v_and_b32_e32 v3, 3, v0
	s_delay_alu instid0(VALU_DEP_2) | instskip(SKIP_1) | instid1(SALU_CYCLE_1)
	v_cmp_ne_u32_e32 vcc_lo, 0x7c, v1
                                        ; implicit-def: $vgpr1
	s_and_saveexec_b32 s41, vcc_lo
	s_xor_b32 s41, exec_lo, s41
	s_cbranch_execz .LBB6_14547
; %bb.14544:                            ;   in Loop: Header=BB6_12546 Depth=2
	v_bfe_u32 v0, v0, 2, 5
	s_mov_b32 s42, exec_lo
	s_delay_alu instid0(VALU_DEP_1)
	v_cmpx_eq_u32_e32 0, v0
	s_cbranch_execz .LBB6_14546
; %bb.14545:                            ;   in Loop: Header=BB6_12546 Depth=2
	v_clz_i32_u32_e32 v0, v3
	s_delay_alu instid0(VALU_DEP_1) | instskip(SKIP_1) | instid1(VALU_DEP_2)
	v_min_u32_e32 v0, 32, v0
	v_mov_b32_e32 v27, v25
	v_subrev_nc_u32_e32 v1, 29, v0
	v_sub_nc_u32_e32 v0, 30, v0
	s_delay_alu instid0(VALU_DEP_2) | instskip(NEXT) | instid1(VALU_DEP_1)
	v_lshlrev_b64_e32 v[36:37], v1, v[26:27]
	v_and_b32_e32 v3, 3, v36
.LBB6_14546:                            ;   in Loop: Header=BB6_12546 Depth=2
	s_or_b32 exec_lo, exec_lo, s42
	v_bfe_i32 v1, v26, 0, 16
                                        ; implicit-def: $vgpr26
	s_delay_alu instid0(VALU_DEP_1) | instskip(NEXT) | instid1(VALU_DEP_1)
	v_and_b32_e32 v1, 0x80000000, v1
	v_lshl_add_u32 v0, v0, 23, v1
	s_delay_alu instid0(VALU_DEP_1) | instskip(NEXT) | instid1(VALU_DEP_1)
	v_lshl_or_b32 v0, v3, 21, v0
                                        ; implicit-def: $vgpr3
	v_add_nc_u32_e32 v1, 0x38000000, v0
.LBB6_14547:                            ;   in Loop: Header=BB6_12546 Depth=2
	s_and_not1_saveexec_b32 s41, s41
; %bb.14548:                            ;   in Loop: Header=BB6_12546 Depth=2
	v_cmp_lt_i16_e32 vcc_lo, -1, v26
	v_cndmask_b32_e32 v0, 0xff800000, v40, vcc_lo
	v_cmp_eq_u32_e32 vcc_lo, 0, v3
	s_delay_alu instid0(VALU_DEP_2)
	v_cndmask_b32_e32 v1, 0x7f800001, v0, vcc_lo
; %bb.14549:                            ;   in Loop: Header=BB6_12546 Depth=2
	s_or_b32 exec_lo, exec_lo, s41
.LBB6_14550:                            ;   in Loop: Header=BB6_12546 Depth=2
	s_delay_alu instid0(SALU_CYCLE_1)
	s_or_b32 exec_lo, exec_lo, s7
.LBB6_14551:                            ;   in Loop: Header=BB6_12546 Depth=2
	s_delay_alu instid0(SALU_CYCLE_1) | instskip(NEXT) | instid1(SALU_CYCLE_1)
	s_or_b32 exec_lo, exec_lo, s10
	s_mov_b32 s7, exec_lo
	v_cmpx_ne_u16_e32 0, v86
	s_cbranch_execz .LBB6_14561
; %bb.14552:                            ;   in Loop: Header=BB6_12546 Depth=2
	v_bfrev_b32_e32 v2, 1
	s_mov_b32 s10, exec_lo
	v_cmpx_ne_u16_e32 0xff80, v86
	s_cbranch_execz .LBB6_14560
; %bb.14553:                            ;   in Loop: Header=BB6_12546 Depth=2
	v_and_b32_e32 v2, 0x7c, v86
	v_and_b32_e32 v0, 3, v86
	s_delay_alu instid0(VALU_DEP_2) | instskip(SKIP_1) | instid1(SALU_CYCLE_1)
	v_cmp_ne_u32_e32 vcc_lo, 0x7c, v2
                                        ; implicit-def: $vgpr2
	s_and_saveexec_b32 s41, vcc_lo
	s_xor_b32 s41, exec_lo, s41
	s_cbranch_execz .LBB6_14557
; %bb.14554:                            ;   in Loop: Header=BB6_12546 Depth=2
	v_and_b32_e32 v2, 0xff, v86
	s_mov_b32 s42, exec_lo
	s_delay_alu instid0(VALU_DEP_1) | instskip(NEXT) | instid1(VALU_DEP_1)
	v_bfe_u32 v2, v2, 2, 5
	v_cmpx_eq_u32_e32 0, v2
; %bb.14555:                            ;   in Loop: Header=BB6_12546 Depth=2
	v_clz_i32_u32_e32 v0, v0
	s_delay_alu instid0(VALU_DEP_1) | instskip(SKIP_1) | instid1(VALU_DEP_2)
	v_min_u32_e32 v0, 32, v0
	v_mov_b32_e32 v87, v25
	v_subrev_nc_u32_e32 v2, 29, v0
	s_delay_alu instid0(VALU_DEP_1) | instskip(NEXT) | instid1(VALU_DEP_1)
	v_lshlrev_b64_e32 v[26:27], v2, v[86:87]
	v_dual_sub_nc_u32 v2, 30, v0 :: v_dual_bitop2_b32 v0, 3, v26 bitop3:0x40
; %bb.14556:                            ;   in Loop: Header=BB6_12546 Depth=2
	s_or_b32 exec_lo, exec_lo, s42
	v_bfe_i32 v3, v86, 0, 16
                                        ; implicit-def: $vgpr86
	s_delay_alu instid0(VALU_DEP_1) | instskip(NEXT) | instid1(VALU_DEP_1)
	v_and_b32_e32 v3, 0x80000000, v3
	v_lshl_add_u32 v2, v2, 23, v3
	s_delay_alu instid0(VALU_DEP_1) | instskip(NEXT) | instid1(VALU_DEP_1)
	v_lshl_or_b32 v0, v0, 21, v2
	v_add_nc_u32_e32 v2, 0x38000000, v0
                                        ; implicit-def: $vgpr0
.LBB6_14557:                            ;   in Loop: Header=BB6_12546 Depth=2
	s_and_not1_saveexec_b32 s41, s41
; %bb.14558:                            ;   in Loop: Header=BB6_12546 Depth=2
	v_cmp_lt_i16_e32 vcc_lo, -1, v86
	v_cndmask_b32_e32 v2, 0xff800000, v40, vcc_lo
	v_cmp_eq_u32_e32 vcc_lo, 0, v0
	s_delay_alu instid0(VALU_DEP_2)
	v_cndmask_b32_e32 v2, 0x7f800001, v2, vcc_lo
; %bb.14559:                            ;   in Loop: Header=BB6_12546 Depth=2
	s_or_b32 exec_lo, exec_lo, s41
.LBB6_14560:                            ;   in Loop: Header=BB6_12546 Depth=2
	s_delay_alu instid0(SALU_CYCLE_1)
	s_or_b32 exec_lo, exec_lo, s10
.LBB6_14561:                            ;   in Loop: Header=BB6_12546 Depth=2
	s_delay_alu instid0(SALU_CYCLE_1) | instskip(NEXT) | instid1(VALU_DEP_1)
	s_or_b32 exec_lo, exec_lo, s7
	v_dual_max_num_f32 v0, v2, v2 :: v_dual_max_num_f32 v1, v1, v1
	s_delay_alu instid0(VALU_DEP_1)
	v_min_num_f32_e32 v1, v1, v0
.LBB6_14562:                            ;   in Loop: Header=BB6_12546 Depth=2
	s_delay_alu instid0(VALU_DEP_1) | instskip(SKIP_3) | instid1(VALU_DEP_2)
	v_and_b32_e32 v2, 0x7f800000, v1
	v_mov_b32_e32 v3, v25
	v_and_b32_e32 v24, 0x7fffff, v1
                                        ; implicit-def: $vgpr26
	s_mov_b32 s7, exec_lo
	v_cmpx_ne_u64_e32 0x7f800000, v[2:3]
	s_xor_b32 s10, exec_lo, s7
	s_cbranch_execz .LBB6_14580
; %bb.14563:                            ;   in Loop: Header=BB6_12546 Depth=2
	v_dual_mov_b32 v3, v25 :: v_dual_lshrrev_b32 v0, 24, v1
	v_and_b32_e32 v2, 0x7fffffff, v1
                                        ; implicit-def: $vgpr26
	s_mov_b32 s7, exec_lo
	s_delay_alu instid0(VALU_DEP_2) | instskip(NEXT) | instid1(VALU_DEP_2)
	v_and_b32_e32 v23, 0x80, v0
	v_cmpx_gt_u64_e32 0x47600001, v[2:3]
	s_xor_b32 s41, exec_lo, s7
	s_cbranch_execz .LBB6_14577
; %bb.14564:                            ;   in Loop: Header=BB6_12546 Depth=2
	v_mov_b32_e32 v26, 0
	s_mov_b32 s42, exec_lo
	v_cmpx_ne_u32_e32 0, v1
	s_cbranch_execz .LBB6_14576
; %bb.14565:                            ;   in Loop: Header=BB6_12546 Depth=2
	v_bfe_u32 v26, v1, 23, 8
	v_or_b32_e32 v2, 0x800000, v24
	s_delay_alu instid0(VALU_DEP_2) | instskip(SKIP_1) | instid1(VALU_DEP_2)
	v_sub_nc_u32_e32 v0, 0x71, v26
	v_cmp_gt_u32_e32 vcc_lo, 0x72, v26
	v_cndmask_b32_e32 v0, 0, v0, vcc_lo
	v_cmp_eq_u32_e32 vcc_lo, 0, v26
	s_delay_alu instid0(VALU_DEP_2) | instskip(NEXT) | instid1(VALU_DEP_1)
	v_cndmask_b32_e64 v27, v0, 0x70, vcc_lo
	v_dual_cndmask_b32 v24, v2, v24, vcc_lo :: v_dual_add_nc_u32 v0, 21, v27
	v_add_nc_u32_e32 v3, 20, v27
	s_delay_alu instid0(VALU_DEP_2) | instskip(NEXT) | instid1(VALU_DEP_2)
	v_lshlrev_b64_e64 v[0:1], v0, -1
	v_lshlrev_b64_e64 v[2:3], v3, 1
	s_delay_alu instid0(VALU_DEP_2) | instskip(NEXT) | instid1(VALU_DEP_3)
	v_bfi_b32 v37, v1, 0, 0
	v_bfi_b32 v36, v0, 0, v24
	v_lshrrev_b64 v[0:1], v27, v[24:25]
	s_delay_alu instid0(VALU_DEP_2) | instskip(NEXT) | instid1(VALU_DEP_2)
	v_cmp_eq_u64_e64 s7, v[36:37], v[2:3]
	v_mov_b64_e32 v[2:3], v[0:1]
	s_and_saveexec_b32 s43, s7
; %bb.14566:                            ;   in Loop: Header=BB6_12546 Depth=2
	v_bfe_u32 v24, v0, 21, 1
	s_delay_alu instid0(VALU_DEP_1) | instskip(NEXT) | instid1(VALU_DEP_1)
	v_add_nc_u64_e32 v[2:3], v[0:1], v[24:25]
	v_add_nc_u64_e32 v[2:3], -1, v[2:3]
; %bb.14567:                            ;   in Loop: Header=BB6_12546 Depth=2
	s_or_b32 exec_lo, exec_lo, s43
	v_add_nc_u32_e32 v1, 0xffffff81, v26
	v_lshrrev_b32_e32 v3, 23, v0
	s_mov_b32 s7, exec_lo
	s_delay_alu instid0(VALU_DEP_2) | instskip(NEXT) | instid1(VALU_DEP_1)
	v_cndmask_b32_e64 v1, v1, 0xffffff82, vcc_lo
	v_add3_u32 v3, v27, v1, v3
	v_and_b32_e32 v1, 0x1fffff, v2
                                        ; implicit-def: $vgpr2
	s_delay_alu instid0(VALU_DEP_1) | instskip(NEXT) | instid1(VALU_DEP_1)
	v_dual_add_nc_u32 v26, 14, v3 :: v_dual_add_nc_u32 v24, v1, v0
                                        ; implicit-def: $vgpr0_vgpr1
	v_cmpx_ne_u32_e32 0, v26
	s_xor_b32 s7, exec_lo, s7
; %bb.14568:                            ;   in Loop: Header=BB6_12546 Depth=2
	s_delay_alu instid0(VALU_DEP_2) | instskip(SKIP_1) | instid1(VALU_DEP_1)
	v_cmp_lt_u64_e32 vcc_lo, 0xffffff, v[24:25]
	v_add_nc_u32_e32 v0, 15, v3
	v_cndmask_b32_e32 v2, v26, v0, vcc_lo
	v_cndmask_b32_e64 v0, 0, 1, vcc_lo
	s_delay_alu instid0(VALU_DEP_1)
	v_lshrrev_b64 v[0:1], v0, v[24:25]
; %bb.14569:                            ;   in Loop: Header=BB6_12546 Depth=2
	s_and_not1_saveexec_b32 s7, s7
; %bb.14570:                            ;   in Loop: Header=BB6_12546 Depth=2
	v_mov_b64_e32 v[0:1], v[24:25]
	v_bfe_u32 v2, v24, 23, 1
; %bb.14571:                            ;   in Loop: Header=BB6_12546 Depth=2
	s_or_b32 exec_lo, exec_lo, s7
	s_delay_alu instid0(VALU_DEP_2) | instskip(NEXT) | instid1(VALU_DEP_2)
	v_lshrrev_b64 v[0:1], 21, v[0:1]
	v_cmp_gt_i32_e32 vcc_lo, 32, v2
	v_cmp_ne_u32_e64 s7, 0, v2
                                        ; implicit-def: $vgpr26
	s_delay_alu instid0(VALU_DEP_3) | instskip(NEXT) | instid1(VALU_DEP_1)
	v_dual_cndmask_b32 v1, 0, v1 :: v_dual_cndmask_b32 v0, 3, v0
	v_cmp_ne_u64_e32 vcc_lo, 0, v[0:1]
	s_or_b32 s7, s7, vcc_lo
	s_delay_alu instid0(SALU_CYCLE_1) | instskip(NEXT) | instid1(SALU_CYCLE_1)
	s_and_saveexec_b32 s43, s7
	s_xor_b32 s7, exec_lo, s43
; %bb.14572:                            ;   in Loop: Header=BB6_12546 Depth=2
	v_min_i32_e32 v1, 31, v2
	s_delay_alu instid0(VALU_DEP_1) | instskip(NEXT) | instid1(VALU_DEP_1)
	v_lshl_or_b32 v1, v1, 2, v23
                                        ; implicit-def: $vgpr23
	v_and_or_b32 v26, v0, 3, v1
; %bb.14573:                            ;   in Loop: Header=BB6_12546 Depth=2
	s_and_not1_saveexec_b32 s7, s7
; %bb.14574:                            ;   in Loop: Header=BB6_12546 Depth=2
	v_mov_b32_e32 v26, v23
; %bb.14575:                            ;   in Loop: Header=BB6_12546 Depth=2
	s_or_b32 exec_lo, exec_lo, s7
.LBB6_14576:                            ;   in Loop: Header=BB6_12546 Depth=2
	s_delay_alu instid0(SALU_CYCLE_1)
	s_or_b32 exec_lo, exec_lo, s42
                                        ; implicit-def: $vgpr23
.LBB6_14577:                            ;   in Loop: Header=BB6_12546 Depth=2
	s_and_not1_saveexec_b32 s7, s41
; %bb.14578:                            ;   in Loop: Header=BB6_12546 Depth=2
	v_or_b32_e32 v26, 0x7b, v23
; %bb.14579:                            ;   in Loop: Header=BB6_12546 Depth=2
	s_or_b32 exec_lo, exec_lo, s7
                                        ; implicit-def: $vgpr1
.LBB6_14580:                            ;   in Loop: Header=BB6_12546 Depth=2
	s_and_not1_saveexec_b32 s7, s10
	s_cbranch_execz .LBB6_14586
; %bb.14581:                            ;   in Loop: Header=BB6_12546 Depth=2
	s_mov_b32 s10, exec_lo
                                        ; implicit-def: $vgpr26
	v_cmpx_ne_u64_e32 0, v[24:25]
	s_xor_b32 s10, exec_lo, s10
; %bb.14582:                            ;   in Loop: Header=BB6_12546 Depth=2
	v_lshrrev_b32_e32 v0, 24, v1
                                        ; implicit-def: $vgpr1
	s_delay_alu instid0(VALU_DEP_1)
	v_or_b32_e32 v26, 0x7f, v0
; %bb.14583:                            ;   in Loop: Header=BB6_12546 Depth=2
	s_and_not1_saveexec_b32 s10, s10
; %bb.14584:                            ;   in Loop: Header=BB6_12546 Depth=2
	v_cmp_lt_i32_e32 vcc_lo, -1, v1
	v_cndmask_b32_e64 v26, -4, 0x7c, vcc_lo
; %bb.14585:                            ;   in Loop: Header=BB6_12546 Depth=2
	s_or_b32 exec_lo, exec_lo, s10
.LBB6_14586:                            ;   in Loop: Header=BB6_12546 Depth=2
	s_delay_alu instid0(SALU_CYCLE_1)
	s_or_b32 exec_lo, exec_lo, s7
	v_and_b32_e32 v0, 0xff, v22
	v_cmp_ne_u16_e64 s7, 0, v22
	s_and_not1_b32 vcc_lo, exec_lo, s14
	s_mov_b32 s10, -1
                                        ; implicit-def: $vgpr1
	s_cbranch_vccnz .LBB6_14608
; %bb.14587:                            ;   in Loop: Header=BB6_12546 Depth=2
	v_dual_mov_b32 v2, 0 :: v_dual_mov_b32 v1, 0
	s_and_saveexec_b32 s10, s7
	s_cbranch_execz .LBB6_14597
; %bb.14588:                            ;   in Loop: Header=BB6_12546 Depth=2
	v_bfrev_b32_e32 v1, 1
	s_mov_b32 s41, exec_lo
	v_cmpx_ne_u16_e32 0xff80, v22
	s_cbranch_execz .LBB6_14596
; %bb.14589:                            ;   in Loop: Header=BB6_12546 Depth=2
	v_and_b32_e32 v1, 0x7c, v0
	v_and_b32_e32 v3, 3, v0
	s_delay_alu instid0(VALU_DEP_2) | instskip(SKIP_1) | instid1(SALU_CYCLE_1)
	v_cmp_ne_u32_e32 vcc_lo, 0x7c, v1
                                        ; implicit-def: $vgpr1
	s_and_saveexec_b32 s42, vcc_lo
	s_xor_b32 s42, exec_lo, s42
	s_cbranch_execz .LBB6_14593
; %bb.14590:                            ;   in Loop: Header=BB6_12546 Depth=2
	v_bfe_u32 v1, v0, 2, 5
	s_mov_b32 s43, exec_lo
	s_delay_alu instid0(VALU_DEP_1)
	v_cmpx_eq_u32_e32 0, v1
	s_cbranch_execz .LBB6_14592
; %bb.14591:                            ;   in Loop: Header=BB6_12546 Depth=2
	v_clz_i32_u32_e32 v1, v3
	s_delay_alu instid0(VALU_DEP_1) | instskip(SKIP_1) | instid1(VALU_DEP_2)
	v_min_u32_e32 v1, 32, v1
	v_mov_b32_e32 v23, v25
	v_subrev_nc_u32_e32 v3, 29, v1
	v_sub_nc_u32_e32 v1, 30, v1
	s_delay_alu instid0(VALU_DEP_2) | instskip(NEXT) | instid1(VALU_DEP_1)
	v_lshlrev_b64_e32 v[36:37], v3, v[22:23]
	v_and_b32_e32 v3, 3, v36
.LBB6_14592:                            ;   in Loop: Header=BB6_12546 Depth=2
	s_or_b32 exec_lo, exec_lo, s43
	v_bfe_i32 v23, v22, 0, 16
	s_delay_alu instid0(VALU_DEP_1) | instskip(NEXT) | instid1(VALU_DEP_1)
	v_and_b32_e32 v23, 0x80000000, v23
	v_lshl_add_u32 v1, v1, 23, v23
	s_delay_alu instid0(VALU_DEP_1) | instskip(NEXT) | instid1(VALU_DEP_1)
	v_lshl_or_b32 v1, v3, 21, v1
                                        ; implicit-def: $vgpr3
	v_add_nc_u32_e32 v1, 0x38000000, v1
.LBB6_14593:                            ;   in Loop: Header=BB6_12546 Depth=2
	s_and_not1_saveexec_b32 s42, s42
; %bb.14594:                            ;   in Loop: Header=BB6_12546 Depth=2
	v_cmp_lt_i16_e32 vcc_lo, -1, v22
	v_cndmask_b32_e32 v1, 0xff800000, v40, vcc_lo
	v_cmp_eq_u32_e32 vcc_lo, 0, v3
	s_delay_alu instid0(VALU_DEP_2)
	v_cndmask_b32_e32 v1, 0x7f800001, v1, vcc_lo
; %bb.14595:                            ;   in Loop: Header=BB6_12546 Depth=2
	s_or_b32 exec_lo, exec_lo, s42
.LBB6_14596:                            ;   in Loop: Header=BB6_12546 Depth=2
	s_delay_alu instid0(SALU_CYCLE_1)
	s_or_b32 exec_lo, exec_lo, s41
.LBB6_14597:                            ;   in Loop: Header=BB6_12546 Depth=2
	s_delay_alu instid0(SALU_CYCLE_1) | instskip(NEXT) | instid1(SALU_CYCLE_1)
	s_or_b32 exec_lo, exec_lo, s10
	s_mov_b32 s10, exec_lo
	v_cmpx_ne_u16_e32 0, v82
	s_cbranch_execz .LBB6_14607
; %bb.14598:                            ;   in Loop: Header=BB6_12546 Depth=2
	v_bfrev_b32_e32 v2, 1
	s_mov_b32 s41, exec_lo
	v_cmpx_ne_u16_e32 0xff80, v82
	s_cbranch_execz .LBB6_14606
; %bb.14599:                            ;   in Loop: Header=BB6_12546 Depth=2
	v_and_b32_e32 v2, 0x7c, v82
	v_and_b32_e32 v3, 3, v82
	s_delay_alu instid0(VALU_DEP_2) | instskip(SKIP_1) | instid1(SALU_CYCLE_1)
	v_cmp_ne_u32_e32 vcc_lo, 0x7c, v2
                                        ; implicit-def: $vgpr2
	s_and_saveexec_b32 s42, vcc_lo
	s_xor_b32 s42, exec_lo, s42
	s_cbranch_execz .LBB6_14603
; %bb.14600:                            ;   in Loop: Header=BB6_12546 Depth=2
	v_and_b32_e32 v2, 0xff, v82
	s_mov_b32 s43, exec_lo
	s_delay_alu instid0(VALU_DEP_1) | instskip(NEXT) | instid1(VALU_DEP_1)
	v_bfe_u32 v2, v2, 2, 5
	v_cmpx_eq_u32_e32 0, v2
	s_cbranch_execz .LBB6_14602
; %bb.14601:                            ;   in Loop: Header=BB6_12546 Depth=2
	v_clz_i32_u32_e32 v2, v3
	s_delay_alu instid0(VALU_DEP_1) | instskip(SKIP_1) | instid1(VALU_DEP_2)
	v_min_u32_e32 v2, 32, v2
	v_mov_b32_e32 v83, v25
	v_subrev_nc_u32_e32 v3, 29, v2
	v_sub_nc_u32_e32 v2, 30, v2
	s_delay_alu instid0(VALU_DEP_2) | instskip(NEXT) | instid1(VALU_DEP_1)
	v_lshlrev_b64_e32 v[36:37], v3, v[82:83]
	v_and_b32_e32 v3, 3, v36
.LBB6_14602:                            ;   in Loop: Header=BB6_12546 Depth=2
	s_or_b32 exec_lo, exec_lo, s43
	v_bfe_i32 v23, v82, 0, 16
	s_delay_alu instid0(VALU_DEP_1) | instskip(NEXT) | instid1(VALU_DEP_1)
	v_and_b32_e32 v23, 0x80000000, v23
	v_lshl_add_u32 v2, v2, 23, v23
	s_delay_alu instid0(VALU_DEP_1) | instskip(NEXT) | instid1(VALU_DEP_1)
	v_lshl_or_b32 v2, v3, 21, v2
                                        ; implicit-def: $vgpr3
	v_add_nc_u32_e32 v2, 0x38000000, v2
.LBB6_14603:                            ;   in Loop: Header=BB6_12546 Depth=2
	s_and_not1_saveexec_b32 s42, s42
; %bb.14604:                            ;   in Loop: Header=BB6_12546 Depth=2
	v_cmp_lt_i16_e32 vcc_lo, -1, v82
	v_cndmask_b32_e32 v2, 0xff800000, v40, vcc_lo
	v_cmp_eq_u32_e32 vcc_lo, 0, v3
	s_delay_alu instid0(VALU_DEP_2)
	v_cndmask_b32_e32 v2, 0x7f800001, v2, vcc_lo
; %bb.14605:                            ;   in Loop: Header=BB6_12546 Depth=2
	s_or_b32 exec_lo, exec_lo, s42
.LBB6_14606:                            ;   in Loop: Header=BB6_12546 Depth=2
	s_delay_alu instid0(SALU_CYCLE_1)
	s_or_b32 exec_lo, exec_lo, s41
.LBB6_14607:                            ;   in Loop: Header=BB6_12546 Depth=2
	s_delay_alu instid0(SALU_CYCLE_1) | instskip(NEXT) | instid1(VALU_DEP_1)
	s_or_b32 exec_lo, exec_lo, s10
	v_dual_max_num_f32 v2, v2, v2 :: v_dual_max_num_f32 v1, v1, v1
	s_mov_b32 s10, 0
	s_delay_alu instid0(VALU_DEP_1)
	v_max_num_f32_e32 v1, v1, v2
.LBB6_14608:                            ;   in Loop: Header=BB6_12546 Depth=2
	s_and_b32 vcc_lo, exec_lo, s10
	s_cbranch_vccz .LBB6_14630
; %bb.14609:                            ;   in Loop: Header=BB6_12546 Depth=2
	v_dual_mov_b32 v2, 0 :: v_dual_mov_b32 v1, 0
	s_and_saveexec_b32 s10, s7
	s_cbranch_execz .LBB6_14619
; %bb.14610:                            ;   in Loop: Header=BB6_12546 Depth=2
	v_bfrev_b32_e32 v1, 1
	s_mov_b32 s7, exec_lo
	v_cmpx_ne_u16_e32 0xff80, v22
	s_cbranch_execz .LBB6_14618
; %bb.14611:                            ;   in Loop: Header=BB6_12546 Depth=2
	v_and_b32_e32 v1, 0x7c, v0
	v_and_b32_e32 v3, 3, v0
	s_delay_alu instid0(VALU_DEP_2) | instskip(SKIP_1) | instid1(SALU_CYCLE_1)
	v_cmp_ne_u32_e32 vcc_lo, 0x7c, v1
                                        ; implicit-def: $vgpr1
	s_and_saveexec_b32 s41, vcc_lo
	s_xor_b32 s41, exec_lo, s41
	s_cbranch_execz .LBB6_14615
; %bb.14612:                            ;   in Loop: Header=BB6_12546 Depth=2
	v_bfe_u32 v0, v0, 2, 5
	s_mov_b32 s42, exec_lo
	s_delay_alu instid0(VALU_DEP_1)
	v_cmpx_eq_u32_e32 0, v0
	s_cbranch_execz .LBB6_14614
; %bb.14613:                            ;   in Loop: Header=BB6_12546 Depth=2
	v_clz_i32_u32_e32 v0, v3
	s_delay_alu instid0(VALU_DEP_1) | instskip(SKIP_1) | instid1(VALU_DEP_2)
	v_min_u32_e32 v0, 32, v0
	v_mov_b32_e32 v23, v25
	v_subrev_nc_u32_e32 v1, 29, v0
	v_sub_nc_u32_e32 v0, 30, v0
	s_delay_alu instid0(VALU_DEP_2) | instskip(NEXT) | instid1(VALU_DEP_1)
	v_lshlrev_b64_e32 v[36:37], v1, v[22:23]
	v_and_b32_e32 v3, 3, v36
.LBB6_14614:                            ;   in Loop: Header=BB6_12546 Depth=2
	s_or_b32 exec_lo, exec_lo, s42
	v_bfe_i32 v1, v22, 0, 16
                                        ; implicit-def: $vgpr22
	s_delay_alu instid0(VALU_DEP_1) | instskip(NEXT) | instid1(VALU_DEP_1)
	v_and_b32_e32 v1, 0x80000000, v1
	v_lshl_add_u32 v0, v0, 23, v1
	s_delay_alu instid0(VALU_DEP_1) | instskip(NEXT) | instid1(VALU_DEP_1)
	v_lshl_or_b32 v0, v3, 21, v0
                                        ; implicit-def: $vgpr3
	v_add_nc_u32_e32 v1, 0x38000000, v0
.LBB6_14615:                            ;   in Loop: Header=BB6_12546 Depth=2
	s_and_not1_saveexec_b32 s41, s41
; %bb.14616:                            ;   in Loop: Header=BB6_12546 Depth=2
	v_cmp_lt_i16_e32 vcc_lo, -1, v22
	v_cndmask_b32_e32 v0, 0xff800000, v40, vcc_lo
	v_cmp_eq_u32_e32 vcc_lo, 0, v3
	s_delay_alu instid0(VALU_DEP_2)
	v_cndmask_b32_e32 v1, 0x7f800001, v0, vcc_lo
; %bb.14617:                            ;   in Loop: Header=BB6_12546 Depth=2
	s_or_b32 exec_lo, exec_lo, s41
.LBB6_14618:                            ;   in Loop: Header=BB6_12546 Depth=2
	s_delay_alu instid0(SALU_CYCLE_1)
	s_or_b32 exec_lo, exec_lo, s7
.LBB6_14619:                            ;   in Loop: Header=BB6_12546 Depth=2
	s_delay_alu instid0(SALU_CYCLE_1) | instskip(NEXT) | instid1(SALU_CYCLE_1)
	s_or_b32 exec_lo, exec_lo, s10
	s_mov_b32 s7, exec_lo
	v_cmpx_ne_u16_e32 0, v82
	s_cbranch_execz .LBB6_14629
; %bb.14620:                            ;   in Loop: Header=BB6_12546 Depth=2
	v_bfrev_b32_e32 v2, 1
	s_mov_b32 s10, exec_lo
	v_cmpx_ne_u16_e32 0xff80, v82
	s_cbranch_execz .LBB6_14628
; %bb.14621:                            ;   in Loop: Header=BB6_12546 Depth=2
	v_and_b32_e32 v2, 0x7c, v82
	v_and_b32_e32 v0, 3, v82
	s_delay_alu instid0(VALU_DEP_2) | instskip(SKIP_1) | instid1(SALU_CYCLE_1)
	v_cmp_ne_u32_e32 vcc_lo, 0x7c, v2
                                        ; implicit-def: $vgpr2
	s_and_saveexec_b32 s41, vcc_lo
	s_xor_b32 s41, exec_lo, s41
	s_cbranch_execz .LBB6_14625
; %bb.14622:                            ;   in Loop: Header=BB6_12546 Depth=2
	v_and_b32_e32 v2, 0xff, v82
	s_mov_b32 s42, exec_lo
	s_delay_alu instid0(VALU_DEP_1) | instskip(NEXT) | instid1(VALU_DEP_1)
	v_bfe_u32 v2, v2, 2, 5
	v_cmpx_eq_u32_e32 0, v2
; %bb.14623:                            ;   in Loop: Header=BB6_12546 Depth=2
	v_clz_i32_u32_e32 v0, v0
	s_delay_alu instid0(VALU_DEP_1) | instskip(SKIP_1) | instid1(VALU_DEP_2)
	v_min_u32_e32 v0, 32, v0
	v_mov_b32_e32 v83, v25
	v_subrev_nc_u32_e32 v2, 29, v0
	s_delay_alu instid0(VALU_DEP_1) | instskip(NEXT) | instid1(VALU_DEP_1)
	v_lshlrev_b64_e32 v[22:23], v2, v[82:83]
	v_dual_sub_nc_u32 v2, 30, v0 :: v_dual_bitop2_b32 v0, 3, v22 bitop3:0x40
; %bb.14624:                            ;   in Loop: Header=BB6_12546 Depth=2
	s_or_b32 exec_lo, exec_lo, s42
	v_bfe_i32 v3, v82, 0, 16
                                        ; implicit-def: $vgpr82
	s_delay_alu instid0(VALU_DEP_1) | instskip(NEXT) | instid1(VALU_DEP_1)
	v_and_b32_e32 v3, 0x80000000, v3
	v_lshl_add_u32 v2, v2, 23, v3
	s_delay_alu instid0(VALU_DEP_1) | instskip(NEXT) | instid1(VALU_DEP_1)
	v_lshl_or_b32 v0, v0, 21, v2
	v_add_nc_u32_e32 v2, 0x38000000, v0
                                        ; implicit-def: $vgpr0
.LBB6_14625:                            ;   in Loop: Header=BB6_12546 Depth=2
	s_and_not1_saveexec_b32 s41, s41
; %bb.14626:                            ;   in Loop: Header=BB6_12546 Depth=2
	v_cmp_lt_i16_e32 vcc_lo, -1, v82
	v_cndmask_b32_e32 v2, 0xff800000, v40, vcc_lo
	v_cmp_eq_u32_e32 vcc_lo, 0, v0
	s_delay_alu instid0(VALU_DEP_2)
	v_cndmask_b32_e32 v2, 0x7f800001, v2, vcc_lo
; %bb.14627:                            ;   in Loop: Header=BB6_12546 Depth=2
	s_or_b32 exec_lo, exec_lo, s41
.LBB6_14628:                            ;   in Loop: Header=BB6_12546 Depth=2
	s_delay_alu instid0(SALU_CYCLE_1)
	s_or_b32 exec_lo, exec_lo, s10
.LBB6_14629:                            ;   in Loop: Header=BB6_12546 Depth=2
	s_delay_alu instid0(SALU_CYCLE_1) | instskip(NEXT) | instid1(VALU_DEP_1)
	s_or_b32 exec_lo, exec_lo, s7
	v_dual_max_num_f32 v0, v2, v2 :: v_dual_max_num_f32 v1, v1, v1
	s_delay_alu instid0(VALU_DEP_1)
	v_min_num_f32_e32 v1, v1, v0
.LBB6_14630:                            ;   in Loop: Header=BB6_12546 Depth=2
	s_delay_alu instid0(VALU_DEP_1) | instskip(SKIP_3) | instid1(VALU_DEP_2)
	v_and_b32_e32 v2, 0x7f800000, v1
	v_mov_b32_e32 v3, v25
	v_and_b32_e32 v24, 0x7fffff, v1
                                        ; implicit-def: $vgpr22
	s_mov_b32 s7, exec_lo
	v_cmpx_ne_u64_e32 0x7f800000, v[2:3]
	s_xor_b32 s10, exec_lo, s7
	s_cbranch_execz .LBB6_14648
; %bb.14631:                            ;   in Loop: Header=BB6_12546 Depth=2
	v_dual_mov_b32 v3, v25 :: v_dual_lshrrev_b32 v0, 24, v1
	v_and_b32_e32 v2, 0x7fffffff, v1
                                        ; implicit-def: $vgpr22
	s_mov_b32 s7, exec_lo
	s_delay_alu instid0(VALU_DEP_2) | instskip(NEXT) | instid1(VALU_DEP_2)
	v_and_b32_e32 v23, 0x80, v0
	v_cmpx_gt_u64_e32 0x47600001, v[2:3]
	s_xor_b32 s41, exec_lo, s7
	s_cbranch_execz .LBB6_14645
; %bb.14632:                            ;   in Loop: Header=BB6_12546 Depth=2
	v_mov_b32_e32 v22, 0
	s_mov_b32 s42, exec_lo
	v_cmpx_ne_u32_e32 0, v1
	s_cbranch_execz .LBB6_14644
; %bb.14633:                            ;   in Loop: Header=BB6_12546 Depth=2
	v_bfe_u32 v22, v1, 23, 8
	v_or_b32_e32 v2, 0x800000, v24
	s_delay_alu instid0(VALU_DEP_2) | instskip(SKIP_1) | instid1(VALU_DEP_2)
	v_sub_nc_u32_e32 v0, 0x71, v22
	v_cmp_gt_u32_e32 vcc_lo, 0x72, v22
	v_cndmask_b32_e32 v0, 0, v0, vcc_lo
	v_cmp_eq_u32_e32 vcc_lo, 0, v22
	s_delay_alu instid0(VALU_DEP_2) | instskip(NEXT) | instid1(VALU_DEP_1)
	v_cndmask_b32_e64 v27, v0, 0x70, vcc_lo
	v_dual_cndmask_b32 v24, v2, v24, vcc_lo :: v_dual_add_nc_u32 v0, 21, v27
	v_add_nc_u32_e32 v3, 20, v27
	s_delay_alu instid0(VALU_DEP_2) | instskip(NEXT) | instid1(VALU_DEP_2)
	v_lshlrev_b64_e64 v[0:1], v0, -1
	v_lshlrev_b64_e64 v[2:3], v3, 1
	s_delay_alu instid0(VALU_DEP_2) | instskip(NEXT) | instid1(VALU_DEP_3)
	v_bfi_b32 v37, v1, 0, 0
	v_bfi_b32 v36, v0, 0, v24
	v_lshrrev_b64 v[0:1], v27, v[24:25]
	s_delay_alu instid0(VALU_DEP_2) | instskip(NEXT) | instid1(VALU_DEP_2)
	v_cmp_eq_u64_e64 s7, v[36:37], v[2:3]
	v_mov_b64_e32 v[2:3], v[0:1]
	s_and_saveexec_b32 s43, s7
; %bb.14634:                            ;   in Loop: Header=BB6_12546 Depth=2
	v_bfe_u32 v24, v0, 21, 1
	s_delay_alu instid0(VALU_DEP_1) | instskip(NEXT) | instid1(VALU_DEP_1)
	v_add_nc_u64_e32 v[2:3], v[0:1], v[24:25]
	v_add_nc_u64_e32 v[2:3], -1, v[2:3]
; %bb.14635:                            ;   in Loop: Header=BB6_12546 Depth=2
	s_or_b32 exec_lo, exec_lo, s43
	v_add_nc_u32_e32 v1, 0xffffff81, v22
	v_lshrrev_b32_e32 v3, 23, v0
	s_mov_b32 s7, exec_lo
	s_delay_alu instid0(VALU_DEP_2) | instskip(NEXT) | instid1(VALU_DEP_1)
	v_cndmask_b32_e64 v1, v1, 0xffffff82, vcc_lo
	v_add3_u32 v3, v27, v1, v3
	v_and_b32_e32 v1, 0x1fffff, v2
                                        ; implicit-def: $vgpr2
	s_delay_alu instid0(VALU_DEP_1) | instskip(NEXT) | instid1(VALU_DEP_1)
	v_dual_add_nc_u32 v22, 14, v3 :: v_dual_add_nc_u32 v24, v1, v0
                                        ; implicit-def: $vgpr0_vgpr1
	v_cmpx_ne_u32_e32 0, v22
	s_xor_b32 s7, exec_lo, s7
; %bb.14636:                            ;   in Loop: Header=BB6_12546 Depth=2
	s_delay_alu instid0(VALU_DEP_2) | instskip(SKIP_1) | instid1(VALU_DEP_1)
	v_cmp_lt_u64_e32 vcc_lo, 0xffffff, v[24:25]
	v_add_nc_u32_e32 v0, 15, v3
	v_cndmask_b32_e32 v2, v22, v0, vcc_lo
	v_cndmask_b32_e64 v0, 0, 1, vcc_lo
	s_delay_alu instid0(VALU_DEP_1)
	v_lshrrev_b64 v[0:1], v0, v[24:25]
; %bb.14637:                            ;   in Loop: Header=BB6_12546 Depth=2
	s_and_not1_saveexec_b32 s7, s7
; %bb.14638:                            ;   in Loop: Header=BB6_12546 Depth=2
	v_mov_b64_e32 v[0:1], v[24:25]
	v_bfe_u32 v2, v24, 23, 1
; %bb.14639:                            ;   in Loop: Header=BB6_12546 Depth=2
	s_or_b32 exec_lo, exec_lo, s7
	s_delay_alu instid0(VALU_DEP_2) | instskip(NEXT) | instid1(VALU_DEP_2)
	v_lshrrev_b64 v[0:1], 21, v[0:1]
	v_cmp_gt_i32_e32 vcc_lo, 32, v2
	v_cmp_ne_u32_e64 s7, 0, v2
                                        ; implicit-def: $vgpr22
	s_delay_alu instid0(VALU_DEP_3) | instskip(NEXT) | instid1(VALU_DEP_1)
	v_dual_cndmask_b32 v1, 0, v1 :: v_dual_cndmask_b32 v0, 3, v0
	v_cmp_ne_u64_e32 vcc_lo, 0, v[0:1]
	s_or_b32 s7, s7, vcc_lo
	s_delay_alu instid0(SALU_CYCLE_1) | instskip(NEXT) | instid1(SALU_CYCLE_1)
	s_and_saveexec_b32 s43, s7
	s_xor_b32 s7, exec_lo, s43
; %bb.14640:                            ;   in Loop: Header=BB6_12546 Depth=2
	v_min_i32_e32 v1, 31, v2
	s_delay_alu instid0(VALU_DEP_1) | instskip(NEXT) | instid1(VALU_DEP_1)
	v_lshl_or_b32 v1, v1, 2, v23
                                        ; implicit-def: $vgpr23
	v_and_or_b32 v22, v0, 3, v1
; %bb.14641:                            ;   in Loop: Header=BB6_12546 Depth=2
	s_and_not1_saveexec_b32 s7, s7
; %bb.14642:                            ;   in Loop: Header=BB6_12546 Depth=2
	v_mov_b32_e32 v22, v23
; %bb.14643:                            ;   in Loop: Header=BB6_12546 Depth=2
	s_or_b32 exec_lo, exec_lo, s7
.LBB6_14644:                            ;   in Loop: Header=BB6_12546 Depth=2
	s_delay_alu instid0(SALU_CYCLE_1)
	s_or_b32 exec_lo, exec_lo, s42
                                        ; implicit-def: $vgpr23
.LBB6_14645:                            ;   in Loop: Header=BB6_12546 Depth=2
	s_and_not1_saveexec_b32 s7, s41
; %bb.14646:                            ;   in Loop: Header=BB6_12546 Depth=2
	v_or_b32_e32 v22, 0x7b, v23
; %bb.14647:                            ;   in Loop: Header=BB6_12546 Depth=2
	s_or_b32 exec_lo, exec_lo, s7
                                        ; implicit-def: $vgpr1
.LBB6_14648:                            ;   in Loop: Header=BB6_12546 Depth=2
	s_and_not1_saveexec_b32 s7, s10
	s_cbranch_execz .LBB6_14654
; %bb.14649:                            ;   in Loop: Header=BB6_12546 Depth=2
	s_mov_b32 s10, exec_lo
                                        ; implicit-def: $vgpr22
	v_cmpx_ne_u64_e32 0, v[24:25]
	s_xor_b32 s10, exec_lo, s10
; %bb.14650:                            ;   in Loop: Header=BB6_12546 Depth=2
	v_lshrrev_b32_e32 v0, 24, v1
                                        ; implicit-def: $vgpr1
	s_delay_alu instid0(VALU_DEP_1)
	v_or_b32_e32 v22, 0x7f, v0
; %bb.14651:                            ;   in Loop: Header=BB6_12546 Depth=2
	s_and_not1_saveexec_b32 s10, s10
; %bb.14652:                            ;   in Loop: Header=BB6_12546 Depth=2
	v_cmp_lt_i32_e32 vcc_lo, -1, v1
	v_cndmask_b32_e64 v22, -4, 0x7c, vcc_lo
; %bb.14653:                            ;   in Loop: Header=BB6_12546 Depth=2
	s_or_b32 exec_lo, exec_lo, s10
.LBB6_14654:                            ;   in Loop: Header=BB6_12546 Depth=2
	s_delay_alu instid0(SALU_CYCLE_1)
	s_or_b32 exec_lo, exec_lo, s7
	v_and_b32_e32 v0, 0xff, v70
	v_cmp_ne_u16_e64 s7, 0, v70
	s_and_not1_b32 vcc_lo, exec_lo, s14
	s_mov_b32 s10, -1
                                        ; implicit-def: $vgpr2
	s_cbranch_vccnz .LBB6_14676
; %bb.14655:                            ;   in Loop: Header=BB6_12546 Depth=2
	v_dual_mov_b32 v2, 0 :: v_dual_mov_b32 v1, 0
	s_and_saveexec_b32 s10, s7
	s_cbranch_execz .LBB6_14665
; %bb.14656:                            ;   in Loop: Header=BB6_12546 Depth=2
	v_bfrev_b32_e32 v1, 1
	s_mov_b32 s41, exec_lo
	v_cmpx_ne_u16_e32 0xff80, v70
	s_cbranch_execz .LBB6_14664
; %bb.14657:                            ;   in Loop: Header=BB6_12546 Depth=2
	v_and_b32_e32 v1, 0x7c, v0
	v_and_b32_e32 v3, 3, v0
	s_delay_alu instid0(VALU_DEP_2) | instskip(SKIP_1) | instid1(SALU_CYCLE_1)
	v_cmp_ne_u32_e32 vcc_lo, 0x7c, v1
                                        ; implicit-def: $vgpr1
	s_and_saveexec_b32 s42, vcc_lo
	s_xor_b32 s42, exec_lo, s42
	s_cbranch_execz .LBB6_14661
; %bb.14658:                            ;   in Loop: Header=BB6_12546 Depth=2
	v_bfe_u32 v1, v0, 2, 5
	s_mov_b32 s43, exec_lo
	s_delay_alu instid0(VALU_DEP_1)
	v_cmpx_eq_u32_e32 0, v1
	s_cbranch_execz .LBB6_14660
; %bb.14659:                            ;   in Loop: Header=BB6_12546 Depth=2
	v_clz_i32_u32_e32 v1, v3
	s_delay_alu instid0(VALU_DEP_1) | instskip(SKIP_1) | instid1(VALU_DEP_2)
	v_min_u32_e32 v1, 32, v1
	v_mov_b32_e32 v71, v25
	v_subrev_nc_u32_e32 v3, 29, v1
	v_sub_nc_u32_e32 v1, 30, v1
	s_delay_alu instid0(VALU_DEP_2) | instskip(NEXT) | instid1(VALU_DEP_1)
	v_lshlrev_b64_e32 v[36:37], v3, v[70:71]
	v_and_b32_e32 v3, 3, v36
.LBB6_14660:                            ;   in Loop: Header=BB6_12546 Depth=2
	s_or_b32 exec_lo, exec_lo, s43
	v_bfe_i32 v23, v70, 0, 16
	s_delay_alu instid0(VALU_DEP_1) | instskip(NEXT) | instid1(VALU_DEP_1)
	v_and_b32_e32 v23, 0x80000000, v23
	v_lshl_add_u32 v1, v1, 23, v23
	s_delay_alu instid0(VALU_DEP_1) | instskip(NEXT) | instid1(VALU_DEP_1)
	v_lshl_or_b32 v1, v3, 21, v1
                                        ; implicit-def: $vgpr3
	v_add_nc_u32_e32 v1, 0x38000000, v1
.LBB6_14661:                            ;   in Loop: Header=BB6_12546 Depth=2
	s_and_not1_saveexec_b32 s42, s42
; %bb.14662:                            ;   in Loop: Header=BB6_12546 Depth=2
	v_cmp_lt_i16_e32 vcc_lo, -1, v70
	v_cndmask_b32_e32 v1, 0xff800000, v40, vcc_lo
	v_cmp_eq_u32_e32 vcc_lo, 0, v3
	s_delay_alu instid0(VALU_DEP_2)
	v_cndmask_b32_e32 v1, 0x7f800001, v1, vcc_lo
; %bb.14663:                            ;   in Loop: Header=BB6_12546 Depth=2
	s_or_b32 exec_lo, exec_lo, s42
.LBB6_14664:                            ;   in Loop: Header=BB6_12546 Depth=2
	s_delay_alu instid0(SALU_CYCLE_1)
	s_or_b32 exec_lo, exec_lo, s41
.LBB6_14665:                            ;   in Loop: Header=BB6_12546 Depth=2
	s_delay_alu instid0(SALU_CYCLE_1) | instskip(NEXT) | instid1(SALU_CYCLE_1)
	s_or_b32 exec_lo, exec_lo, s10
	s_mov_b32 s10, exec_lo
	v_cmpx_ne_u16_e32 0, v80
	s_cbranch_execz .LBB6_14675
; %bb.14666:                            ;   in Loop: Header=BB6_12546 Depth=2
	v_bfrev_b32_e32 v2, 1
	s_mov_b32 s41, exec_lo
	v_cmpx_ne_u16_e32 0xff80, v80
	s_cbranch_execz .LBB6_14674
; %bb.14667:                            ;   in Loop: Header=BB6_12546 Depth=2
	v_and_b32_e32 v2, 0x7c, v80
	v_and_b32_e32 v3, 3, v80
	s_delay_alu instid0(VALU_DEP_2) | instskip(SKIP_1) | instid1(SALU_CYCLE_1)
	v_cmp_ne_u32_e32 vcc_lo, 0x7c, v2
                                        ; implicit-def: $vgpr2
	s_and_saveexec_b32 s42, vcc_lo
	s_xor_b32 s42, exec_lo, s42
	s_cbranch_execz .LBB6_14671
; %bb.14668:                            ;   in Loop: Header=BB6_12546 Depth=2
	v_and_b32_e32 v2, 0xff, v80
	s_mov_b32 s43, exec_lo
	s_delay_alu instid0(VALU_DEP_1) | instskip(NEXT) | instid1(VALU_DEP_1)
	v_bfe_u32 v2, v2, 2, 5
	v_cmpx_eq_u32_e32 0, v2
	s_cbranch_execz .LBB6_14670
; %bb.14669:                            ;   in Loop: Header=BB6_12546 Depth=2
	v_clz_i32_u32_e32 v2, v3
	s_delay_alu instid0(VALU_DEP_1) | instskip(SKIP_1) | instid1(VALU_DEP_2)
	v_min_u32_e32 v2, 32, v2
	v_mov_b32_e32 v81, v25
	v_subrev_nc_u32_e32 v3, 29, v2
	v_sub_nc_u32_e32 v2, 30, v2
	s_delay_alu instid0(VALU_DEP_2) | instskip(NEXT) | instid1(VALU_DEP_1)
	v_lshlrev_b64_e32 v[36:37], v3, v[80:81]
	v_and_b32_e32 v3, 3, v36
.LBB6_14670:                            ;   in Loop: Header=BB6_12546 Depth=2
	s_or_b32 exec_lo, exec_lo, s43
	v_bfe_i32 v23, v80, 0, 16
	s_delay_alu instid0(VALU_DEP_1) | instskip(NEXT) | instid1(VALU_DEP_1)
	v_and_b32_e32 v23, 0x80000000, v23
	v_lshl_add_u32 v2, v2, 23, v23
	s_delay_alu instid0(VALU_DEP_1) | instskip(NEXT) | instid1(VALU_DEP_1)
	v_lshl_or_b32 v2, v3, 21, v2
                                        ; implicit-def: $vgpr3
	v_add_nc_u32_e32 v2, 0x38000000, v2
.LBB6_14671:                            ;   in Loop: Header=BB6_12546 Depth=2
	s_and_not1_saveexec_b32 s42, s42
; %bb.14672:                            ;   in Loop: Header=BB6_12546 Depth=2
	v_cmp_lt_i16_e32 vcc_lo, -1, v80
	v_cndmask_b32_e32 v2, 0xff800000, v40, vcc_lo
	v_cmp_eq_u32_e32 vcc_lo, 0, v3
	s_delay_alu instid0(VALU_DEP_2)
	v_cndmask_b32_e32 v2, 0x7f800001, v2, vcc_lo
; %bb.14673:                            ;   in Loop: Header=BB6_12546 Depth=2
	s_or_b32 exec_lo, exec_lo, s42
.LBB6_14674:                            ;   in Loop: Header=BB6_12546 Depth=2
	s_delay_alu instid0(SALU_CYCLE_1)
	s_or_b32 exec_lo, exec_lo, s41
.LBB6_14675:                            ;   in Loop: Header=BB6_12546 Depth=2
	s_delay_alu instid0(SALU_CYCLE_1) | instskip(NEXT) | instid1(VALU_DEP_1)
	s_or_b32 exec_lo, exec_lo, s10
	v_dual_max_num_f32 v2, v2, v2 :: v_dual_max_num_f32 v1, v1, v1
	s_mov_b32 s10, 0
	s_delay_alu instid0(VALU_DEP_1)
	v_max_num_f32_e32 v2, v1, v2
.LBB6_14676:                            ;   in Loop: Header=BB6_12546 Depth=2
	s_and_b32 vcc_lo, exec_lo, s10
	s_cbranch_vccz .LBB6_14698
; %bb.14677:                            ;   in Loop: Header=BB6_12546 Depth=2
	v_dual_mov_b32 v2, 0 :: v_dual_mov_b32 v1, 0
	s_and_saveexec_b32 s10, s7
	s_cbranch_execz .LBB6_14687
; %bb.14678:                            ;   in Loop: Header=BB6_12546 Depth=2
	v_bfrev_b32_e32 v1, 1
	s_mov_b32 s7, exec_lo
	v_cmpx_ne_u16_e32 0xff80, v70
	s_cbranch_execz .LBB6_14686
; %bb.14679:                            ;   in Loop: Header=BB6_12546 Depth=2
	v_and_b32_e32 v1, 0x7c, v0
	v_and_b32_e32 v3, 3, v0
	s_delay_alu instid0(VALU_DEP_2) | instskip(SKIP_1) | instid1(SALU_CYCLE_1)
	v_cmp_ne_u32_e32 vcc_lo, 0x7c, v1
                                        ; implicit-def: $vgpr1
	s_and_saveexec_b32 s41, vcc_lo
	s_xor_b32 s41, exec_lo, s41
	s_cbranch_execz .LBB6_14683
; %bb.14680:                            ;   in Loop: Header=BB6_12546 Depth=2
	v_bfe_u32 v0, v0, 2, 5
	s_mov_b32 s42, exec_lo
	s_delay_alu instid0(VALU_DEP_1)
	v_cmpx_eq_u32_e32 0, v0
	s_cbranch_execz .LBB6_14682
; %bb.14681:                            ;   in Loop: Header=BB6_12546 Depth=2
	v_clz_i32_u32_e32 v0, v3
	s_delay_alu instid0(VALU_DEP_1) | instskip(SKIP_1) | instid1(VALU_DEP_2)
	v_min_u32_e32 v0, 32, v0
	v_mov_b32_e32 v71, v25
	v_subrev_nc_u32_e32 v1, 29, v0
	v_sub_nc_u32_e32 v0, 30, v0
	s_delay_alu instid0(VALU_DEP_2) | instskip(NEXT) | instid1(VALU_DEP_1)
	v_lshlrev_b64_e32 v[36:37], v1, v[70:71]
	v_and_b32_e32 v3, 3, v36
.LBB6_14682:                            ;   in Loop: Header=BB6_12546 Depth=2
	s_or_b32 exec_lo, exec_lo, s42
	v_bfe_i32 v1, v70, 0, 16
                                        ; implicit-def: $vgpr70
	s_delay_alu instid0(VALU_DEP_1) | instskip(NEXT) | instid1(VALU_DEP_1)
	v_and_b32_e32 v1, 0x80000000, v1
	v_lshl_add_u32 v0, v0, 23, v1
	s_delay_alu instid0(VALU_DEP_1) | instskip(NEXT) | instid1(VALU_DEP_1)
	v_lshl_or_b32 v0, v3, 21, v0
                                        ; implicit-def: $vgpr3
	v_add_nc_u32_e32 v1, 0x38000000, v0
.LBB6_14683:                            ;   in Loop: Header=BB6_12546 Depth=2
	s_and_not1_saveexec_b32 s41, s41
; %bb.14684:                            ;   in Loop: Header=BB6_12546 Depth=2
	v_cmp_lt_i16_e32 vcc_lo, -1, v70
	v_cndmask_b32_e32 v0, 0xff800000, v40, vcc_lo
	v_cmp_eq_u32_e32 vcc_lo, 0, v3
	s_delay_alu instid0(VALU_DEP_2)
	v_cndmask_b32_e32 v1, 0x7f800001, v0, vcc_lo
; %bb.14685:                            ;   in Loop: Header=BB6_12546 Depth=2
	s_or_b32 exec_lo, exec_lo, s41
.LBB6_14686:                            ;   in Loop: Header=BB6_12546 Depth=2
	s_delay_alu instid0(SALU_CYCLE_1)
	s_or_b32 exec_lo, exec_lo, s7
.LBB6_14687:                            ;   in Loop: Header=BB6_12546 Depth=2
	s_delay_alu instid0(SALU_CYCLE_1) | instskip(NEXT) | instid1(SALU_CYCLE_1)
	s_or_b32 exec_lo, exec_lo, s10
	s_mov_b32 s7, exec_lo
	v_cmpx_ne_u16_e32 0, v80
	s_cbranch_execz .LBB6_14697
; %bb.14688:                            ;   in Loop: Header=BB6_12546 Depth=2
	v_bfrev_b32_e32 v2, 1
	s_mov_b32 s10, exec_lo
	v_cmpx_ne_u16_e32 0xff80, v80
	s_cbranch_execz .LBB6_14696
; %bb.14689:                            ;   in Loop: Header=BB6_12546 Depth=2
	v_and_b32_e32 v2, 0x7c, v80
	v_and_b32_e32 v0, 3, v80
	s_delay_alu instid0(VALU_DEP_2) | instskip(SKIP_1) | instid1(SALU_CYCLE_1)
	v_cmp_ne_u32_e32 vcc_lo, 0x7c, v2
                                        ; implicit-def: $vgpr2
	s_and_saveexec_b32 s41, vcc_lo
	s_xor_b32 s41, exec_lo, s41
	s_cbranch_execz .LBB6_14693
; %bb.14690:                            ;   in Loop: Header=BB6_12546 Depth=2
	v_and_b32_e32 v2, 0xff, v80
	s_mov_b32 s42, exec_lo
	s_delay_alu instid0(VALU_DEP_1) | instskip(NEXT) | instid1(VALU_DEP_1)
	v_bfe_u32 v2, v2, 2, 5
	v_cmpx_eq_u32_e32 0, v2
	s_cbranch_execz .LBB6_14692
; %bb.14691:                            ;   in Loop: Header=BB6_12546 Depth=2
	v_clz_i32_u32_e32 v0, v0
	s_delay_alu instid0(VALU_DEP_1) | instskip(SKIP_1) | instid1(VALU_DEP_2)
	v_min_u32_e32 v0, 32, v0
	v_mov_b32_e32 v81, v25
	v_subrev_nc_u32_e32 v2, 29, v0
	s_delay_alu instid0(VALU_DEP_1) | instskip(SKIP_1) | instid1(VALU_DEP_2)
	v_lshlrev_b64_e32 v[36:37], v2, v[80:81]
	v_sub_nc_u32_e32 v2, 30, v0
	v_and_b32_e32 v0, 3, v36
.LBB6_14692:                            ;   in Loop: Header=BB6_12546 Depth=2
	s_or_b32 exec_lo, exec_lo, s42
	v_bfe_i32 v3, v80, 0, 16
                                        ; implicit-def: $vgpr80
	s_delay_alu instid0(VALU_DEP_1) | instskip(NEXT) | instid1(VALU_DEP_1)
	v_and_b32_e32 v3, 0x80000000, v3
	v_lshl_add_u32 v2, v2, 23, v3
	s_delay_alu instid0(VALU_DEP_1) | instskip(NEXT) | instid1(VALU_DEP_1)
	v_lshl_or_b32 v0, v0, 21, v2
	v_add_nc_u32_e32 v2, 0x38000000, v0
                                        ; implicit-def: $vgpr0
.LBB6_14693:                            ;   in Loop: Header=BB6_12546 Depth=2
	s_and_not1_saveexec_b32 s41, s41
; %bb.14694:                            ;   in Loop: Header=BB6_12546 Depth=2
	v_cmp_lt_i16_e32 vcc_lo, -1, v80
	v_cndmask_b32_e32 v2, 0xff800000, v40, vcc_lo
	v_cmp_eq_u32_e32 vcc_lo, 0, v0
	s_delay_alu instid0(VALU_DEP_2)
	v_cndmask_b32_e32 v2, 0x7f800001, v2, vcc_lo
; %bb.14695:                            ;   in Loop: Header=BB6_12546 Depth=2
	s_or_b32 exec_lo, exec_lo, s41
.LBB6_14696:                            ;   in Loop: Header=BB6_12546 Depth=2
	s_delay_alu instid0(SALU_CYCLE_1)
	s_or_b32 exec_lo, exec_lo, s10
.LBB6_14697:                            ;   in Loop: Header=BB6_12546 Depth=2
	s_delay_alu instid0(SALU_CYCLE_1) | instskip(NEXT) | instid1(VALU_DEP_1)
	s_or_b32 exec_lo, exec_lo, s7
	v_dual_max_num_f32 v0, v2, v2 :: v_dual_max_num_f32 v1, v1, v1
	s_delay_alu instid0(VALU_DEP_1)
	v_min_num_f32_e32 v2, v1, v0
.LBB6_14698:                            ;   in Loop: Header=BB6_12546 Depth=2
	s_delay_alu instid0(VALU_DEP_1) | instskip(SKIP_2) | instid1(VALU_DEP_2)
	v_and_b32_e32 v0, 0x7f800000, v2
	v_mov_b32_e32 v1, v25
	v_and_b32_e32 v24, 0x7fffff, v2
	v_cmp_ne_u64_e32 vcc_lo, 0x7f800000, v[0:1]
                                        ; implicit-def: $vgpr1
	s_and_saveexec_b32 s7, vcc_lo
	s_delay_alu instid0(SALU_CYCLE_1)
	s_xor_b32 s10, exec_lo, s7
	s_cbranch_execz .LBB6_14716
; %bb.14699:                            ;   in Loop: Header=BB6_12546 Depth=2
	v_and_b32_e32 v0, 0x7fffffff, v2
	v_dual_mov_b32 v1, v25 :: v_dual_lshrrev_b32 v3, 24, v2
	s_delay_alu instid0(VALU_DEP_1) | instskip(NEXT) | instid1(VALU_DEP_2)
	v_cmp_gt_u64_e32 vcc_lo, 0x47600001, v[0:1]
	v_and_b32_e32 v23, 0x80, v3
                                        ; implicit-def: $vgpr1
	s_and_saveexec_b32 s7, vcc_lo
	s_delay_alu instid0(SALU_CYCLE_1)
	s_xor_b32 s41, exec_lo, s7
	s_cbranch_execz .LBB6_14713
; %bb.14700:                            ;   in Loop: Header=BB6_12546 Depth=2
	v_mov_b32_e32 v1, 0
	s_mov_b32 s42, exec_lo
	v_cmpx_ne_u32_e32 0, v2
	s_cbranch_execz .LBB6_14712
; %bb.14701:                            ;   in Loop: Header=BB6_12546 Depth=2
	v_bfe_u32 v27, v2, 23, 8
	v_or_b32_e32 v2, 0x800000, v24
	s_delay_alu instid0(VALU_DEP_2) | instskip(SKIP_1) | instid1(VALU_DEP_2)
	v_sub_nc_u32_e32 v0, 0x71, v27
	v_cmp_gt_u32_e32 vcc_lo, 0x72, v27
	v_cndmask_b32_e32 v0, 0, v0, vcc_lo
	v_cmp_eq_u32_e32 vcc_lo, 0, v27
	s_delay_alu instid0(VALU_DEP_2) | instskip(NEXT) | instid1(VALU_DEP_1)
	v_cndmask_b32_e64 v33, v0, 0x70, vcc_lo
	v_dual_cndmask_b32 v24, v2, v24, vcc_lo :: v_dual_add_nc_u32 v0, 21, v33
	v_add_nc_u32_e32 v3, 20, v33
	s_delay_alu instid0(VALU_DEP_2) | instskip(NEXT) | instid1(VALU_DEP_2)
	v_lshlrev_b64_e64 v[0:1], v0, -1
	v_lshlrev_b64_e64 v[2:3], v3, 1
	s_delay_alu instid0(VALU_DEP_2) | instskip(NEXT) | instid1(VALU_DEP_3)
	v_bfi_b32 v37, v1, 0, 0
	v_bfi_b32 v36, v0, 0, v24
	v_lshrrev_b64 v[0:1], v33, v[24:25]
	s_delay_alu instid0(VALU_DEP_2) | instskip(NEXT) | instid1(VALU_DEP_2)
	v_cmp_eq_u64_e64 s7, v[36:37], v[2:3]
	v_mov_b64_e32 v[2:3], v[0:1]
	s_and_saveexec_b32 s43, s7
; %bb.14702:                            ;   in Loop: Header=BB6_12546 Depth=2
	v_bfe_u32 v24, v0, 21, 1
	s_delay_alu instid0(VALU_DEP_1) | instskip(NEXT) | instid1(VALU_DEP_1)
	v_add_nc_u64_e32 v[2:3], v[0:1], v[24:25]
	v_add_nc_u64_e32 v[2:3], -1, v[2:3]
; %bb.14703:                            ;   in Loop: Header=BB6_12546 Depth=2
	s_or_b32 exec_lo, exec_lo, s43
	v_add_nc_u32_e32 v1, 0xffffff81, v27
	v_lshrrev_b32_e32 v3, 23, v0
	s_mov_b32 s7, exec_lo
	s_delay_alu instid0(VALU_DEP_2) | instskip(NEXT) | instid1(VALU_DEP_1)
	v_cndmask_b32_e64 v1, v1, 0xffffff82, vcc_lo
	v_add3_u32 v3, v33, v1, v3
	v_and_b32_e32 v1, 0x1fffff, v2
                                        ; implicit-def: $vgpr2
	s_delay_alu instid0(VALU_DEP_1) | instskip(NEXT) | instid1(VALU_DEP_1)
	v_dual_add_nc_u32 v27, 14, v3 :: v_dual_add_nc_u32 v24, v1, v0
                                        ; implicit-def: $vgpr0_vgpr1
	v_cmpx_ne_u32_e32 0, v27
	s_xor_b32 s7, exec_lo, s7
; %bb.14704:                            ;   in Loop: Header=BB6_12546 Depth=2
	s_delay_alu instid0(VALU_DEP_2) | instskip(SKIP_1) | instid1(VALU_DEP_1)
	v_cmp_lt_u64_e32 vcc_lo, 0xffffff, v[24:25]
	v_add_nc_u32_e32 v0, 15, v3
	v_cndmask_b32_e32 v2, v27, v0, vcc_lo
	v_cndmask_b32_e64 v0, 0, 1, vcc_lo
	s_delay_alu instid0(VALU_DEP_1)
	v_lshrrev_b64 v[0:1], v0, v[24:25]
; %bb.14705:                            ;   in Loop: Header=BB6_12546 Depth=2
	s_and_not1_saveexec_b32 s7, s7
; %bb.14706:                            ;   in Loop: Header=BB6_12546 Depth=2
	v_mov_b64_e32 v[0:1], v[24:25]
	v_bfe_u32 v2, v24, 23, 1
; %bb.14707:                            ;   in Loop: Header=BB6_12546 Depth=2
	s_or_b32 exec_lo, exec_lo, s7
	s_delay_alu instid0(VALU_DEP_2) | instskip(NEXT) | instid1(VALU_DEP_2)
	v_lshrrev_b64 v[0:1], 21, v[0:1]
	v_cmp_gt_i32_e32 vcc_lo, 32, v2
	v_cmp_ne_u32_e64 s7, 0, v2
	s_delay_alu instid0(VALU_DEP_3) | instskip(NEXT) | instid1(VALU_DEP_1)
	v_dual_cndmask_b32 v1, 0, v1 :: v_dual_cndmask_b32 v0, 3, v0
	v_cmp_ne_u64_e32 vcc_lo, 0, v[0:1]
                                        ; implicit-def: $vgpr1
	s_or_b32 s7, s7, vcc_lo
	s_delay_alu instid0(SALU_CYCLE_1) | instskip(NEXT) | instid1(SALU_CYCLE_1)
	s_and_saveexec_b32 s43, s7
	s_xor_b32 s7, exec_lo, s43
; %bb.14708:                            ;   in Loop: Header=BB6_12546 Depth=2
	v_min_i32_e32 v1, 31, v2
	s_delay_alu instid0(VALU_DEP_1) | instskip(NEXT) | instid1(VALU_DEP_1)
	v_lshl_or_b32 v1, v1, 2, v23
                                        ; implicit-def: $vgpr23
	v_and_or_b32 v1, v0, 3, v1
; %bb.14709:                            ;   in Loop: Header=BB6_12546 Depth=2
	s_and_not1_saveexec_b32 s7, s7
; %bb.14710:                            ;   in Loop: Header=BB6_12546 Depth=2
	v_mov_b32_e32 v1, v23
; %bb.14711:                            ;   in Loop: Header=BB6_12546 Depth=2
	s_or_b32 exec_lo, exec_lo, s7
.LBB6_14712:                            ;   in Loop: Header=BB6_12546 Depth=2
	s_delay_alu instid0(SALU_CYCLE_1)
	s_or_b32 exec_lo, exec_lo, s42
                                        ; implicit-def: $vgpr23
.LBB6_14713:                            ;   in Loop: Header=BB6_12546 Depth=2
	s_and_not1_saveexec_b32 s7, s41
; %bb.14714:                            ;   in Loop: Header=BB6_12546 Depth=2
	v_or_b32_e32 v1, 0x7b, v23
; %bb.14715:                            ;   in Loop: Header=BB6_12546 Depth=2
	s_or_b32 exec_lo, exec_lo, s7
                                        ; implicit-def: $vgpr2
.LBB6_14716:                            ;   in Loop: Header=BB6_12546 Depth=2
	s_and_not1_saveexec_b32 s7, s10
	s_cbranch_execz .LBB6_12545
; %bb.14717:                            ;   in Loop: Header=BB6_12546 Depth=2
	s_mov_b32 s10, exec_lo
                                        ; implicit-def: $vgpr1
	v_cmpx_ne_u64_e32 0, v[24:25]
	s_xor_b32 s10, exec_lo, s10
; %bb.14718:                            ;   in Loop: Header=BB6_12546 Depth=2
	v_lshrrev_b32_e32 v0, 24, v2
                                        ; implicit-def: $vgpr2
	s_delay_alu instid0(VALU_DEP_1)
	v_or_b32_e32 v1, 0x7f, v0
; %bb.14719:                            ;   in Loop: Header=BB6_12546 Depth=2
	s_and_not1_saveexec_b32 s10, s10
	s_cbranch_execz .LBB6_12544
; %bb.14720:                            ;   in Loop: Header=BB6_12546 Depth=2
	v_cmp_lt_i32_e32 vcc_lo, -1, v2
	v_cndmask_b32_e64 v1, -4, 0x7c, vcc_lo
	s_branch .LBB6_12544
.LBB6_14721:                            ;   in Loop: Header=BB6_7467 Depth=1
	s_or_b32 exec_lo, exec_lo, s13
	s_clause 0x10
	scratch_load_b32 v102, off, s33 offset:348
	scratch_load_b32 v103, off, s33 offset:352
	;; [unrolled: 1-line block ×4, first 2 shown]
	scratch_load_b64 v[114:115], off, s33 offset:328
	scratch_load_b128 v[116:119], off, s33 offset:300
	scratch_load_b128 v[60:63], off, s33 offset:284
	scratch_load_b64 v[72:73], off, s33 offset:356
	scratch_load_b32 v59, off, s33 offset:364
	scratch_load_b64 v[46:47], off, s33 offset:336
	scratch_load_b64 v[44:45], off, s33 offset:316
	scratch_load_b32 v74, off, s33 offset:424
	scratch_load_b64 v[76:77], off, s33 offset:428
	scratch_load_b64 v[78:79], off, s33 offset:436
	;; [unrolled: 1-line block ×5, first 2 shown]
	s_wait_loadcnt 0x0
	s_clause 0x5
	scratch_load_b32 v95, off, s33 offset:392
	scratch_load_b32 v104, off, s33 offset:400
	;; [unrolled: 1-line block ×6, first 2 shown]
.LBB6_14722:                            ;   in Loop: Header=BB6_7467 Depth=1
	s_wait_xcnt 0x0
	s_or_b32 exec_lo, exec_lo, s11
	s_wait_loadcnt 0x2
	v_and_b32_e32 v0, 0xfffffc00, v3
	s_delay_alu instid0(VALU_DEP_1)
	v_cmp_ne_u32_e32 vcc_lo, v3, v0
	s_and_b32 exec_lo, exec_lo, vcc_lo
	s_cbranch_execz .LBB6_14794
; %bb.14723:                            ;   in Loop: Header=BB6_7467 Depth=1
	s_wait_loadcnt 0x0
	v_dual_lshlrev_b32 v1, 5, v5 :: v_dual_lshlrev_b32 v2, 5, v126
	s_delay_alu instid0(VALU_DEP_1) | instskip(NEXT) | instid1(VALU_DEP_1)
	v_sub_nc_u32_e32 v1, v4, v1
	v_sub_nc_u32_e32 v1, v1, v2
	v_and_b32_e32 v2, 0x3ff, v3
	s_delay_alu instid0(VALU_DEP_1) | instskip(NEXT) | instid1(VALU_DEP_1)
	v_sub_nc_u32_e32 v10, v2, v1
	v_cmp_lt_i32_e32 vcc_lo, 0, v10
	s_and_b32 exec_lo, exec_lo, vcc_lo
	s_cbranch_execz .LBB6_14794
; %bb.14724:                            ;   in Loop: Header=BB6_7467 Depth=1
	s_trap 2
	ds_load_b128 v[2:5], v0
	ds_load_b64 v[6:7], v0
	v_add3_u32 v8, v0, v9, v1
	s_bitcmp1_b32 s40, 0
	s_mov_b32 s13, 0
	s_cselect_b32 s14, -1, 0
	s_delay_alu instid0(VALU_DEP_1) | instskip(SKIP_1) | instid1(VALU_DEP_1)
	v_ashrrev_i32_e32 v9, 31, v8
	s_wait_dscnt 0x1
	v_add_nc_u64_e32 v[0:1], v[2:3], v[8:9]
	v_add_nc_u64_e32 v[2:3], v[4:5], v[8:9]
	s_wait_dscnt 0x0
	v_add_nc_u64_e32 v[4:5], v[6:7], v[8:9]
	s_branch .LBB6_14727
.LBB6_14725:                            ;   in Loop: Header=BB6_14727 Depth=2
	s_or_b32 exec_lo, exec_lo, s10
.LBB6_14726:                            ;   in Loop: Header=BB6_14727 Depth=2
	s_delay_alu instid0(SALU_CYCLE_1)
	s_or_b32 exec_lo, exec_lo, s7
	v_sub_nc_u32_e32 v10, v10, v88
	flat_store_b8 v[4:5], v7 th:TH_STORE_NT
	v_add_nc_u64_e32 v[0:1], v[0:1], v[88:89]
	v_add_nc_u64_e32 v[2:3], v[2:3], v[88:89]
	s_wait_xcnt 0x0
	v_add_nc_u64_e32 v[4:5], v[4:5], v[88:89]
	v_cmp_gt_i32_e32 vcc_lo, 1, v10
	s_or_b32 s13, vcc_lo, s13
	s_delay_alu instid0(SALU_CYCLE_1)
	s_and_not1_b32 exec_lo, exec_lo, s13
	s_cbranch_execz .LBB6_14794
.LBB6_14727:                            ;   Parent Loop BB6_7467 Depth=1
                                        ; =>  This Inner Loop Header: Depth=2
	flat_load_u8 v7, v[0:1] th:TH_LOAD_NT
	flat_load_u8 v8, v[2:3] th:TH_LOAD_NT
	v_mov_b32_e32 v17, 0x7f800000
	s_mov_b32 s40, -1
                                        ; implicit-def: $vgpr13
	s_wait_loadcnt_dscnt 0x101
	v_bfe_i32 v6, v7, 0, 8
	s_wait_loadcnt_dscnt 0x0
	v_bfe_i32 v9, v8, 0, 8
	v_lshlrev_b32_e32 v11, 24, v8
	v_cmp_ne_u16_e64 s10, 0, v8
	v_and_b32_e32 v24, 0xffff, v8
	v_cmp_ne_u16_e64 s7, 0x80, v8
	v_cmp_lt_i16_e32 vcc_lo, -1, v9
	v_and_b32_e32 v12, 0xffff, v7
	v_cmp_ne_u16_e64 s11, 0, v7
	v_and_or_b32 v8, 0x80000000, v11, s27
	v_cndmask_b32_e32 v11, 0xff800000, v17, vcc_lo
	s_and_b32 vcc_lo, exec_lo, s14
	s_cbranch_vccz .LBB6_14749
; %bb.14728:                            ;   in Loop: Header=BB6_14727 Depth=2
	v_dual_mov_b32 v13, 0 :: v_dual_mov_b32 v7, 0
	s_wait_xcnt 0x0
	s_and_saveexec_b32 s40, s11
	s_cbranch_execz .LBB6_14738
; %bb.14729:                            ;   in Loop: Header=BB6_14727 Depth=2
	v_bfrev_b32_e32 v7, 1
	s_mov_b32 s41, exec_lo
	v_cmpx_ne_u16_e32 0xff80, v6
	s_cbranch_execz .LBB6_14737
; %bb.14730:                            ;   in Loop: Header=BB6_14727 Depth=2
	v_and_b32_e32 v7, 0x7c, v12
	v_and_b32_e32 v14, 3, v12
	s_delay_alu instid0(VALU_DEP_2) | instskip(SKIP_1) | instid1(SALU_CYCLE_1)
	v_cmp_ne_u32_e32 vcc_lo, 0x7c, v7
                                        ; implicit-def: $vgpr7
	s_and_saveexec_b32 s42, vcc_lo
	s_xor_b32 s42, exec_lo, s42
	s_cbranch_execz .LBB6_14734
; %bb.14731:                            ;   in Loop: Header=BB6_14727 Depth=2
	v_bfe_u32 v7, v12, 2, 5
	s_mov_b32 s43, exec_lo
	s_delay_alu instid0(VALU_DEP_1)
	v_cmpx_eq_u32_e32 0, v7
; %bb.14732:                            ;   in Loop: Header=BB6_14727 Depth=2
	v_clz_i32_u32_e32 v7, v14
	s_delay_alu instid0(VALU_DEP_1) | instskip(SKIP_1) | instid1(VALU_DEP_2)
	v_min_u32_e32 v16, 32, v7
	v_mov_b32_e32 v7, v25
	v_subrev_nc_u32_e32 v14, 29, v16
	s_delay_alu instid0(VALU_DEP_1) | instskip(NEXT) | instid1(VALU_DEP_1)
	v_lshlrev_b64_e32 v[14:15], v14, v[6:7]
	v_dual_sub_nc_u32 v7, 30, v16 :: v_dual_bitop2_b32 v14, 3, v14 bitop3:0x40
; %bb.14733:                            ;   in Loop: Header=BB6_14727 Depth=2
	s_or_b32 exec_lo, exec_lo, s43
	v_bfe_i32 v15, v6, 0, 16
	s_delay_alu instid0(VALU_DEP_1) | instskip(NEXT) | instid1(VALU_DEP_1)
	v_and_b32_e32 v15, 0x80000000, v15
	v_lshl_add_u32 v7, v7, 23, v15
	s_delay_alu instid0(VALU_DEP_1) | instskip(NEXT) | instid1(VALU_DEP_1)
	v_lshl_or_b32 v7, v14, 21, v7
                                        ; implicit-def: $vgpr14
	v_add_nc_u32_e32 v7, 0x38000000, v7
.LBB6_14734:                            ;   in Loop: Header=BB6_14727 Depth=2
	s_and_not1_saveexec_b32 s42, s42
; %bb.14735:                            ;   in Loop: Header=BB6_14727 Depth=2
	v_cmp_lt_i16_e32 vcc_lo, -1, v6
	v_cndmask_b32_e32 v7, 0xff800000, v17, vcc_lo
	v_cmp_eq_u32_e32 vcc_lo, 0, v14
	s_delay_alu instid0(VALU_DEP_2)
	v_cndmask_b32_e32 v7, 0x7f800001, v7, vcc_lo
; %bb.14736:                            ;   in Loop: Header=BB6_14727 Depth=2
	s_or_b32 exec_lo, exec_lo, s42
.LBB6_14737:                            ;   in Loop: Header=BB6_14727 Depth=2
	s_delay_alu instid0(SALU_CYCLE_1)
	s_or_b32 exec_lo, exec_lo, s41
.LBB6_14738:                            ;   in Loop: Header=BB6_14727 Depth=2
	s_delay_alu instid0(SALU_CYCLE_1)
	s_or_b32 exec_lo, exec_lo, s40
	s_and_saveexec_b32 s40, s10
	s_cbranch_execz .LBB6_14748
; %bb.14739:                            ;   in Loop: Header=BB6_14727 Depth=2
	v_bfrev_b32_e32 v13, 1
	s_and_saveexec_b32 s41, s7
	s_cbranch_execz .LBB6_14747
; %bb.14740:                            ;   in Loop: Header=BB6_14727 Depth=2
	v_and_b32_e32 v13, 0x7c, v9
	v_and_b32_e32 v14, 3, v9
	s_delay_alu instid0(VALU_DEP_2) | instskip(SKIP_1) | instid1(SALU_CYCLE_1)
	v_cmp_ne_u32_e32 vcc_lo, 0x7c, v13
                                        ; implicit-def: $vgpr13
	s_and_saveexec_b32 s42, vcc_lo
	s_xor_b32 s42, exec_lo, s42
	s_cbranch_execz .LBB6_14744
; %bb.14741:                            ;   in Loop: Header=BB6_14727 Depth=2
	v_and_b32_e32 v13, 0xff, v9
	s_mov_b32 s43, exec_lo
	s_delay_alu instid0(VALU_DEP_1) | instskip(NEXT) | instid1(VALU_DEP_1)
	v_bfe_u32 v13, v13, 2, 5
	v_cmpx_eq_u32_e32 0, v13
; %bb.14742:                            ;   in Loop: Header=BB6_14727 Depth=2
	v_clz_i32_u32_e32 v13, v14
	s_delay_alu instid0(VALU_DEP_1) | instskip(NEXT) | instid1(VALU_DEP_1)
	v_min_u32_e32 v13, 32, v13
	v_subrev_nc_u32_e32 v14, 29, v13
	s_delay_alu instid0(VALU_DEP_1) | instskip(NEXT) | instid1(VALU_DEP_1)
	v_lshlrev_b64_e32 v[14:15], v14, v[24:25]
	v_dual_sub_nc_u32 v13, 30, v13 :: v_dual_bitop2_b32 v14, 3, v14 bitop3:0x40
; %bb.14743:                            ;   in Loop: Header=BB6_14727 Depth=2
	s_or_b32 exec_lo, exec_lo, s43
	s_delay_alu instid0(VALU_DEP_1) | instskip(NEXT) | instid1(VALU_DEP_1)
	v_lshl_add_u32 v13, v13, 23, v8
	v_lshl_or_b32 v13, v14, 21, v13
                                        ; implicit-def: $vgpr14
.LBB6_14744:                            ;   in Loop: Header=BB6_14727 Depth=2
	s_and_not1_saveexec_b32 s42, s42
; %bb.14745:                            ;   in Loop: Header=BB6_14727 Depth=2
	v_cmp_eq_u32_e32 vcc_lo, 0, v14
	v_cndmask_b32_e32 v13, 0x7f800001, v11, vcc_lo
; %bb.14746:                            ;   in Loop: Header=BB6_14727 Depth=2
	s_or_b32 exec_lo, exec_lo, s42
.LBB6_14747:                            ;   in Loop: Header=BB6_14727 Depth=2
	s_delay_alu instid0(SALU_CYCLE_1)
	s_or_b32 exec_lo, exec_lo, s41
.LBB6_14748:                            ;   in Loop: Header=BB6_14727 Depth=2
	s_delay_alu instid0(SALU_CYCLE_1) | instskip(NEXT) | instid1(VALU_DEP_1)
	s_or_b32 exec_lo, exec_lo, s40
	v_dual_max_num_f32 v13, v13, v13 :: v_dual_max_num_f32 v7, v7, v7
	s_mov_b32 s40, 0
	s_delay_alu instid0(VALU_DEP_1)
	v_max_num_f32_e32 v13, v7, v13
.LBB6_14749:                            ;   in Loop: Header=BB6_14727 Depth=2
	s_and_b32 vcc_lo, exec_lo, s40
	s_cbranch_vccz .LBB6_14771
; %bb.14750:                            ;   in Loop: Header=BB6_14727 Depth=2
	v_dual_mov_b32 v13, 0 :: v_dual_mov_b32 v7, 0
	s_wait_xcnt 0x0
	s_and_saveexec_b32 s40, s11
	s_cbranch_execz .LBB6_14760
; %bb.14751:                            ;   in Loop: Header=BB6_14727 Depth=2
	v_bfrev_b32_e32 v7, 1
	s_mov_b32 s11, exec_lo
	v_cmpx_ne_u16_e32 0xff80, v6
	s_cbranch_execz .LBB6_14759
; %bb.14752:                            ;   in Loop: Header=BB6_14727 Depth=2
	v_and_b32_e32 v7, 0x7c, v12
	v_and_b32_e32 v14, 3, v12
	s_delay_alu instid0(VALU_DEP_2) | instskip(SKIP_1) | instid1(SALU_CYCLE_1)
	v_cmp_ne_u32_e32 vcc_lo, 0x7c, v7
                                        ; implicit-def: $vgpr7
	s_and_saveexec_b32 s41, vcc_lo
	s_xor_b32 s41, exec_lo, s41
	s_cbranch_execz .LBB6_14756
; %bb.14753:                            ;   in Loop: Header=BB6_14727 Depth=2
	v_bfe_u32 v7, v12, 2, 5
	s_mov_b32 s42, exec_lo
	s_delay_alu instid0(VALU_DEP_1)
	v_cmpx_eq_u32_e32 0, v7
; %bb.14754:                            ;   in Loop: Header=BB6_14727 Depth=2
	v_clz_i32_u32_e32 v7, v14
	s_delay_alu instid0(VALU_DEP_1) | instskip(SKIP_1) | instid1(VALU_DEP_2)
	v_min_u32_e32 v12, 32, v7
	v_mov_b32_e32 v7, v25
	v_subrev_nc_u32_e32 v14, 29, v12
	s_delay_alu instid0(VALU_DEP_1) | instskip(NEXT) | instid1(VALU_DEP_1)
	v_lshlrev_b64_e32 v[14:15], v14, v[6:7]
	v_dual_sub_nc_u32 v7, 30, v12 :: v_dual_bitop2_b32 v14, 3, v14 bitop3:0x40
; %bb.14755:                            ;   in Loop: Header=BB6_14727 Depth=2
	s_or_b32 exec_lo, exec_lo, s42
	v_bfe_i32 v6, v6, 0, 16
	s_delay_alu instid0(VALU_DEP_1) | instskip(NEXT) | instid1(VALU_DEP_1)
	v_and_b32_e32 v6, 0x80000000, v6
	v_lshl_add_u32 v6, v7, 23, v6
	s_delay_alu instid0(VALU_DEP_1) | instskip(NEXT) | instid1(VALU_DEP_1)
	v_lshl_or_b32 v6, v14, 21, v6
                                        ; implicit-def: $vgpr14
	v_add_nc_u32_e32 v7, 0x38000000, v6
                                        ; implicit-def: $vgpr6
.LBB6_14756:                            ;   in Loop: Header=BB6_14727 Depth=2
	s_and_not1_saveexec_b32 s41, s41
; %bb.14757:                            ;   in Loop: Header=BB6_14727 Depth=2
	v_cmp_lt_i16_e32 vcc_lo, -1, v6
	v_cndmask_b32_e32 v6, 0xff800000, v17, vcc_lo
	v_cmp_eq_u32_e32 vcc_lo, 0, v14
	s_delay_alu instid0(VALU_DEP_2)
	v_cndmask_b32_e32 v7, 0x7f800001, v6, vcc_lo
; %bb.14758:                            ;   in Loop: Header=BB6_14727 Depth=2
	s_or_b32 exec_lo, exec_lo, s41
.LBB6_14759:                            ;   in Loop: Header=BB6_14727 Depth=2
	s_delay_alu instid0(SALU_CYCLE_1)
	s_or_b32 exec_lo, exec_lo, s11
.LBB6_14760:                            ;   in Loop: Header=BB6_14727 Depth=2
	s_delay_alu instid0(SALU_CYCLE_1)
	s_or_b32 exec_lo, exec_lo, s40
	s_and_saveexec_b32 s11, s10
	s_cbranch_execz .LBB6_14770
; %bb.14761:                            ;   in Loop: Header=BB6_14727 Depth=2
	v_bfrev_b32_e32 v13, 1
	s_and_saveexec_b32 s10, s7
	s_cbranch_execz .LBB6_14769
; %bb.14762:                            ;   in Loop: Header=BB6_14727 Depth=2
	v_and_b32_e32 v12, 0x7c, v9
	v_and_b32_e32 v6, 3, v9
	s_mov_b32 s7, exec_lo
                                        ; implicit-def: $vgpr13
	s_delay_alu instid0(VALU_DEP_2)
	v_cmpx_ne_u32_e32 0x7c, v12
	s_xor_b32 s7, exec_lo, s7
	s_cbranch_execz .LBB6_14766
; %bb.14763:                            ;   in Loop: Header=BB6_14727 Depth=2
	v_and_b32_e32 v9, 0xff, v9
	s_mov_b32 s40, exec_lo
	s_delay_alu instid0(VALU_DEP_1) | instskip(NEXT) | instid1(VALU_DEP_1)
	v_bfe_u32 v9, v9, 2, 5
	v_cmpx_eq_u32_e32 0, v9
; %bb.14764:                            ;   in Loop: Header=BB6_14727 Depth=2
	v_clz_i32_u32_e32 v6, v6
	s_delay_alu instid0(VALU_DEP_1) | instskip(NEXT) | instid1(VALU_DEP_1)
	v_min_u32_e32 v6, 32, v6
	v_subrev_nc_u32_e32 v9, 29, v6
	s_delay_alu instid0(VALU_DEP_1) | instskip(NEXT) | instid1(VALU_DEP_1)
	v_lshlrev_b64_e32 v[12:13], v9, v[24:25]
	v_dual_sub_nc_u32 v9, 30, v6 :: v_dual_bitop2_b32 v6, 3, v12 bitop3:0x40
; %bb.14765:                            ;   in Loop: Header=BB6_14727 Depth=2
	s_or_b32 exec_lo, exec_lo, s40
	s_delay_alu instid0(VALU_DEP_1) | instskip(NEXT) | instid1(VALU_DEP_1)
	v_lshl_add_u32 v8, v9, 23, v8
                                        ; implicit-def: $vgpr11
	v_lshl_or_b32 v13, v6, 21, v8
                                        ; implicit-def: $vgpr6
.LBB6_14766:                            ;   in Loop: Header=BB6_14727 Depth=2
	s_and_not1_saveexec_b32 s7, s7
; %bb.14767:                            ;   in Loop: Header=BB6_14727 Depth=2
	v_cmp_eq_u32_e32 vcc_lo, 0, v6
	v_cndmask_b32_e32 v13, 0x7f800001, v11, vcc_lo
; %bb.14768:                            ;   in Loop: Header=BB6_14727 Depth=2
	s_or_b32 exec_lo, exec_lo, s7
.LBB6_14769:                            ;   in Loop: Header=BB6_14727 Depth=2
	s_delay_alu instid0(SALU_CYCLE_1)
	s_or_b32 exec_lo, exec_lo, s10
.LBB6_14770:                            ;   in Loop: Header=BB6_14727 Depth=2
	s_delay_alu instid0(SALU_CYCLE_1) | instskip(NEXT) | instid1(VALU_DEP_1)
	s_or_b32 exec_lo, exec_lo, s11
	v_dual_max_num_f32 v6, v13, v13 :: v_dual_max_num_f32 v7, v7, v7
	s_delay_alu instid0(VALU_DEP_1)
	v_min_num_f32_e32 v13, v7, v6
.LBB6_14771:                            ;   in Loop: Header=BB6_14727 Depth=2
	s_delay_alu instid0(VALU_DEP_1) | instskip(SKIP_2) | instid1(VALU_DEP_2)
	v_and_b32_e32 v6, 0x7f800000, v13
	v_mov_b32_e32 v7, v25
	v_and_b32_e32 v24, 0x7fffff, v13
	v_cmp_ne_u64_e32 vcc_lo, 0x7f800000, v[6:7]
                                        ; implicit-def: $vgpr7
	s_wait_xcnt 0x0
	s_and_saveexec_b32 s7, vcc_lo
	s_delay_alu instid0(SALU_CYCLE_1)
	s_xor_b32 s10, exec_lo, s7
	s_cbranch_execz .LBB6_14789
; %bb.14772:                            ;   in Loop: Header=BB6_14727 Depth=2
	v_and_b32_e32 v6, 0x7fffffff, v13
	v_dual_mov_b32 v7, v25 :: v_dual_lshrrev_b32 v8, 24, v13
	s_delay_alu instid0(VALU_DEP_1) | instskip(NEXT) | instid1(VALU_DEP_2)
	v_cmp_gt_u64_e32 vcc_lo, 0x47600001, v[6:7]
	v_and_b32_e32 v11, 0x80, v8
                                        ; implicit-def: $vgpr7
	s_and_saveexec_b32 s7, vcc_lo
	s_delay_alu instid0(SALU_CYCLE_1)
	s_xor_b32 s11, exec_lo, s7
	s_cbranch_execz .LBB6_14786
; %bb.14773:                            ;   in Loop: Header=BB6_14727 Depth=2
	v_mov_b32_e32 v7, 0
	s_mov_b32 s40, exec_lo
	v_cmpx_ne_u32_e32 0, v13
	s_cbranch_execz .LBB6_14785
; %bb.14774:                            ;   in Loop: Header=BB6_14727 Depth=2
	v_bfe_u32 v12, v13, 23, 8
	v_or_b32_e32 v8, 0x800000, v24
	s_delay_alu instid0(VALU_DEP_2) | instskip(SKIP_1) | instid1(VALU_DEP_2)
	v_sub_nc_u32_e32 v6, 0x71, v12
	v_cmp_gt_u32_e32 vcc_lo, 0x72, v12
	v_cndmask_b32_e32 v6, 0, v6, vcc_lo
	v_cmp_eq_u32_e32 vcc_lo, 0, v12
	s_delay_alu instid0(VALU_DEP_2) | instskip(NEXT) | instid1(VALU_DEP_1)
	v_cndmask_b32_e64 v13, v6, 0x70, vcc_lo
	v_dual_cndmask_b32 v24, v8, v24, vcc_lo :: v_dual_add_nc_u32 v6, 21, v13
	v_add_nc_u32_e32 v9, 20, v13
	s_delay_alu instid0(VALU_DEP_2) | instskip(NEXT) | instid1(VALU_DEP_2)
	v_lshlrev_b64_e64 v[6:7], v6, -1
	v_lshlrev_b64_e64 v[8:9], v9, 1
	s_delay_alu instid0(VALU_DEP_2) | instskip(NEXT) | instid1(VALU_DEP_3)
	v_bfi_b32 v15, v7, 0, 0
	v_bfi_b32 v14, v6, 0, v24
	v_lshrrev_b64 v[6:7], v13, v[24:25]
	s_delay_alu instid0(VALU_DEP_2) | instskip(NEXT) | instid1(VALU_DEP_2)
	v_cmp_eq_u64_e64 s7, v[14:15], v[8:9]
	v_mov_b64_e32 v[8:9], v[6:7]
	s_and_saveexec_b32 s41, s7
; %bb.14775:                            ;   in Loop: Header=BB6_14727 Depth=2
	v_bfe_u32 v24, v6, 21, 1
	s_delay_alu instid0(VALU_DEP_1) | instskip(NEXT) | instid1(VALU_DEP_1)
	v_add_nc_u64_e32 v[8:9], v[6:7], v[24:25]
	v_add_nc_u64_e32 v[8:9], -1, v[8:9]
; %bb.14776:                            ;   in Loop: Header=BB6_14727 Depth=2
	s_or_b32 exec_lo, exec_lo, s41
	v_add_nc_u32_e32 v7, 0xffffff81, v12
	v_lshrrev_b32_e32 v9, 23, v6
	s_mov_b32 s7, exec_lo
	s_delay_alu instid0(VALU_DEP_2) | instskip(NEXT) | instid1(VALU_DEP_1)
	v_cndmask_b32_e64 v7, v7, 0xffffff82, vcc_lo
	v_add3_u32 v9, v13, v7, v9
	v_and_b32_e32 v7, 0x1fffff, v8
                                        ; implicit-def: $vgpr8
	s_delay_alu instid0(VALU_DEP_1) | instskip(NEXT) | instid1(VALU_DEP_1)
	v_dual_add_nc_u32 v12, 14, v9 :: v_dual_add_nc_u32 v24, v7, v6
                                        ; implicit-def: $vgpr6_vgpr7
	v_cmpx_ne_u32_e32 0, v12
	s_xor_b32 s7, exec_lo, s7
; %bb.14777:                            ;   in Loop: Header=BB6_14727 Depth=2
	s_delay_alu instid0(VALU_DEP_2) | instskip(SKIP_1) | instid1(VALU_DEP_1)
	v_cmp_lt_u64_e32 vcc_lo, 0xffffff, v[24:25]
	v_add_nc_u32_e32 v6, 15, v9
	v_cndmask_b32_e32 v8, v12, v6, vcc_lo
	v_cndmask_b32_e64 v6, 0, 1, vcc_lo
	s_delay_alu instid0(VALU_DEP_1)
	v_lshrrev_b64 v[6:7], v6, v[24:25]
; %bb.14778:                            ;   in Loop: Header=BB6_14727 Depth=2
	s_and_not1_saveexec_b32 s7, s7
; %bb.14779:                            ;   in Loop: Header=BB6_14727 Depth=2
	v_mov_b64_e32 v[6:7], v[24:25]
	v_bfe_u32 v8, v24, 23, 1
; %bb.14780:                            ;   in Loop: Header=BB6_14727 Depth=2
	s_or_b32 exec_lo, exec_lo, s7
	s_delay_alu instid0(VALU_DEP_2) | instskip(NEXT) | instid1(VALU_DEP_2)
	v_lshrrev_b64 v[6:7], 21, v[6:7]
	v_cmp_gt_i32_e32 vcc_lo, 32, v8
	v_cmp_ne_u32_e64 s7, 0, v8
	s_delay_alu instid0(VALU_DEP_3) | instskip(NEXT) | instid1(VALU_DEP_1)
	v_dual_cndmask_b32 v7, 0, v7 :: v_dual_cndmask_b32 v6, 3, v6
	v_cmp_ne_u64_e32 vcc_lo, 0, v[6:7]
                                        ; implicit-def: $vgpr7
	s_or_b32 s7, s7, vcc_lo
	s_delay_alu instid0(SALU_CYCLE_1) | instskip(NEXT) | instid1(SALU_CYCLE_1)
	s_and_saveexec_b32 s41, s7
	s_xor_b32 s7, exec_lo, s41
; %bb.14781:                            ;   in Loop: Header=BB6_14727 Depth=2
	v_min_i32_e32 v7, 31, v8
	s_delay_alu instid0(VALU_DEP_1) | instskip(NEXT) | instid1(VALU_DEP_1)
	v_lshl_or_b32 v7, v7, 2, v11
                                        ; implicit-def: $vgpr11
	v_and_or_b32 v7, v6, 3, v7
; %bb.14782:                            ;   in Loop: Header=BB6_14727 Depth=2
	s_and_not1_saveexec_b32 s7, s7
; %bb.14783:                            ;   in Loop: Header=BB6_14727 Depth=2
	v_mov_b32_e32 v7, v11
; %bb.14784:                            ;   in Loop: Header=BB6_14727 Depth=2
	s_or_b32 exec_lo, exec_lo, s7
.LBB6_14785:                            ;   in Loop: Header=BB6_14727 Depth=2
	s_delay_alu instid0(SALU_CYCLE_1)
	s_or_b32 exec_lo, exec_lo, s40
                                        ; implicit-def: $vgpr11
.LBB6_14786:                            ;   in Loop: Header=BB6_14727 Depth=2
	s_and_not1_saveexec_b32 s7, s11
; %bb.14787:                            ;   in Loop: Header=BB6_14727 Depth=2
	v_or_b32_e32 v7, 0x7b, v11
; %bb.14788:                            ;   in Loop: Header=BB6_14727 Depth=2
	s_or_b32 exec_lo, exec_lo, s7
                                        ; implicit-def: $vgpr13
.LBB6_14789:                            ;   in Loop: Header=BB6_14727 Depth=2
	s_and_not1_saveexec_b32 s7, s10
	s_cbranch_execz .LBB6_14726
; %bb.14790:                            ;   in Loop: Header=BB6_14727 Depth=2
	s_mov_b32 s10, exec_lo
                                        ; implicit-def: $vgpr7
	v_cmpx_ne_u64_e32 0, v[24:25]
	s_xor_b32 s10, exec_lo, s10
; %bb.14791:                            ;   in Loop: Header=BB6_14727 Depth=2
	v_lshrrev_b32_e32 v6, 24, v13
                                        ; implicit-def: $vgpr13
	s_delay_alu instid0(VALU_DEP_1)
	v_or_b32_e32 v7, 0x7f, v6
; %bb.14792:                            ;   in Loop: Header=BB6_14727 Depth=2
	s_and_not1_saveexec_b32 s10, s10
	s_cbranch_execz .LBB6_14725
; %bb.14793:                            ;   in Loop: Header=BB6_14727 Depth=2
	v_cmp_lt_i32_e32 vcc_lo, -1, v13
	v_cndmask_b32_e64 v7, -4, 0x7c, vcc_lo
	s_branch .LBB6_14725
.LBB6_14794:                            ;   in Loop: Header=BB6_7467 Depth=1
	s_or_b32 exec_lo, exec_lo, s12
	v_cmp_ne_u32_e64 s7, 0, v104
	s_and_saveexec_b32 s10, s2
	s_cbranch_execz .LBB6_14813
.LBB6_14795:                            ;   in Loop: Header=BB6_7467 Depth=1
	s_and_saveexec_b32 s11, s3
	s_delay_alu instid0(SALU_CYCLE_1)
	s_xor_b32 s11, exec_lo, s11
	s_cbranch_execz .LBB6_14810
; %bb.14796:                            ;   in Loop: Header=BB6_7467 Depth=1
	s_and_saveexec_b32 s12, s4
	s_cbranch_execz .LBB6_14809
; %bb.14797:                            ;   in Loop: Header=BB6_7467 Depth=1
	s_mov_b32 s14, exec_lo
	s_mov_b32 s13, exec_lo
	v_mbcnt_lo_u32_b32 v0, s14, 0
	global_wb scope:SCOPE_DEV
	s_wait_storecnt 0x0
	s_wait_loadcnt_dscnt 0x0
	global_inv scope:SCOPE_DEV
	v_cmpx_eq_u32_e32 0, v0
	s_cbranch_execz .LBB6_14799
; %bb.14798:                            ;   in Loop: Header=BB6_7467 Depth=1
	s_bcnt1_i32_b32 s14, s14
	s_delay_alu instid0(SALU_CYCLE_1)
	v_mov_b32_e32 v24, s14
	s_wait_loadcnt 0x0
	ds_add_u64 v0, v[24:25]
	s_trap 2
.LBB6_14799:                            ;   in Loop: Header=BB6_7467 Depth=1
	s_or_b32 exec_lo, exec_lo, s13
	s_trap 2
	ds_load_b64 v[0:1], v0
	s_wait_dscnt 0x0
	s_clause 0x1
	scratch_load_b64 v[2:3], off, s33 offset:196 th:TH_LOAD_LU
	scratch_load_b64 v[4:5], off, s33 offset:212
	s_mov_b32 s13, exec_lo
	s_wait_loadcnt 0x0
	v_add_nc_u64_e32 v[2:3], v[2:3], v[4:5]
	scratch_store_b64 off, v[2:3], s33 offset:196 ; 8-byte Folded Spill
	s_wait_xcnt 0x0
	v_cmpx_lt_u64_e64 v[0:1], v[2:3]
	s_cbranch_execz .LBB6_14808
; %bb.14800:                            ;   in Loop: Header=BB6_7467 Depth=1
	s_mov_b32 s14, 0
	s_mov_b32 s42, 0
                                        ; implicit-def: $sgpr40
                                        ; implicit-def: $sgpr41
	s_branch .LBB6_14802
.LBB6_14801:                            ;   in Loop: Header=BB6_14802 Depth=2
	s_wait_xcnt 0x0
	s_or_b32 exec_lo, exec_lo, s44
	s_delay_alu instid0(SALU_CYCLE_1) | instskip(NEXT) | instid1(SALU_CYCLE_1)
	s_and_b32 s43, exec_lo, s45
	s_or_b32 s14, s43, s14
	s_and_not1_b32 s40, s40, exec_lo
	s_and_b32 s43, s41, exec_lo
	s_delay_alu instid0(SALU_CYCLE_1)
	s_or_b32 s40, s40, s43
	s_and_not1_b32 exec_lo, exec_lo, s14
	s_cbranch_execz .LBB6_14806
.LBB6_14802:                            ;   Parent Loop BB6_7467 Depth=1
                                        ; =>  This Inner Loop Header: Depth=2
	s_add_co_i32 s42, s42, 1
	s_delay_alu instid0(SALU_CYCLE_1) | instskip(SKIP_1) | instid1(SALU_CYCLE_1)
	s_cmp_lg_u32 s42, 0x2710
	s_cselect_b32 s43, -1, 0
	s_and_b32 vcc_lo, exec_lo, s43
	s_cbranch_vccz .LBB6_14804
; %bb.14803:                            ;   in Loop: Header=BB6_14802 Depth=2
	s_mov_b32 s45, -1
	s_or_b32 s41, s41, exec_lo
	s_and_saveexec_b32 s44, s43
	s_cbranch_execz .LBB6_14801
	s_branch .LBB6_14805
.LBB6_14804:                            ;   in Loop: Header=BB6_14802 Depth=2
	s_trap 2
	ds_load_b64 v[0:1], v0
	s_and_not1_b32 s43, s43, exec_lo
	s_mov_b32 s42, 0
	s_wait_storecnt_dscnt 0x0
	flat_load_b32 v0, v[0:1] scope:SCOPE_SYS
	s_wait_loadcnt_dscnt 0x0
	global_inv scope:SCOPE_SYS
	v_cmp_eq_u32_e32 vcc_lo, 0, v0
	s_and_b32 s44, vcc_lo, exec_lo
	s_delay_alu instid0(SALU_CYCLE_1)
	s_or_b32 s43, s43, s44
	s_mov_b32 s45, -1
	s_or_b32 s41, s41, exec_lo
	s_wait_xcnt 0x0
	s_and_saveexec_b32 s44, s43
	s_cbranch_execz .LBB6_14801
.LBB6_14805:                            ;   in Loop: Header=BB6_14802 Depth=2
	s_sleep 1
	s_trap 2
	ds_load_b64 v[0:1], v0
	s_wait_dscnt 0x0
	scratch_load_b64 v[2:3], off, s33 offset:196 ; 8-byte Folded Reload
	s_and_not1_b32 s41, s41, exec_lo
	s_wait_loadcnt 0x0
	v_cmp_ge_u64_e32 vcc_lo, v[0:1], v[2:3]
	s_or_not1_b32 s45, vcc_lo, exec_lo
	s_branch .LBB6_14801
.LBB6_14806:                            ;   in Loop: Header=BB6_7467 Depth=1
	s_or_b32 exec_lo, exec_lo, s14
	s_and_saveexec_b32 s14, s40
	s_delay_alu instid0(SALU_CYCLE_1)
	s_xor_b32 s14, exec_lo, s14
	s_cbranch_execz .LBB6_14808
; %bb.14807:                            ;   in Loop: Header=BB6_7467 Depth=1
	v_mov_b32_e32 v0, 1
	ds_store_b32 v0, v0
	s_trap 2
.LBB6_14808:                            ;   in Loop: Header=BB6_7467 Depth=1
	s_or_b32 exec_lo, exec_lo, s13
	;;#ASMSTART
	s_wakeup
	;;#ASMEND
.LBB6_14809:                            ;   in Loop: Header=BB6_7467 Depth=1
	s_or_b32 exec_lo, exec_lo, s12
.LBB6_14810:                            ;   in Loop: Header=BB6_7467 Depth=1
	s_and_not1_saveexec_b32 s11, s11
	s_cbranch_execz .LBB6_14812
; %bb.14811:                            ;   in Loop: Header=BB6_7467 Depth=1
	global_wb scope:SCOPE_DEV
	s_wait_storecnt 0x0
	s_wait_loadcnt_dscnt 0x0
	global_inv scope:SCOPE_DEV
	s_barrier_signal -1
	s_barrier_wait -1
.LBB6_14812:                            ;   in Loop: Header=BB6_7467 Depth=1
	s_or_b32 exec_lo, exec_lo, s11
.LBB6_14813:                            ;   in Loop: Header=BB6_7467 Depth=1
	s_delay_alu instid0(SALU_CYCLE_1) | instskip(SKIP_1) | instid1(VALU_DEP_1)
	s_or_b32 exec_lo, exec_lo, s10
	v_and_b32_e32 v0, 16, v58
	v_cmp_ne_u32_e32 vcc_lo, 0, v0
	s_and_b32 s10, vcc_lo, s7
	s_delay_alu instid0(SALU_CYCLE_1)
	s_and_saveexec_b32 s7, s10
	s_cbranch_execz .LBB6_14815
; %bb.14814:                            ;   in Loop: Header=BB6_7467 Depth=1
	global_wb scope:SCOPE_SYS
	s_wait_storecnt 0x0
	s_wait_loadcnt_dscnt 0x0
	global_inv scope:SCOPE_SYS
.LBB6_14815:                            ;   in Loop: Header=BB6_7467 Depth=1
	s_or_b32 exec_lo, exec_lo, s7
	v_and_b32_e32 v0, 32, v58
	s_mov_b32 s7, exec_lo
	s_delay_alu instid0(VALU_DEP_1)
	v_cmpx_ne_u32_e32 0, v0
	s_cbranch_execz .LBB6_14817
; %bb.14816:                            ;   in Loop: Header=BB6_7467 Depth=1
	v_add_nc_u64_e32 v[62:63], 1, v[62:63]
	global_wb scope:SCOPE_SYS
	s_wait_storecnt 0x0
	s_wait_loadcnt_dscnt 0x0
	flat_store_b64 v[46:47], v[62:63] scope:SCOPE_SYS
.LBB6_14817:                            ;   in Loop: Header=BB6_7467 Depth=1
	s_wait_xcnt 0x0
	s_or_b32 exec_lo, exec_lo, s7
	v_mov_b32_e32 v6, v95
.LBB6_14818:                            ;   in Loop: Header=BB6_7467 Depth=1
	s_or_b32 exec_lo, exec_lo, s29
	s_and_saveexec_b32 s10, s28
	s_cbranch_execnz .LBB6_14819
; %bb.15118:                            ;   in Loop: Header=BB6_7467 Depth=1
	s_add_pc_i64 .LBB6_7466-.Lpost_addpc25
.Lpost_addpc25:
.LBB6_14819:                            ;   in Loop: Header=BB6_7467 Depth=1
	v_and_b32_e32 v0, 4, v58
	s_mov_b32 s11, exec_lo
	s_delay_alu instid0(VALU_DEP_1)
	v_cmpx_ne_u32_e32 0, v0
	s_cbranch_execz .LBB6_14841
; %bb.14820:                            ;   in Loop: Header=BB6_7467 Depth=1
	scratch_load_b64 v[2:3], off, s33 offset:188 ; 8-byte Folded Reload
	s_wait_dscnt 0x0
	v_add_nc_u64_e32 v[0:1], 1, v[62:63]
	s_mov_b32 s12, exec_lo
	s_wait_loadcnt 0x0
	s_delay_alu instid0(VALU_DEP_1)
	v_cmpx_lt_u64_e64 v[2:3], v[0:1]
	s_cbranch_execz .LBB6_14832
; %bb.14821:                            ;   in Loop: Header=BB6_7467 Depth=1
	v_and_b32_e32 v2, 64, v58
	s_mov_b32 s13, 0
	s_mov_b32 s40, 0
                                        ; implicit-def: $sgpr14
                                        ; implicit-def: $sgpr28
                                        ; implicit-def: $sgpr29
	s_delay_alu instid0(VALU_DEP_1)
	v_cmp_eq_u32_e32 vcc_lo, 0, v2
	s_branch .LBB6_14825
.LBB6_14822:                            ;   in Loop: Header=BB6_14825 Depth=2
	scratch_load_b64 v[4:5], off, s33 offset:188 ; 8-byte Folded Reload
	s_or_b32 s43, s43, exec_lo
	s_wait_loadcnt 0x0
	v_cmp_ge_u64_e64 s7, v[4:5], v[0:1]
	s_or_not1_b32 s42, s7, exec_lo
.LBB6_14823:                            ;   in Loop: Header=BB6_14825 Depth=2
	s_wait_xcnt 0x0
	s_or_b32 exec_lo, exec_lo, s45
	s_delay_alu instid0(SALU_CYCLE_1)
	s_and_not1_b32 s7, s29, exec_lo
	s_and_b32 s29, s43, exec_lo
	s_and_not1_b32 s28, s28, exec_lo
	s_and_b32 s42, s42, exec_lo
	s_or_b32 s29, s7, s29
	s_or_b32 s28, s28, s42
.LBB6_14824:                            ;   in Loop: Header=BB6_14825 Depth=2
	s_or_b32 exec_lo, exec_lo, s41
	s_delay_alu instid0(SALU_CYCLE_1) | instskip(NEXT) | instid1(SALU_CYCLE_1)
	s_and_b32 s7, exec_lo, s28
	s_or_b32 s13, s7, s13
	s_and_not1_b32 s7, s14, exec_lo
	s_and_b32 s14, s29, exec_lo
	s_delay_alu instid0(SALU_CYCLE_1)
	s_or_b32 s14, s7, s14
	s_and_not1_b32 exec_lo, exec_lo, s13
	s_cbranch_execz .LBB6_14829
.LBB6_14825:                            ;   Parent Loop BB6_7467 Depth=1
                                        ; =>  This Inner Loop Header: Depth=2
	s_sleep 1
	flat_load_b64 v[2:3], v[46:47] scope:SCOPE_SYS
	s_or_b32 s29, s29, exec_lo
	s_or_b32 s28, s28, exec_lo
	s_wait_loadcnt_dscnt 0x0
	scratch_store_b64 off, v[2:3], s33 offset:188 ; 8-byte Folded Spill
                                        ; implicit-def: $vgpr2
	s_wait_xcnt 0x0
	s_and_saveexec_b32 s41, vcc_lo
	s_cbranch_execz .LBB6_14824
; %bb.14826:                            ;   in Loop: Header=BB6_14825 Depth=2
	s_cmp_lt_i32 s40, 0x270f
	s_mov_b32 s42, -1
	s_cselect_b32 s44, -1, 0
	s_cmp_gt_i32 s40, 0x270e
	s_cbranch_scc0 .LBB6_14828
; %bb.14827:                            ;   in Loop: Header=BB6_14825 Depth=2
	s_trap 2
	ds_load_b64 v[2:3], v0
	s_and_not1_b32 s40, s44, exec_lo
	s_mov_b32 s43, 0
	s_wait_storecnt_dscnt 0x0
	flat_load_b32 v2, v[2:3] scope:SCOPE_SYS
	s_wait_loadcnt_dscnt 0x0
	global_inv scope:SCOPE_SYS
	v_cmp_eq_u32_e64 s7, 0, v2
	s_and_b32 s7, s7, exec_lo
	s_delay_alu instid0(SALU_CYCLE_1)
	s_or_b32 s44, s40, s7
	s_mov_b32 s40, 0
	s_and_saveexec_b32 s45, s44
	s_cbranch_execz .LBB6_14823
	s_branch .LBB6_14822
.LBB6_14828:                            ;   in Loop: Header=BB6_14825 Depth=2
	s_add_co_i32 s40, s40, 1
	s_mov_b32 s43, -1
                                        ; implicit-def: $vgpr2
	s_and_saveexec_b32 s45, s44
	s_cbranch_execz .LBB6_14823
	s_branch .LBB6_14822
.LBB6_14829:                            ;   in Loop: Header=BB6_7467 Depth=1
	s_or_b32 exec_lo, exec_lo, s13
	s_xor_b32 s7, s14, -1
	s_delay_alu instid0(SALU_CYCLE_1) | instskip(NEXT) | instid1(SALU_CYCLE_1)
	s_and_saveexec_b32 s13, s7
	s_xor_b32 s7, exec_lo, s13
	s_cbranch_execz .LBB6_14831
; %bb.14830:                            ;   in Loop: Header=BB6_7467 Depth=1
	v_or_b32_e32 v58, 64, v58
	s_wait_loadcnt 0x0
	s_wait_storecnt 0x0
	ds_store_b32 v0, v2
	s_trap 2
.LBB6_14831:                            ;   in Loop: Header=BB6_7467 Depth=1
	s_or_b32 exec_lo, exec_lo, s7
.LBB6_14832:                            ;   in Loop: Header=BB6_7467 Depth=1
	s_delay_alu instid0(SALU_CYCLE_1) | instskip(SKIP_4) | instid1(VALU_DEP_2)
	s_or_b32 exec_lo, exec_lo, s12
	v_and_b32_e32 v2, 0x100, v58
	v_and_b32_e32 v24, 7, v62
	s_mov_b32 s7, -1
	;;#ASMSTART
	s_wakeup
	;;#ASMEND
	v_cmp_ne_u32_e32 vcc_lo, 0, v2
                                        ; implicit-def: $vgpr2_vgpr3
	s_and_saveexec_b32 s12, vcc_lo
	s_cbranch_execz .LBB6_14836
; %bb.14833:                            ;   in Loop: Header=BB6_7467 Depth=1
	v_mad_nc_u64_u32 v[4:5], v24, 24, v[60:61]
	flat_load_b32 v2, v[4:5]
	s_wait_loadcnt_dscnt 0x0
	v_cmp_eq_u32_e64 s7, 1, v2
	v_cmp_ne_u32_e32 vcc_lo, 1, v2
                                        ; implicit-def: $vgpr2_vgpr3
	s_wait_xcnt 0x0
	s_and_saveexec_b32 s13, s7
	s_cbranch_execz .LBB6_14835
; %bb.14834:                            ;   in Loop: Header=BB6_7467 Depth=1
	flat_load_b32 v2, v[4:5] offset:4 scope:SCOPE_SYS
	s_wait_loadcnt_dscnt 0x0
	v_ashrrev_i32_e32 v3, 31, v2
.LBB6_14835:                            ;   in Loop: Header=BB6_7467 Depth=1
	s_wait_xcnt 0x0
	s_or_b32 exec_lo, exec_lo, s13
	s_delay_alu instid0(SALU_CYCLE_1)
	s_or_not1_b32 s7, vcc_lo, exec_lo
.LBB6_14836:                            ;   in Loop: Header=BB6_7467 Depth=1
	s_or_b32 exec_lo, exec_lo, s12
	s_and_saveexec_b32 s12, s7
; %bb.14837:                            ;   in Loop: Header=BB6_7467 Depth=1
	v_mul_u64_e32 v[2:3], v[24:25], v[44:45]
; %bb.14838:                            ;   in Loop: Header=BB6_7467 Depth=1
	s_or_b32 exec_lo, exec_lo, s12
	scratch_load_b64 v[8:9], off, s33 offset:268 ; 8-byte Folded Reload
	v_and_b32_e32 v4, 0x2000, v58
	s_mov_b32 s7, exec_lo
	s_wait_loadcnt 0x0
	v_add_nc_u64_e32 v[2:3], v[8:9], v[2:3]
	ds_store_b64 v0, v[2:3] offset:728
	s_wait_xcnt 0x0
	v_cmpx_ne_u32_e32 0, v4
	s_cbranch_execz .LBB6_14840
; %bb.14839:                            ;   in Loop: Header=BB6_7467 Depth=1
	ds_load_b64 v[2:3], v0 offset:872
	s_wait_dscnt 0x0
	v_add_nc_u64_e32 v[2:3], 1, v[2:3]
	ds_store_b64 v0, v[2:3] offset:872
.LBB6_14840:                            ;   in Loop: Header=BB6_7467 Depth=1
	s_or_b32 exec_lo, exec_lo, s7
	v_mov_b64_e32 v[62:63], v[0:1]
.LBB6_14841:                            ;   in Loop: Header=BB6_7467 Depth=1
	s_or_b32 exec_lo, exec_lo, s11
	s_and_saveexec_b32 s7, s2
	s_cbranch_execz .LBB6_14860
; %bb.14842:                            ;   in Loop: Header=BB6_7467 Depth=1
	s_and_saveexec_b32 s11, s3
	s_delay_alu instid0(SALU_CYCLE_1)
	s_xor_b32 s11, exec_lo, s11
	s_cbranch_execz .LBB6_14857
; %bb.14843:                            ;   in Loop: Header=BB6_7467 Depth=1
	s_and_saveexec_b32 s12, s4
	s_cbranch_execz .LBB6_14856
; %bb.14844:                            ;   in Loop: Header=BB6_7467 Depth=1
	s_mov_b32 s14, exec_lo
	s_mov_b32 s13, exec_lo
	v_mbcnt_lo_u32_b32 v0, s14, 0
	global_wb scope:SCOPE_DEV
	s_wait_storecnt 0x0
	s_wait_loadcnt_dscnt 0x0
	global_inv scope:SCOPE_DEV
	v_cmpx_eq_u32_e32 0, v0
	s_cbranch_execz .LBB6_14846
; %bb.14845:                            ;   in Loop: Header=BB6_7467 Depth=1
	s_bcnt1_i32_b32 s14, s14
	s_delay_alu instid0(SALU_CYCLE_1)
	v_mov_b32_e32 v24, s14
	s_wait_loadcnt 0x0
	ds_add_u64 v0, v[24:25]
	s_trap 2
.LBB6_14846:                            ;   in Loop: Header=BB6_7467 Depth=1
	s_or_b32 exec_lo, exec_lo, s13
	s_trap 2
	ds_load_b64 v[0:1], v0
	s_wait_dscnt 0x0
	s_clause 0x1
	scratch_load_b64 v[2:3], off, s33 offset:196 th:TH_LOAD_LU
	scratch_load_b64 v[4:5], off, s33 offset:212
	s_mov_b32 s13, exec_lo
	s_wait_loadcnt 0x0
	v_add_nc_u64_e32 v[2:3], v[2:3], v[4:5]
	scratch_store_b64 off, v[2:3], s33 offset:196 ; 8-byte Folded Spill
	s_wait_xcnt 0x0
	v_cmpx_lt_u64_e64 v[0:1], v[2:3]
	s_cbranch_execz .LBB6_14855
; %bb.14847:                            ;   in Loop: Header=BB6_7467 Depth=1
	s_mov_b32 s14, 0
	s_mov_b32 s40, 0
                                        ; implicit-def: $sgpr28
                                        ; implicit-def: $sgpr29
	s_branch .LBB6_14849
.LBB6_14848:                            ;   in Loop: Header=BB6_14849 Depth=2
	s_wait_xcnt 0x0
	s_or_b32 exec_lo, exec_lo, s42
	s_delay_alu instid0(SALU_CYCLE_1) | instskip(NEXT) | instid1(SALU_CYCLE_1)
	s_and_b32 s41, exec_lo, s43
	s_or_b32 s14, s41, s14
	s_and_not1_b32 s28, s28, exec_lo
	s_and_b32 s41, s29, exec_lo
	s_delay_alu instid0(SALU_CYCLE_1)
	s_or_b32 s28, s28, s41
	s_and_not1_b32 exec_lo, exec_lo, s14
	s_cbranch_execz .LBB6_14853
.LBB6_14849:                            ;   Parent Loop BB6_7467 Depth=1
                                        ; =>  This Inner Loop Header: Depth=2
	s_add_co_i32 s40, s40, 1
	s_delay_alu instid0(SALU_CYCLE_1) | instskip(SKIP_1) | instid1(SALU_CYCLE_1)
	s_cmp_lg_u32 s40, 0x2710
	s_cselect_b32 s41, -1, 0
	s_and_b32 vcc_lo, exec_lo, s41
	s_cbranch_vccz .LBB6_14851
; %bb.14850:                            ;   in Loop: Header=BB6_14849 Depth=2
	s_mov_b32 s43, -1
	s_or_b32 s29, s29, exec_lo
	s_and_saveexec_b32 s42, s41
	s_cbranch_execz .LBB6_14848
	s_branch .LBB6_14852
.LBB6_14851:                            ;   in Loop: Header=BB6_14849 Depth=2
	s_trap 2
	ds_load_b64 v[0:1], v0
	s_and_not1_b32 s41, s41, exec_lo
	s_mov_b32 s40, 0
	s_wait_storecnt_dscnt 0x0
	flat_load_b32 v0, v[0:1] scope:SCOPE_SYS
	s_wait_loadcnt_dscnt 0x0
	global_inv scope:SCOPE_SYS
	v_cmp_eq_u32_e32 vcc_lo, 0, v0
	s_and_b32 s42, vcc_lo, exec_lo
	s_delay_alu instid0(SALU_CYCLE_1)
	s_or_b32 s41, s41, s42
	s_mov_b32 s43, -1
	s_or_b32 s29, s29, exec_lo
	s_wait_xcnt 0x0
	s_and_saveexec_b32 s42, s41
	s_cbranch_execz .LBB6_14848
.LBB6_14852:                            ;   in Loop: Header=BB6_14849 Depth=2
	s_sleep 1
	s_trap 2
	ds_load_b64 v[0:1], v0
	s_wait_dscnt 0x0
	scratch_load_b64 v[2:3], off, s33 offset:196 ; 8-byte Folded Reload
	s_and_not1_b32 s29, s29, exec_lo
	s_wait_loadcnt 0x0
	v_cmp_ge_u64_e32 vcc_lo, v[0:1], v[2:3]
	s_or_not1_b32 s43, vcc_lo, exec_lo
	s_branch .LBB6_14848
.LBB6_14853:                            ;   in Loop: Header=BB6_7467 Depth=1
	s_or_b32 exec_lo, exec_lo, s14
	s_and_saveexec_b32 s14, s28
	s_delay_alu instid0(SALU_CYCLE_1)
	s_xor_b32 s14, exec_lo, s14
	s_cbranch_execz .LBB6_14855
; %bb.14854:                            ;   in Loop: Header=BB6_7467 Depth=1
	v_mov_b32_e32 v0, 1
	ds_store_b32 v0, v0
	s_trap 2
.LBB6_14855:                            ;   in Loop: Header=BB6_7467 Depth=1
	s_or_b32 exec_lo, exec_lo, s13
	;;#ASMSTART
	s_wakeup
	;;#ASMEND
.LBB6_14856:                            ;   in Loop: Header=BB6_7467 Depth=1
	s_or_b32 exec_lo, exec_lo, s12
.LBB6_14857:                            ;   in Loop: Header=BB6_7467 Depth=1
	s_and_not1_saveexec_b32 s11, s11
	s_cbranch_execz .LBB6_14859
; %bb.14858:                            ;   in Loop: Header=BB6_7467 Depth=1
	global_wb scope:SCOPE_DEV
	s_wait_storecnt 0x0
	s_wait_loadcnt_dscnt 0x0
	global_inv scope:SCOPE_DEV
	s_barrier_signal -1
	s_barrier_wait -1
.LBB6_14859:                            ;   in Loop: Header=BB6_7467 Depth=1
	s_or_b32 exec_lo, exec_lo, s11
.LBB6_14860:                            ;   in Loop: Header=BB6_7467 Depth=1
	s_delay_alu instid0(SALU_CYCLE_1) | instskip(SKIP_3) | instid1(VALU_DEP_1)
	s_or_b32 exec_lo, exec_lo, s7
	s_trap 2
	ds_load_b32 v0, v0
	v_sub_nc_u32_e32 v1, v94, v6
	v_min_i32_e32 v1, v95, v1
	s_delay_alu instid0(VALU_DEP_1) | instskip(SKIP_4) | instid1(VALU_DEP_1)
	v_cmp_lt_i32_e32 vcc_lo, 0, v1
	s_wait_dscnt 0x0
	v_readfirstlane_b32 s7, v0
	v_and_b32_e32 v0, 16, v58
	s_cmp_eq_u32 s7, 0
	v_cmp_ne_u32_e64 s7, 0, v0
	s_cselect_b32 s11, -1, 0
	s_delay_alu instid0(SALU_CYCLE_1) | instskip(NEXT) | instid1(SALU_CYCLE_1)
	s_and_b32 s11, vcc_lo, s11
	s_and_b32 s11, s7, s11
	s_delay_alu instid0(SALU_CYCLE_1)
	s_and_saveexec_b32 s7, s11
	s_cbranch_execz .LBB6_14862
; %bb.14861:                            ;   in Loop: Header=BB6_7467 Depth=1
	global_wb scope:SCOPE_SYS
	s_wait_loadcnt 0x0
	s_wait_storecnt 0x0
	global_inv scope:SCOPE_SYS
.LBB6_14862:                            ;   in Loop: Header=BB6_7467 Depth=1
	s_or_b32 exec_lo, exec_lo, s7
	v_and_b32_e32 v0, 32, v58
	s_mov_b32 s7, exec_lo
	s_delay_alu instid0(VALU_DEP_1)
	v_cmpx_ne_u32_e32 0, v0
	s_cbranch_execnz .LBB6_14863
; %bb.15120:                            ;   in Loop: Header=BB6_7467 Depth=1
	s_add_pc_i64 .LBB6_7465-.Lpost_addpc26
.Lpost_addpc26:
.LBB6_14863:                            ;   in Loop: Header=BB6_7467 Depth=1
	v_add_nc_u64_e32 v[62:63], 1, v[62:63]
	global_wb scope:SCOPE_SYS
	s_wait_loadcnt 0x0
	s_wait_storecnt 0x0
	flat_store_b64 v[46:47], v[62:63] scope:SCOPE_SYS
; %bb.15088:                            ;   in Loop: Header=BB6_7467 Depth=1
	s_add_pc_i64 .LBB6_7465-.Lpost_addpc10
.Lpost_addpc10:
.LBB6_14864:
	s_or_b32 exec_lo, exec_lo, s25
.LBB6_14865:
	s_delay_alu instid0(SALU_CYCLE_1)
	s_or_b32 exec_lo, exec_lo, s23
.LBB6_14866:
	s_delay_alu instid0(SALU_CYCLE_1)
	s_or_b32 exec_lo, exec_lo, s15
                                        ; implicit-def: $vgpr0_vgpr1
                                        ; kill: killed $vgpr0_vgpr1
                                        ; implicit-def: $vgpr114_vgpr115
                                        ; implicit-def: $vgpr116_vgpr117
                                        ; implicit-def: $vgpr74_vgpr75
                                        ; implicit-def: $vgpr44
                                        ; implicit-def: $vgpr46_vgpr47
                                        ; implicit-def: $vgpr112
                                        ; implicit-def: $vgpr7
                                        ; implicit-def: $vgpr0_vgpr1
                                        ; kill: killed $vgpr0_vgpr1
                                        ; implicit-def: $vgpr0_vgpr1
                                        ; kill: killed $vgpr0_vgpr1
.LBB6_14867:
	s_and_not1_saveexec_b32 s11, s22
	s_cbranch_execz .LBB6_15039
; %bb.14868:
	v_mov_b64_e32 v[0:1], 0
	s_mov_b32 s12, exec_lo
	scratch_store_b64 off, v[0:1], s33 offset:196 ; 8-byte Folded Spill
	s_wait_xcnt 0x0
	v_cmpx_ne_u64_e32 0, v[116:117]
	s_cbranch_execz .LBB6_15038
; %bb.14869:
	v_mov_b64_e32 v[18:19], 0
	v_dual_mov_b32 v1, 0 :: v_dual_bitop2_b32 v30, 31, v112 bitop3:0x40
	v_dual_ashrrev_i32 v45, 31, v44 :: v_dual_bitop2_b32 v0, 31, v103 bitop3:0x40
	s_delay_alu instid0(VALU_DEP_2)
	v_dual_mov_b32 v3, v1 :: v_dual_lshrrev_b32 v2, 5, v102
	scratch_store_b64 off, v[18:19], s33 offset:196 ; 8-byte Folded Spill
	s_trap 2
	scratch_load_b64 v[20:21], off, s33 offset:204 ; 8-byte Folded Reload
	v_dual_lshrrev_b32 v31, 5, v112 :: v_dual_lshlrev_b32 v32, 4, v30
	s_ashr_i32 s2, s21, 31
	v_cmp_eq_u32_e32 vcc_lo, 32, v102
	s_lshr_b32 s2, s2, 24
	v_mov_b64_e32 v[12:13], 0
	v_cmp_ne_u64_e64 s7, 0, v[74:75]
	v_mov_b64_e32 v[16:17], 0
	v_cmp_ge_u32_e64 s1, v112, v102
	s_add_co_i32 s21, s21, s2
	v_cmp_ne_u32_e64 s2, 32, v102
	v_cmp_ne_u32_e64 s3, v102, v59
	v_cmp_eq_u32_e64 s4, 0, v0
	v_cmp_eq_u32_e64 s5, 0, v30
	v_cmp_lt_u32_e64 s6, v30, v7
	v_dual_mov_b32 v5, v1 :: v_dual_lshlrev_b32 v4, 12, v2
	v_dual_mov_b32 v7, v1 :: v_dual_lshlrev_b32 v6, 9, v2
	;; [unrolled: 1-line block ×3, first 2 shown]
	v_and_b32_e32 v10, 0x1fe0, v102
	s_wait_dscnt 0x0
	v_dual_mov_b32 v11, v1 :: v_dual_mov_b32 v15, v1
	v_lshl_or_b32 v14, v31, 12, v32
	v_mov_b32_e32 v33, 1
	s_ashr_i32 s14, s21, 8
	s_mov_b32 s13, 0
	s_xor_b32 s15, vcc_lo, -1
	s_branch .LBB6_14873
.LBB6_14870:                            ;   in Loop: Header=BB6_14873 Depth=1
	s_wait_xcnt 0x0
	s_or_b32 exec_lo, exec_lo, s16
	v_add_nc_u64_e32 v[62:63], 1, v[62:63]
	global_wb scope:SCOPE_SYS
	s_wait_storecnt 0x0
	s_wait_loadcnt_dscnt 0x0
	flat_store_b64 v[46:47], v[62:63] scope:SCOPE_SYS
.LBB6_14871:                            ;   in Loop: Header=BB6_14873 Depth=1
	s_wait_xcnt 0x0
	s_or_b32 exec_lo, exec_lo, s10
.LBB6_14872:                            ;   in Loop: Header=BB6_14873 Depth=1
	s_delay_alu instid0(SALU_CYCLE_1) | instskip(SKIP_3) | instid1(VALU_DEP_1)
	s_or_b32 exec_lo, exec_lo, s17
	scratch_load_b64 v[20:21], off, s33 offset:204 ; 8-byte Folded Reload
	s_wait_loadcnt 0x0
	v_add_nc_u64_e32 v[16:17], v[16:17], v[20:21]
	v_cmp_ge_u64_e32 vcc_lo, v[16:17], v[116:117]
	s_or_b32 s13, vcc_lo, s13
	s_wait_xcnt 0x0
	s_and_not1_b32 exec_lo, exec_lo, s13
	s_cbranch_execz .LBB6_15037
.LBB6_14873:                            ; =>This Loop Header: Depth=1
                                        ;     Child Loop BB6_14882 Depth 2
                                        ;     Child Loop BB6_14906 Depth 2
	;; [unrolled: 1-line block ×10, first 2 shown]
	s_wait_xcnt 0x1
	v_sub_nc_u64_e32 v[18:19], v[116:117], v[16:17]
	s_wait_loadcnt 0x0
	s_delay_alu instid0(VALU_DEP_1) | instskip(NEXT) | instid1(VALU_DEP_1)
	v_min_u64 v[18:19], v[20:21], v[18:19]
	v_add_nc_u32_e32 v0, 15, v18
	s_delay_alu instid0(VALU_DEP_2) | instskip(NEXT) | instid1(VALU_DEP_2)
	v_cmp_eq_u64_e32 vcc_lo, 0, v[18:19]
	v_and_b32_e32 v0, 0x7ffffff0, v0
	s_or_b32 s16, s1, vcc_lo
	s_delay_alu instid0(SALU_CYCLE_1) | instskip(NEXT) | instid1(VALU_DEP_1)
	s_xor_b32 s10, s16, -1
	v_dual_mov_b32 v0, 0 :: v_dual_max_i32 v20, s14, v0
	s_wait_xcnt 0x0
	s_and_saveexec_b32 s17, s10
	s_cbranch_execz .LBB6_14990
; %bb.14874:                            ;   in Loop: Header=BB6_14873 Depth=1
	s_and_saveexec_b32 s10, s0
	s_cbranch_execz .LBB6_14876
; %bb.14875:                            ;   in Loop: Header=BB6_14873 Depth=1
	s_trap 2
	ds_load_b64 v[22:23], v0
	s_wait_dscnt 0x0
	v_add_nc_u64_e32 v[22:23], v[22:23], v[114:115]
	s_delay_alu instid0(VALU_DEP_1)
	v_add_nc_u64_e32 v[22:23], v[22:23], v[16:17]
	ds_store_b64 v0, v[22:23]
	ds_store_b64 v0, v[12:13]
.LBB6_14876:                            ;   in Loop: Header=BB6_14873 Depth=1
	s_or_b32 exec_lo, exec_lo, s10
	v_and_b32_e32 v0, 8, v58
	v_min_u32_e32 v20, v20, v18
	s_mov_b32 s18, exec_lo
	s_delay_alu instid0(VALU_DEP_2)
	v_cmpx_ne_u32_e32 0, v0
	s_cbranch_execz .LBB6_14898
; %bb.14877:                            ;   in Loop: Header=BB6_14873 Depth=1
	scratch_load_b64 v[22:23], off, s33 offset:188 ; 8-byte Folded Reload
	s_mov_b32 s19, exec_lo
	s_wait_loadcnt 0x0
	v_add_nc_u64_e32 v[24:25], 8, v[22:23]
	v_add_nc_u64_e32 v[22:23], 1, v[62:63]
	s_wait_xcnt 0x0
	s_delay_alu instid0(VALU_DEP_1)
	v_cmpx_lt_u64_e64 v[24:25], v[22:23]
	s_cbranch_execz .LBB6_14889
; %bb.14878:                            ;   in Loop: Header=BB6_14873 Depth=1
	v_and_b32_e32 v0, 64, v58
	s_mov_b32 s21, 0
	s_mov_b32 s25, 0
                                        ; implicit-def: $sgpr22
                                        ; implicit-def: $sgpr23
                                        ; implicit-def: $sgpr24
	s_delay_alu instid0(VALU_DEP_1)
	v_cmp_eq_u32_e32 vcc_lo, 0, v0
	s_branch .LBB6_14882
.LBB6_14879:                            ;   in Loop: Header=BB6_14882 Depth=2
	scratch_load_b64 v[24:25], off, s33 offset:188 ; 8-byte Folded Reload
	s_or_b32 s28, s28, exec_lo
	s_wait_loadcnt 0x0
	v_add_nc_u64_e32 v[24:25], 8, v[24:25]
	s_delay_alu instid0(VALU_DEP_1)
	v_cmp_ge_u64_e64 s10, v[24:25], v[22:23]
	s_or_not1_b32 s27, s10, exec_lo
.LBB6_14880:                            ;   in Loop: Header=BB6_14882 Depth=2
	s_wait_xcnt 0x0
	s_or_b32 exec_lo, exec_lo, s40
	s_delay_alu instid0(SALU_CYCLE_1)
	s_and_not1_b32 s10, s24, exec_lo
	s_and_b32 s24, s28, exec_lo
	s_and_not1_b32 s23, s23, exec_lo
	s_and_b32 s27, s27, exec_lo
	s_or_b32 s24, s10, s24
	s_or_b32 s23, s23, s27
.LBB6_14881:                            ;   in Loop: Header=BB6_14882 Depth=2
	s_or_b32 exec_lo, exec_lo, s26
	s_delay_alu instid0(SALU_CYCLE_1) | instskip(NEXT) | instid1(SALU_CYCLE_1)
	s_and_b32 s10, exec_lo, s23
	s_or_b32 s21, s10, s21
	s_and_not1_b32 s10, s22, exec_lo
	s_and_b32 s22, s24, exec_lo
	s_delay_alu instid0(SALU_CYCLE_1)
	s_or_b32 s22, s10, s22
	s_and_not1_b32 exec_lo, exec_lo, s21
	s_cbranch_execz .LBB6_14886
.LBB6_14882:                            ;   Parent Loop BB6_14873 Depth=1
                                        ; =>  This Inner Loop Header: Depth=2
	s_sleep 1
	flat_load_b64 v[24:25], v[46:47] scope:SCOPE_SYS
	s_or_b32 s24, s24, exec_lo
	s_or_b32 s23, s23, exec_lo
                                        ; implicit-def: $vgpr0
	s_wait_loadcnt_dscnt 0x0
	scratch_store_b64 off, v[24:25], s33 offset:188 ; 8-byte Folded Spill
	s_wait_xcnt 0x0
	s_and_saveexec_b32 s26, vcc_lo
	s_cbranch_execz .LBB6_14881
; %bb.14883:                            ;   in Loop: Header=BB6_14882 Depth=2
	s_cmp_lt_i32 s25, 0x270f
	s_mov_b32 s27, -1
	s_cselect_b32 s29, -1, 0
	s_cmp_gt_i32 s25, 0x270e
	s_cbranch_scc0 .LBB6_14885
; %bb.14884:                            ;   in Loop: Header=BB6_14882 Depth=2
	s_trap 2
	ds_load_b64 v[24:25], v0
	s_and_not1_b32 s25, s29, exec_lo
	s_mov_b32 s28, 0
	s_wait_storecnt_dscnt 0x0
	flat_load_b32 v0, v[24:25] scope:SCOPE_SYS
	s_wait_loadcnt_dscnt 0x0
	global_inv scope:SCOPE_SYS
	v_cmp_eq_u32_e64 s10, 0, v0
	s_and_b32 s10, s10, exec_lo
	s_delay_alu instid0(SALU_CYCLE_1)
	s_or_b32 s29, s25, s10
	s_mov_b32 s25, 0
	s_and_saveexec_b32 s40, s29
	s_cbranch_execz .LBB6_14880
	s_branch .LBB6_14879
.LBB6_14885:                            ;   in Loop: Header=BB6_14882 Depth=2
	s_add_co_i32 s25, s25, 1
	s_mov_b32 s28, -1
                                        ; implicit-def: $vgpr0
	s_and_saveexec_b32 s40, s29
	s_cbranch_execz .LBB6_14880
	s_branch .LBB6_14879
.LBB6_14886:                            ;   in Loop: Header=BB6_14873 Depth=1
	s_or_b32 exec_lo, exec_lo, s21
	s_xor_b32 s10, s22, -1
	s_delay_alu instid0(SALU_CYCLE_1) | instskip(NEXT) | instid1(SALU_CYCLE_1)
	s_and_saveexec_b32 s21, s10
	s_xor_b32 s10, exec_lo, s21
	s_cbranch_execz .LBB6_14888
; %bb.14887:                            ;   in Loop: Header=BB6_14873 Depth=1
	v_or_b32_e32 v58, 64, v58
	s_wait_loadcnt 0x0
	s_wait_storecnt 0x0
	ds_store_b32 v0, v0
	s_trap 2
.LBB6_14888:                            ;   in Loop: Header=BB6_14873 Depth=1
	s_or_b32 exec_lo, exec_lo, s10
.LBB6_14889:                            ;   in Loop: Header=BB6_14873 Depth=1
	s_delay_alu instid0(SALU_CYCLE_1) | instskip(SKIP_3) | instid1(VALU_DEP_1)
	s_or_b32 exec_lo, exec_lo, s19
	v_and_b32_e32 v0, 0x100, v58
	s_mov_b32 s10, -1
	;;#ASMSTART
	s_wakeup
	;;#ASMEND
                                        ; implicit-def: $vgpr24_vgpr25
	v_cmp_ne_u32_e32 vcc_lo, 0, v0
	v_and_b32_e32 v0, 7, v62
	s_and_saveexec_b32 s19, vcc_lo
	s_cbranch_execz .LBB6_14893
; %bb.14890:                            ;   in Loop: Header=BB6_14873 Depth=1
	s_delay_alu instid0(VALU_DEP_1)
	v_mad_nc_u64_u32 v[26:27], v0, 24, v[60:61]
	v_mov_b32_e32 v21, v1
	s_mov_b32 s21, exec_lo
                                        ; implicit-def: $vgpr24_vgpr25
	s_clause 0x1
	flat_load_b32 v19, v[26:27]
	flat_store_b64 v[26:27], v[20:21] offset:8
	s_wait_loadcnt_dscnt 0x1
	v_cmp_ne_u32_e32 vcc_lo, 1, v19
	s_wait_xcnt 0x0
	v_cmpx_eq_u32_e32 1, v19
	s_cbranch_execz .LBB6_14892
; %bb.14891:                            ;   in Loop: Header=BB6_14873 Depth=1
	flat_load_b32 v24, v[26:27] offset:4 scope:SCOPE_SYS
	s_wait_loadcnt_dscnt 0x0
	v_ashrrev_i32_e32 v25, 31, v24
.LBB6_14892:                            ;   in Loop: Header=BB6_14873 Depth=1
	s_wait_xcnt 0x0
	s_or_b32 exec_lo, exec_lo, s21
	s_delay_alu instid0(SALU_CYCLE_1)
	s_or_not1_b32 s10, vcc_lo, exec_lo
.LBB6_14893:                            ;   in Loop: Header=BB6_14873 Depth=1
	s_or_b32 exec_lo, exec_lo, s19
	s_and_saveexec_b32 s19, s10
; %bb.14894:                            ;   in Loop: Header=BB6_14873 Depth=1
	v_mul_u64_e32 v[24:25], v[0:1], v[44:45]
; %bb.14895:                            ;   in Loop: Header=BB6_14873 Depth=1
	s_or_b32 exec_lo, exec_lo, s19
	scratch_load_b64 v[26:27], off, s33 offset:268 ; 8-byte Folded Reload
	v_and_b32_e32 v0, 0x2000, v58
	s_mov_b32 s10, exec_lo
	s_wait_loadcnt 0x0
	v_add_nc_u64_e32 v[24:25], v[26:27], v[24:25]
	ds_store_b64 v0, v[24:25] offset:784
	s_wait_xcnt 0x0
	v_cmpx_ne_u32_e32 0, v0
	s_cbranch_execz .LBB6_14897
; %bb.14896:                            ;   in Loop: Header=BB6_14873 Depth=1
	ds_load_b64 v[24:25], v0 offset:872
	s_wait_dscnt 0x0
	v_add_nc_u64_e32 v[24:25], 1, v[24:25]
	ds_store_b64 v0, v[24:25] offset:872
.LBB6_14897:                            ;   in Loop: Header=BB6_14873 Depth=1
	s_or_b32 exec_lo, exec_lo, s10
	v_mov_b64_e32 v[62:63], v[22:23]
.LBB6_14898:                            ;   in Loop: Header=BB6_14873 Depth=1
	s_or_b32 exec_lo, exec_lo, s18
	s_and_saveexec_b32 s10, s2
	s_cbranch_execz .LBB6_14917
; %bb.14899:                            ;   in Loop: Header=BB6_14873 Depth=1
	s_and_saveexec_b32 s18, s3
	s_delay_alu instid0(SALU_CYCLE_1)
	s_xor_b32 s18, exec_lo, s18
	s_cbranch_execz .LBB6_14914
; %bb.14900:                            ;   in Loop: Header=BB6_14873 Depth=1
	s_and_saveexec_b32 s19, s4
	s_cbranch_execz .LBB6_14913
; %bb.14901:                            ;   in Loop: Header=BB6_14873 Depth=1
	s_mov_b32 s22, exec_lo
	s_mov_b32 s21, exec_lo
	v_mbcnt_lo_u32_b32 v0, s22, 0
	global_wb scope:SCOPE_DEV
	s_wait_storecnt_dscnt 0x0
	global_inv scope:SCOPE_DEV
	v_cmpx_eq_u32_e32 0, v0
	s_cbranch_execz .LBB6_14903
; %bb.14902:                            ;   in Loop: Header=BB6_14873 Depth=1
	s_bcnt1_i32_b32 s22, s22
	s_delay_alu instid0(SALU_CYCLE_1)
	v_mov_b32_e32 v0, s22
	s_wait_loadcnt 0x0
	ds_add_u64 v0, v[0:1]
	s_trap 2
.LBB6_14903:                            ;   in Loop: Header=BB6_14873 Depth=1
	s_or_b32 exec_lo, exec_lo, s21
	s_trap 2
	ds_load_b64 v[22:23], v0
	s_wait_dscnt 0x0
	scratch_load_b64 v[24:25], off, s33 offset:196 th:TH_LOAD_LU ; 8-byte Folded Reload
	s_mov_b32 s21, exec_lo
	s_wait_loadcnt 0x0
	v_add_nc_u64_e32 v[24:25], v[24:25], v[2:3]
	scratch_store_b64 off, v[24:25], s33 offset:196 ; 8-byte Folded Spill
	s_wait_xcnt 0x0
	v_cmpx_lt_u64_e64 v[22:23], v[24:25]
	s_cbranch_execz .LBB6_14912
; %bb.14904:                            ;   in Loop: Header=BB6_14873 Depth=1
	s_mov_b32 s22, 0
	s_mov_b32 s25, 0
                                        ; implicit-def: $sgpr23
                                        ; implicit-def: $sgpr24
	s_branch .LBB6_14906
.LBB6_14905:                            ;   in Loop: Header=BB6_14906 Depth=2
	s_wait_xcnt 0x0
	s_or_b32 exec_lo, exec_lo, s27
	s_delay_alu instid0(SALU_CYCLE_1) | instskip(NEXT) | instid1(SALU_CYCLE_1)
	s_and_b32 s26, exec_lo, s28
	s_or_b32 s22, s26, s22
	s_and_not1_b32 s23, s23, exec_lo
	s_and_b32 s26, s24, exec_lo
	s_delay_alu instid0(SALU_CYCLE_1)
	s_or_b32 s23, s23, s26
	s_and_not1_b32 exec_lo, exec_lo, s22
	s_cbranch_execz .LBB6_14910
.LBB6_14906:                            ;   Parent Loop BB6_14873 Depth=1
                                        ; =>  This Inner Loop Header: Depth=2
	s_add_co_i32 s25, s25, 1
	s_delay_alu instid0(SALU_CYCLE_1) | instskip(SKIP_1) | instid1(SALU_CYCLE_1)
	s_cmp_lg_u32 s25, 0x2710
	s_cselect_b32 s26, -1, 0
	s_and_b32 vcc_lo, exec_lo, s26
	s_cbranch_vccz .LBB6_14908
; %bb.14907:                            ;   in Loop: Header=BB6_14906 Depth=2
	s_mov_b32 s28, -1
	s_or_b32 s24, s24, exec_lo
	s_and_saveexec_b32 s27, s26
	s_cbranch_execz .LBB6_14905
	s_branch .LBB6_14909
.LBB6_14908:                            ;   in Loop: Header=BB6_14906 Depth=2
	s_trap 2
	ds_load_b64 v[22:23], v0
	s_and_not1_b32 s26, s26, exec_lo
	s_mov_b32 s25, 0
	s_wait_storecnt_dscnt 0x0
	flat_load_b32 v0, v[22:23] scope:SCOPE_SYS
	s_wait_loadcnt_dscnt 0x0
	global_inv scope:SCOPE_SYS
	v_cmp_eq_u32_e32 vcc_lo, 0, v0
	s_and_b32 s27, vcc_lo, exec_lo
	s_delay_alu instid0(SALU_CYCLE_1)
	s_or_b32 s26, s26, s27
	s_mov_b32 s28, -1
	s_or_b32 s24, s24, exec_lo
	s_wait_xcnt 0x0
	s_and_saveexec_b32 s27, s26
	s_cbranch_execz .LBB6_14905
.LBB6_14909:                            ;   in Loop: Header=BB6_14906 Depth=2
	s_sleep 1
	s_trap 2
	ds_load_b64 v[22:23], v0
	s_wait_dscnt 0x0
	scratch_load_b64 v[24:25], off, s33 offset:196 ; 8-byte Folded Reload
	s_and_not1_b32 s24, s24, exec_lo
	s_wait_loadcnt 0x0
	v_cmp_ge_u64_e32 vcc_lo, v[22:23], v[24:25]
	s_or_not1_b32 s28, vcc_lo, exec_lo
	s_branch .LBB6_14905
.LBB6_14910:                            ;   in Loop: Header=BB6_14873 Depth=1
	s_or_b32 exec_lo, exec_lo, s22
	s_and_saveexec_b32 s22, s23
	s_delay_alu instid0(SALU_CYCLE_1)
	s_xor_b32 s22, exec_lo, s22
	s_cbranch_execz .LBB6_14912
; %bb.14911:                            ;   in Loop: Header=BB6_14873 Depth=1
	ds_store_b32 v0, v33
	s_trap 2
.LBB6_14912:                            ;   in Loop: Header=BB6_14873 Depth=1
	s_or_b32 exec_lo, exec_lo, s21
	;;#ASMSTART
	s_wakeup
	;;#ASMEND
.LBB6_14913:                            ;   in Loop: Header=BB6_14873 Depth=1
	s_or_b32 exec_lo, exec_lo, s19
.LBB6_14914:                            ;   in Loop: Header=BB6_14873 Depth=1
	s_and_not1_saveexec_b32 s18, s18
	s_cbranch_execz .LBB6_14916
; %bb.14915:                            ;   in Loop: Header=BB6_14873 Depth=1
	global_wb scope:SCOPE_DEV
	s_wait_storecnt 0x0
	s_wait_loadcnt_dscnt 0x0
	global_inv scope:SCOPE_DEV
	s_barrier_signal -1
	s_barrier_wait -1
.LBB6_14916:                            ;   in Loop: Header=BB6_14873 Depth=1
	s_or_b32 exec_lo, exec_lo, s18
.LBB6_14917:                            ;   in Loop: Header=BB6_14873 Depth=1
	s_delay_alu instid0(SALU_CYCLE_1) | instskip(SKIP_3) | instid1(VALU_DEP_1)
	s_or_b32 exec_lo, exec_lo, s10
	s_trap 2
	ds_load_b32 v19, v0
	v_and_b32_e32 v0, 0x4000, v58
	v_cmp_ne_u32_e32 vcc_lo, 0, v0
	s_and_b32 s18, s15, vcc_lo
	s_delay_alu instid0(SALU_CYCLE_1)
	s_and_saveexec_b32 s10, s18
	s_cbranch_execz .LBB6_14936
; %bb.14918:                            ;   in Loop: Header=BB6_14873 Depth=1
	s_and_saveexec_b32 s18, s3
	s_delay_alu instid0(SALU_CYCLE_1)
	s_xor_b32 s18, exec_lo, s18
	s_cbranch_execz .LBB6_14933
; %bb.14919:                            ;   in Loop: Header=BB6_14873 Depth=1
	s_and_saveexec_b32 s19, s4
	s_cbranch_execz .LBB6_14932
; %bb.14920:                            ;   in Loop: Header=BB6_14873 Depth=1
	s_mov_b32 s22, exec_lo
	s_mov_b32 s21, exec_lo
	v_mbcnt_lo_u32_b32 v0, s22, 0
	global_wb scope:SCOPE_DEV
	s_wait_storecnt 0x0
	s_wait_loadcnt_dscnt 0x0
	global_inv scope:SCOPE_DEV
	v_cmpx_eq_u32_e32 0, v0
	s_cbranch_execz .LBB6_14922
; %bb.14921:                            ;   in Loop: Header=BB6_14873 Depth=1
	s_bcnt1_i32_b32 s22, s22
	s_delay_alu instid0(SALU_CYCLE_1)
	v_mov_b32_e32 v0, s22
	s_wait_loadcnt 0x0
	ds_add_u64 v0, v[0:1]
	s_trap 2
.LBB6_14922:                            ;   in Loop: Header=BB6_14873 Depth=1
	s_or_b32 exec_lo, exec_lo, s21
	s_trap 2
	ds_load_b64 v[22:23], v0
	s_wait_dscnt 0x0
	scratch_load_b64 v[24:25], off, s33 offset:196 th:TH_LOAD_LU ; 8-byte Folded Reload
	s_mov_b32 s21, exec_lo
	s_wait_loadcnt 0x0
	v_add_nc_u64_e32 v[24:25], v[24:25], v[2:3]
	scratch_store_b64 off, v[24:25], s33 offset:196 ; 8-byte Folded Spill
	s_wait_xcnt 0x0
	v_cmpx_lt_u64_e64 v[22:23], v[24:25]
	s_cbranch_execz .LBB6_14931
; %bb.14923:                            ;   in Loop: Header=BB6_14873 Depth=1
	s_mov_b32 s22, 0
	s_mov_b32 s25, 0
                                        ; implicit-def: $sgpr23
                                        ; implicit-def: $sgpr24
	s_branch .LBB6_14925
.LBB6_14924:                            ;   in Loop: Header=BB6_14925 Depth=2
	s_wait_xcnt 0x0
	s_or_b32 exec_lo, exec_lo, s27
	s_delay_alu instid0(SALU_CYCLE_1) | instskip(NEXT) | instid1(SALU_CYCLE_1)
	s_and_b32 s26, exec_lo, s28
	s_or_b32 s22, s26, s22
	s_and_not1_b32 s23, s23, exec_lo
	s_and_b32 s26, s24, exec_lo
	s_delay_alu instid0(SALU_CYCLE_1)
	s_or_b32 s23, s23, s26
	s_and_not1_b32 exec_lo, exec_lo, s22
	s_cbranch_execz .LBB6_14929
.LBB6_14925:                            ;   Parent Loop BB6_14873 Depth=1
                                        ; =>  This Inner Loop Header: Depth=2
	s_add_co_i32 s25, s25, 1
	s_delay_alu instid0(SALU_CYCLE_1) | instskip(SKIP_1) | instid1(SALU_CYCLE_1)
	s_cmp_lg_u32 s25, 0x2710
	s_cselect_b32 s26, -1, 0
	s_and_b32 vcc_lo, exec_lo, s26
	s_cbranch_vccz .LBB6_14927
; %bb.14926:                            ;   in Loop: Header=BB6_14925 Depth=2
	s_mov_b32 s28, -1
	s_or_b32 s24, s24, exec_lo
	s_and_saveexec_b32 s27, s26
	s_cbranch_execz .LBB6_14924
	s_branch .LBB6_14928
.LBB6_14927:                            ;   in Loop: Header=BB6_14925 Depth=2
	s_trap 2
	ds_load_b64 v[22:23], v0
	s_and_not1_b32 s26, s26, exec_lo
	s_mov_b32 s25, 0
	s_wait_storecnt_dscnt 0x0
	flat_load_b32 v0, v[22:23] scope:SCOPE_SYS
	s_wait_loadcnt_dscnt 0x0
	global_inv scope:SCOPE_SYS
	v_cmp_eq_u32_e32 vcc_lo, 0, v0
	s_and_b32 s27, vcc_lo, exec_lo
	s_delay_alu instid0(SALU_CYCLE_1)
	s_or_b32 s26, s26, s27
	s_mov_b32 s28, -1
	s_or_b32 s24, s24, exec_lo
	s_wait_xcnt 0x0
	s_and_saveexec_b32 s27, s26
	s_cbranch_execz .LBB6_14924
.LBB6_14928:                            ;   in Loop: Header=BB6_14925 Depth=2
	s_sleep 1
	s_trap 2
	ds_load_b64 v[22:23], v0
	s_wait_dscnt 0x0
	scratch_load_b64 v[24:25], off, s33 offset:196 ; 8-byte Folded Reload
	s_and_not1_b32 s24, s24, exec_lo
	s_wait_loadcnt 0x0
	v_cmp_ge_u64_e32 vcc_lo, v[22:23], v[24:25]
	s_or_not1_b32 s28, vcc_lo, exec_lo
	s_branch .LBB6_14924
.LBB6_14929:                            ;   in Loop: Header=BB6_14873 Depth=1
	s_or_b32 exec_lo, exec_lo, s22
	s_and_saveexec_b32 s22, s23
	s_delay_alu instid0(SALU_CYCLE_1)
	s_xor_b32 s22, exec_lo, s22
	s_cbranch_execz .LBB6_14931
; %bb.14930:                            ;   in Loop: Header=BB6_14873 Depth=1
	ds_store_b32 v0, v33
	s_trap 2
.LBB6_14931:                            ;   in Loop: Header=BB6_14873 Depth=1
	s_or_b32 exec_lo, exec_lo, s21
	;;#ASMSTART
	s_wakeup
	;;#ASMEND
.LBB6_14932:                            ;   in Loop: Header=BB6_14873 Depth=1
	s_or_b32 exec_lo, exec_lo, s19
.LBB6_14933:                            ;   in Loop: Header=BB6_14873 Depth=1
	s_and_not1_saveexec_b32 s18, s18
	s_cbranch_execz .LBB6_14935
; %bb.14934:                            ;   in Loop: Header=BB6_14873 Depth=1
	global_wb scope:SCOPE_DEV
	s_wait_storecnt 0x0
	s_wait_loadcnt_dscnt 0x0
	global_inv scope:SCOPE_DEV
	s_barrier_signal -1
	s_barrier_wait -1
.LBB6_14935:                            ;   in Loop: Header=BB6_14873 Depth=1
	s_or_b32 exec_lo, exec_lo, s18
.LBB6_14936:                            ;   in Loop: Header=BB6_14873 Depth=1
	s_delay_alu instid0(SALU_CYCLE_1)
	s_or_b32 exec_lo, exec_lo, s10
	s_trap 2
	ds_load_b64 v[22:23], v0
	s_wait_dscnt 0x0
	v_cmp_eq_u64_e32 vcc_lo, 0, v[22:23]
	s_cbranch_vccnz .LBB6_14944
; %bb.14937:                            ;   in Loop: Header=BB6_14873 Depth=1
	s_trap 2
	ds_load_b64 v[24:25], v0
	s_wait_dscnt 0x0
	v_cmp_eq_u64_e32 vcc_lo, 0, v[24:25]
	s_cbranch_vccnz .LBB6_14944
; %bb.14938:                            ;   in Loop: Header=BB6_14873 Depth=1
	s_mov_b32 s10, -1
	s_and_saveexec_b32 s18, s5
	s_cbranch_execz .LBB6_14940
; %bb.14939:                            ;   in Loop: Header=BB6_14873 Depth=1
	ds_load_b32 v0, v0 offset:720
	s_wait_dscnt 0x0
	v_and_b32_e32 v0, 15, v0
	s_delay_alu instid0(VALU_DEP_1)
	v_cmp_eq_u32_e32 vcc_lo, 0, v0
	s_or_not1_b32 s10, vcc_lo, exec_lo
.LBB6_14940:                            ;   in Loop: Header=BB6_14873 Depth=1
	s_or_b32 exec_lo, exec_lo, s18
	s_and_saveexec_b32 s18, s6
	s_cbranch_execz .LBB6_14942
; %bb.14941:                            ;   in Loop: Header=BB6_14873 Depth=1
	ds_load_b32 v0, v0 offset:784
	s_wait_dscnt 0x0
	v_and_b32_e32 v0, 15, v0
	s_delay_alu instid0(VALU_DEP_1) | instskip(SKIP_3) | instid1(SALU_CYCLE_1)
	v_cmp_eq_u32_e32 vcc_lo, 0, v0
	s_and_b32 s19, s10, vcc_lo
	s_and_not1_b32 s10, s10, exec_lo
	s_and_b32 s19, s19, exec_lo
	s_or_b32 s10, s10, s19
.LBB6_14942:                            ;   in Loop: Header=BB6_14873 Depth=1
	s_or_b32 exec_lo, exec_lo, s18
	v_cmp_eq_u32_e32 vcc_lo, 0, v19
	s_xor_b32 s10, s10, -1
	s_mov_b32 s19, -1
	v_cndmask_b32_e64 v0, 0, 1, s10
	v_dual_mov_b32 v28, v112 :: v_dual_cndmask_b32 v19, 0, v20
	s_delay_alu instid0(VALU_DEP_2) | instskip(NEXT) | instid1(VALU_DEP_2)
	v_cmp_ne_u32_e32 vcc_lo, 0, v0
	v_dual_mov_b32 v0, 0 :: v_dual_mov_b32 v21, v19
	s_cbranch_vccz .LBB6_14945
; %bb.14943:                            ;   in Loop: Header=BB6_14873 Depth=1
	s_and_saveexec_b32 s10, s19
	s_cbranch_execnz .LBB6_14956
	s_branch .LBB6_14964
.LBB6_14944:                            ;   in Loop: Header=BB6_14873 Depth=1
	s_mov_b32 s10, 0
	s_and_saveexec_b32 s18, s2
	s_cbranch_execnz .LBB6_14965
	s_branch .LBB6_14983
.LBB6_14945:                            ;   in Loop: Header=BB6_14873 Depth=1
	v_lshrrev_b32_e32 v0, 12, v19
	s_mov_b32 s10, exec_lo
	s_delay_alu instid0(VALU_DEP_1) | instskip(NEXT) | instid1(VALU_DEP_1)
	v_sub_nc_u32_e32 v34, v0, v31
	v_cmpx_lt_i32_e32 0, v34
	s_cbranch_execz .LBB6_14949
; %bb.14946:                            ;   in Loop: Header=BB6_14873 Depth=1
	v_mov_b64_e32 v[26:27], v[24:25]
	v_mov_b64_e32 v[28:29], v[22:23]
	s_mov_b32 s18, 0
.LBB6_14947:                            ;   Parent Loop BB6_14873 Depth=1
                                        ; =>  This Inner Loop Header: Depth=2
	s_delay_alu instid0(VALU_DEP_1) | instskip(SKIP_1) | instid1(VALU_DEP_4)
	v_add_nc_u64_e32 v[96:97], v[14:15], v[28:29]
	v_sub_nc_u32_e32 v34, v34, v2
	v_add_nc_u64_e32 v[100:101], v[14:15], v[26:27]
	v_add_nc_u64_e32 v[28:29], v[28:29], v[4:5]
	;; [unrolled: 1-line block ×3, first 2 shown]
	s_clause 0x7
	global_load_b128 v[36:39], v[96:97], off th:TH_LOAD_NT
	global_load_b128 v[48:51], v[96:97], off offset:512 th:TH_LOAD_NT
	global_load_b128 v[52:55], v[96:97], off offset:1024 th:TH_LOAD_NT
	;; [unrolled: 1-line block ×7, first 2 shown]
	v_cmp_gt_i32_e32 vcc_lo, 1, v34
	s_wait_loadcnt 0x7
	global_store_b128 v[100:101], v[36:39], off th:TH_STORE_NT
	s_wait_loadcnt 0x6
	global_store_b128 v[100:101], v[48:51], off offset:512 th:TH_STORE_NT
	s_wait_loadcnt 0x5
	global_store_b128 v[100:101], v[52:55], off offset:1024 th:TH_STORE_NT
	;; [unrolled: 2-line block ×7, first 2 shown]
	s_or_b32 s18, vcc_lo, s18
	s_wait_xcnt 0x0
	s_and_not1_b32 exec_lo, exec_lo, s18
	s_cbranch_execnz .LBB6_14947
; %bb.14948:                            ;   in Loop: Header=BB6_14873 Depth=1
	s_or_b32 exec_lo, exec_lo, s18
.LBB6_14949:                            ;   in Loop: Header=BB6_14873 Depth=1
	s_delay_alu instid0(SALU_CYCLE_1) | instskip(SKIP_4) | instid1(VALU_DEP_2)
	s_or_b32 exec_lo, exec_lo, s10
	v_and_b32_e32 v26, 0x3ffff000, v19
	v_mov_b32_e32 v0, 0
	s_mov_b32 s19, 0
	s_mov_b32 s18, exec_lo
                                        ; implicit-def: $vgpr21
                                        ; implicit-def: $vgpr28
	v_cmpx_ne_u32_e64 v19, v26
	s_cbranch_execz .LBB6_14955
; %bb.14950:                            ;   in Loop: Header=BB6_14873 Depth=1
	v_and_b32_e32 v21, 0x1ff, v19
	v_dual_lshlrev_b32 v0, 9, v34 :: v_dual_sub_nc_u32 v27, 0, v34
	v_bfe_u32 v29, v19, 9, 3
	v_and_b32_e32 v28, 0xfff, v19
	s_delay_alu instid0(VALU_DEP_4) | instskip(SKIP_4) | instid1(VALU_DEP_1)
	v_cmp_lt_u32_e32 vcc_lo, 15, v21
	s_mov_b32 s19, exec_lo
	v_and_b32_e32 v27, 0x7ffffff, v27
	v_add_co_ci_u32_e64 v34, null, 0, v29, vcc_lo
	v_sub_nc_u32_e32 v0, v32, v0
	v_dual_sub_nc_u32 v29, v28, v0 :: v_dual_sub_nc_u32 v28, v34, v27
	s_delay_alu instid0(VALU_DEP_1)
	v_cmpx_lt_i32_e32 15, v29
	s_cbranch_execz .LBB6_14954
; %bb.14951:                            ;   in Loop: Header=BB6_14873 Depth=1
	v_add_nc_u32_e32 v0, v0, v26
	s_mov_b32 s21, 0
	s_delay_alu instid0(VALU_DEP_1)
	v_mov_b64_e32 v[26:27], v[0:1]
.LBB6_14952:                            ;   Parent Loop BB6_14873 Depth=1
                                        ; =>  This Inner Loop Header: Depth=2
	s_delay_alu instid0(VALU_DEP_1) | instskip(SKIP_4) | instid1(VALU_DEP_4)
	v_add_nc_u64_e32 v[34:35], v[22:23], v[26:27]
	v_sub_nc_u32_e32 v29, v29, v6
	v_add_nc_u64_e32 v[38:39], v[24:25], v[26:27]
	v_add_nc_u64_e32 v[26:27], v[26:27], v[6:7]
	v_sub_nc_u32_e32 v28, v28, v2
	v_cmp_gt_i32_e64 s10, 16, v29
	global_load_b128 v[34:37], v[34:35], off th:TH_LOAD_NT
	s_or_b32 s21, s10, s21
	s_wait_loadcnt 0x0
	global_store_b128 v[38:39], v[34:37], off th:TH_STORE_NT
	s_wait_xcnt 0x0
	s_and_not1_b32 exec_lo, exec_lo, s21
	s_cbranch_execnz .LBB6_14952
; %bb.14953:                            ;   in Loop: Header=BB6_14873 Depth=1
	s_or_b32 exec_lo, exec_lo, s21
.LBB6_14954:                            ;   in Loop: Header=BB6_14873 Depth=1
	s_delay_alu instid0(SALU_CYCLE_1) | instskip(NEXT) | instid1(VALU_DEP_2)
	s_or_b32 exec_lo, exec_lo, s19
	v_cmp_lt_i32_e64 s10, 0, v28
	v_and_b32_e32 v0, 15, v19
	v_and_b32_e32 v26, 0x1f0, v19
	s_delay_alu instid0(VALU_DEP_2) | instskip(NEXT) | instid1(VALU_DEP_1)
	v_dual_cndmask_b32 v27, 0, v2, s10 :: v_dual_cndmask_b32 v21, v21, v0, vcc_lo
	v_dual_cndmask_b32 v0, 0, v26, vcc_lo :: v_dual_sub_nc_u32 v26, v27, v28
	s_delay_alu instid0(VALU_DEP_2) | instskip(NEXT) | instid1(VALU_DEP_2)
	v_cmp_ne_u32_e32 vcc_lo, 0, v21
	v_and_or_b32 v0, 0x3ffffe00, v19, v0
	s_delay_alu instid0(VALU_DEP_3)
	v_lshl_or_b32 v28, v26, 5, v30
	s_and_b32 s19, vcc_lo, exec_lo
.LBB6_14955:                            ;   in Loop: Header=BB6_14873 Depth=1
	s_or_b32 exec_lo, exec_lo, s18
	s_and_saveexec_b32 s10, s19
	s_cbranch_execz .LBB6_14964
.LBB6_14956:                            ;   in Loop: Header=BB6_14873 Depth=1
	v_dual_ashrrev_i32 v26, 31, v28 :: v_dual_lshrrev_b32 v27, 10, v21
	s_mov_b32 s18, exec_lo
	s_delay_alu instid0(VALU_DEP_1) | instskip(NEXT) | instid1(VALU_DEP_1)
	v_lshrrev_b32_e32 v26, 27, v26
	v_add_nc_u32_e32 v26, v28, v26
	s_delay_alu instid0(VALU_DEP_1) | instskip(NEXT) | instid1(VALU_DEP_1)
	v_ashrrev_i32_e32 v29, 5, v26
	v_sub_nc_u32_e32 v34, v27, v29
	s_delay_alu instid0(VALU_DEP_1)
	v_cmpx_lt_i32_e32 0, v34
	s_cbranch_execz .LBB6_14960
; %bb.14957:                            ;   in Loop: Header=BB6_14873 Depth=1
	v_and_b32_e32 v26, 0xffffffe0, v26
	s_mov_b32 s19, 0
	s_delay_alu instid0(VALU_DEP_1) | instskip(NEXT) | instid1(VALU_DEP_1)
	v_dual_lshlrev_b32 v27, 10, v29 :: v_dual_sub_nc_u32 v26, v28, v26
	v_add3_u32 v26, v0, v26, v27
	s_delay_alu instid0(VALU_DEP_1)
	v_ashrrev_i32_e32 v27, 31, v26
.LBB6_14958:                            ;   Parent Loop BB6_14873 Depth=1
                                        ; =>  This Inner Loop Header: Depth=2
	s_delay_alu instid0(VALU_DEP_1)
	v_add_nc_u64_e32 v[36:37], v[26:27], v[22:23]
	v_sub_nc_u32_e32 v34, v34, v2
	v_add_nc_u64_e32 v[22:23], v[22:23], v[8:9]
	s_clause 0x1f
	flat_load_u8 v35, v[36:37] th:TH_LOAD_NT
	flat_load_u8 v38, v[36:37] offset:32 th:TH_LOAD_NT
	flat_load_u8 v39, v[36:37] offset:64 th:TH_LOAD_NT
	;; [unrolled: 1-line block ×31, first 2 shown]
	s_wait_xcnt 0x0
	v_add_nc_u64_e32 v[36:37], v[26:27], v[24:25]
	v_add_nc_u64_e32 v[24:25], v[24:25], v[8:9]
	v_cmp_gt_i32_e32 vcc_lo, 1, v34
	s_wait_loadcnt_dscnt 0x1f1f
	flat_store_b8 v[36:37], v35 th:TH_STORE_NT
	s_wait_loadcnt_dscnt 0x1e1f
	flat_store_b8 v[36:37], v38 offset:32 th:TH_STORE_NT
	s_wait_loadcnt_dscnt 0x1d1f
	flat_store_b8 v[36:37], v39 offset:64 th:TH_STORE_NT
	;; [unrolled: 2-line block ×31, first 2 shown]
	s_or_b32 s19, vcc_lo, s19
	s_wait_xcnt 0x0
	s_and_not1_b32 exec_lo, exec_lo, s19
	s_cbranch_execnz .LBB6_14958
; %bb.14959:                            ;   in Loop: Header=BB6_14873 Depth=1
	s_or_b32 exec_lo, exec_lo, s19
.LBB6_14960:                            ;   in Loop: Header=BB6_14873 Depth=1
	s_delay_alu instid0(SALU_CYCLE_1) | instskip(SKIP_1) | instid1(VALU_DEP_1)
	s_or_b32 exec_lo, exec_lo, s18
	v_and_b32_e32 v24, 0xfffffc00, v21
	v_cmp_ne_u32_e32 vcc_lo, v21, v24
	s_and_b32 exec_lo, exec_lo, vcc_lo
	s_cbranch_execz .LBB6_14964
; %bb.14961:                            ;   in Loop: Header=BB6_14873 Depth=1
	v_dual_lshlrev_b32 v22, 5, v29 :: v_dual_lshlrev_b32 v23, 5, v34
	v_and_b32_e32 v21, 0x3ff, v21
	s_delay_alu instid0(VALU_DEP_2) | instskip(NEXT) | instid1(VALU_DEP_1)
	v_sub_nc_u32_e32 v22, v28, v22
	v_sub_nc_u32_e32 v25, v22, v23
	s_delay_alu instid0(VALU_DEP_1) | instskip(NEXT) | instid1(VALU_DEP_1)
	v_sub_nc_u32_e32 v21, v21, v25
	v_cmp_lt_i32_e32 vcc_lo, 0, v21
	s_and_b32 exec_lo, exec_lo, vcc_lo
	s_cbranch_execz .LBB6_14964
; %bb.14962:                            ;   in Loop: Header=BB6_14873 Depth=1
	s_trap 2
	ds_load_b64 v[22:23], v0
	v_add3_u32 v24, v24, v0, v25
	s_mov_b32 s18, 0
	s_delay_alu instid0(VALU_DEP_1)
	v_ashrrev_i32_e32 v25, 31, v24
.LBB6_14963:                            ;   Parent Loop BB6_14873 Depth=1
                                        ; =>  This Inner Loop Header: Depth=2
	s_wait_dscnt 0x0
	s_delay_alu instid0(VALU_DEP_1) | instskip(SKIP_2) | instid1(VALU_DEP_2)
	v_add_nc_u64_e32 v[26:27], v[22:23], v[24:25]
	v_sub_nc_u32_e32 v21, v21, v10
	v_add_nc_u64_e32 v[24:25], v[24:25], v[10:11]
	v_cmp_gt_i32_e32 vcc_lo, 1, v21
	flat_load_u8 v0, v[26:27] th:TH_LOAD_NT
	s_or_b32 s18, vcc_lo, s18
	s_wait_loadcnt_dscnt 0x0
	flat_store_b8 v[26:27], v0 th:TH_STORE_NT
	s_wait_xcnt 0x0
	s_and_not1_b32 exec_lo, exec_lo, s18
	s_cbranch_execnz .LBB6_14963
.LBB6_14964:                            ;   in Loop: Header=BB6_14873 Depth=1
	s_or_b32 exec_lo, exec_lo, s10
	v_cmp_ne_u32_e64 s10, 0, v19
	s_and_saveexec_b32 s18, s2
	s_cbranch_execz .LBB6_14983
.LBB6_14965:                            ;   in Loop: Header=BB6_14873 Depth=1
	s_and_saveexec_b32 s19, s3
	s_delay_alu instid0(SALU_CYCLE_1)
	s_xor_b32 s19, exec_lo, s19
	s_cbranch_execz .LBB6_14980
; %bb.14966:                            ;   in Loop: Header=BB6_14873 Depth=1
	s_and_saveexec_b32 s21, s4
	s_cbranch_execz .LBB6_14979
; %bb.14967:                            ;   in Loop: Header=BB6_14873 Depth=1
	s_mov_b32 s23, exec_lo
	s_mov_b32 s22, exec_lo
	v_mbcnt_lo_u32_b32 v0, s23, 0
	global_wb scope:SCOPE_DEV
	s_wait_storecnt 0x0
	s_wait_loadcnt_dscnt 0x0
	global_inv scope:SCOPE_DEV
	v_cmpx_eq_u32_e32 0, v0
	s_cbranch_execz .LBB6_14969
; %bb.14968:                            ;   in Loop: Header=BB6_14873 Depth=1
	s_bcnt1_i32_b32 s23, s23
	s_delay_alu instid0(SALU_CYCLE_1)
	v_mov_b32_e32 v0, s23
	s_wait_loadcnt 0x0
	ds_add_u64 v0, v[0:1]
	s_trap 2
.LBB6_14969:                            ;   in Loop: Header=BB6_14873 Depth=1
	s_or_b32 exec_lo, exec_lo, s22
	s_trap 2
	ds_load_b64 v[22:23], v0
	s_wait_dscnt 0x0
	scratch_load_b64 v[24:25], off, s33 offset:196 th:TH_LOAD_LU ; 8-byte Folded Reload
	s_mov_b32 s22, exec_lo
	s_wait_loadcnt 0x0
	v_add_nc_u64_e32 v[24:25], v[24:25], v[2:3]
	scratch_store_b64 off, v[24:25], s33 offset:196 ; 8-byte Folded Spill
	s_wait_xcnt 0x0
	v_cmpx_lt_u64_e64 v[22:23], v[24:25]
	s_cbranch_execz .LBB6_14978
; %bb.14970:                            ;   in Loop: Header=BB6_14873 Depth=1
	s_mov_b32 s23, 0
	s_mov_b32 s26, 0
                                        ; implicit-def: $sgpr24
                                        ; implicit-def: $sgpr25
	s_branch .LBB6_14972
.LBB6_14971:                            ;   in Loop: Header=BB6_14972 Depth=2
	s_wait_xcnt 0x0
	s_or_b32 exec_lo, exec_lo, s28
	s_delay_alu instid0(SALU_CYCLE_1) | instskip(NEXT) | instid1(SALU_CYCLE_1)
	s_and_b32 s27, exec_lo, s29
	s_or_b32 s23, s27, s23
	s_and_not1_b32 s24, s24, exec_lo
	s_and_b32 s27, s25, exec_lo
	s_delay_alu instid0(SALU_CYCLE_1)
	s_or_b32 s24, s24, s27
	s_and_not1_b32 exec_lo, exec_lo, s23
	s_cbranch_execz .LBB6_14976
.LBB6_14972:                            ;   Parent Loop BB6_14873 Depth=1
                                        ; =>  This Inner Loop Header: Depth=2
	s_add_co_i32 s26, s26, 1
	s_delay_alu instid0(SALU_CYCLE_1) | instskip(SKIP_1) | instid1(SALU_CYCLE_1)
	s_cmp_lg_u32 s26, 0x2710
	s_cselect_b32 s27, -1, 0
	s_and_b32 vcc_lo, exec_lo, s27
	s_cbranch_vccz .LBB6_14974
; %bb.14973:                            ;   in Loop: Header=BB6_14972 Depth=2
	s_mov_b32 s29, -1
	s_or_b32 s25, s25, exec_lo
	s_and_saveexec_b32 s28, s27
	s_cbranch_execz .LBB6_14971
	s_branch .LBB6_14975
.LBB6_14974:                            ;   in Loop: Header=BB6_14972 Depth=2
	s_trap 2
	ds_load_b64 v[22:23], v0
	s_and_not1_b32 s27, s27, exec_lo
	s_mov_b32 s26, 0
	s_wait_storecnt_dscnt 0x0
	flat_load_b32 v0, v[22:23] scope:SCOPE_SYS
	s_wait_loadcnt_dscnt 0x0
	global_inv scope:SCOPE_SYS
	v_cmp_eq_u32_e32 vcc_lo, 0, v0
	s_and_b32 s28, vcc_lo, exec_lo
	s_delay_alu instid0(SALU_CYCLE_1)
	s_or_b32 s27, s27, s28
	s_mov_b32 s29, -1
	s_or_b32 s25, s25, exec_lo
	s_wait_xcnt 0x0
	s_and_saveexec_b32 s28, s27
	s_cbranch_execz .LBB6_14971
.LBB6_14975:                            ;   in Loop: Header=BB6_14972 Depth=2
	s_sleep 1
	s_trap 2
	ds_load_b64 v[22:23], v0
	s_wait_dscnt 0x0
	scratch_load_b64 v[24:25], off, s33 offset:196 ; 8-byte Folded Reload
	s_and_not1_b32 s25, s25, exec_lo
	s_wait_loadcnt 0x0
	v_cmp_ge_u64_e32 vcc_lo, v[22:23], v[24:25]
	s_or_not1_b32 s29, vcc_lo, exec_lo
	s_branch .LBB6_14971
.LBB6_14976:                            ;   in Loop: Header=BB6_14873 Depth=1
	s_or_b32 exec_lo, exec_lo, s23
	s_and_saveexec_b32 s23, s24
	s_delay_alu instid0(SALU_CYCLE_1)
	s_xor_b32 s23, exec_lo, s23
	s_cbranch_execz .LBB6_14978
; %bb.14977:                            ;   in Loop: Header=BB6_14873 Depth=1
	ds_store_b32 v0, v33
	s_trap 2
.LBB6_14978:                            ;   in Loop: Header=BB6_14873 Depth=1
	s_or_b32 exec_lo, exec_lo, s22
	;;#ASMSTART
	s_wakeup
	;;#ASMEND
.LBB6_14979:                            ;   in Loop: Header=BB6_14873 Depth=1
	s_or_b32 exec_lo, exec_lo, s21
.LBB6_14980:                            ;   in Loop: Header=BB6_14873 Depth=1
	s_and_not1_saveexec_b32 s19, s19
	s_cbranch_execz .LBB6_14982
; %bb.14981:                            ;   in Loop: Header=BB6_14873 Depth=1
	global_wb scope:SCOPE_DEV
	s_wait_storecnt 0x0
	s_wait_loadcnt_dscnt 0x0
	global_inv scope:SCOPE_DEV
	s_barrier_signal -1
	s_barrier_wait -1
.LBB6_14982:                            ;   in Loop: Header=BB6_14873 Depth=1
	s_or_b32 exec_lo, exec_lo, s19
.LBB6_14983:                            ;   in Loop: Header=BB6_14873 Depth=1
	s_delay_alu instid0(SALU_CYCLE_1) | instskip(SKIP_1) | instid1(VALU_DEP_1)
	s_or_b32 exec_lo, exec_lo, s18
	v_and_b32_e32 v0, 16, v58
	v_cmp_ne_u32_e32 vcc_lo, 0, v0
	s_and_b32 s18, vcc_lo, s10
	s_delay_alu instid0(SALU_CYCLE_1)
	s_and_saveexec_b32 s10, s18
	s_cbranch_execz .LBB6_14985
; %bb.14984:                            ;   in Loop: Header=BB6_14873 Depth=1
	global_wb scope:SCOPE_SYS
	s_wait_storecnt 0x0
	s_wait_loadcnt_dscnt 0x0
	global_inv scope:SCOPE_SYS
.LBB6_14985:                            ;   in Loop: Header=BB6_14873 Depth=1
	s_or_b32 exec_lo, exec_lo, s10
	s_delay_alu instid0(SALU_CYCLE_1)
	s_mov_b32 s10, exec_lo
	v_cmpx_ne_u32_e32 0, v0
	s_cbranch_execz .LBB6_14989
; %bb.14986:                            ;   in Loop: Header=BB6_14873 Depth=1
	s_and_saveexec_b32 s18, s7
	s_cbranch_execz .LBB6_14988
; %bb.14987:                            ;   in Loop: Header=BB6_14873 Depth=1
	global_wb scope:SCOPE_SYS
	s_wait_storecnt 0x0
	s_wait_loadcnt_dscnt 0x0
	flat_store_b32 v[74:75], v33 scope:SCOPE_SYS
.LBB6_14988:                            ;   in Loop: Header=BB6_14873 Depth=1
	s_wait_xcnt 0x0
	s_or_b32 exec_lo, exec_lo, s18
	v_add_nc_u64_e32 v[62:63], 1, v[62:63]
	global_wb scope:SCOPE_SYS
	s_wait_storecnt 0x0
	s_wait_loadcnt_dscnt 0x0
	flat_store_b64 v[46:47], v[62:63] scope:SCOPE_SYS
.LBB6_14989:                            ;   in Loop: Header=BB6_14873 Depth=1
	s_wait_xcnt 0x0
	s_or_b32 exec_lo, exec_lo, s10
	v_mov_b32_e32 v0, v20
.LBB6_14990:                            ;   in Loop: Header=BB6_14873 Depth=1
	s_or_b32 exec_lo, exec_lo, s17
	s_and_saveexec_b32 s17, s16
	s_cbranch_execz .LBB6_14872
; %bb.14991:                            ;   in Loop: Header=BB6_14873 Depth=1
	s_delay_alu instid0(VALU_DEP_1) | instskip(SKIP_1) | instid1(VALU_DEP_1)
	v_dual_sub_nc_u32 v0, v18, v0 :: v_dual_bitop2_b32 v19, 8, v58 bitop3:0x40
	s_mov_b32 s16, exec_lo
	v_min_i32_e32 v18, v20, v0
	s_delay_alu instid0(VALU_DEP_2)
	v_cmpx_ne_u32_e32 0, v19
	s_cbranch_execz .LBB6_15013
; %bb.14992:                            ;   in Loop: Header=BB6_14873 Depth=1
	scratch_load_b64 v[20:21], off, s33 offset:188 ; 8-byte Folded Reload
	s_mov_b32 s18, exec_lo
	s_wait_loadcnt 0x0
	v_add_nc_u64_e32 v[22:23], 8, v[20:21]
	v_add_nc_u64_e32 v[20:21], 1, v[62:63]
	s_wait_xcnt 0x0
	s_delay_alu instid0(VALU_DEP_1)
	v_cmpx_lt_u64_e64 v[22:23], v[20:21]
	s_cbranch_execz .LBB6_15004
; %bb.14993:                            ;   in Loop: Header=BB6_14873 Depth=1
	v_and_b32_e32 v0, 64, v58
	s_mov_b32 s19, 0
	s_mov_b32 s24, 0
                                        ; implicit-def: $sgpr21
                                        ; implicit-def: $sgpr22
                                        ; implicit-def: $sgpr23
	s_delay_alu instid0(VALU_DEP_1)
	v_cmp_eq_u32_e32 vcc_lo, 0, v0
	s_branch .LBB6_14997
.LBB6_14994:                            ;   in Loop: Header=BB6_14997 Depth=2
	scratch_load_b64 v[22:23], off, s33 offset:188 ; 8-byte Folded Reload
	s_or_b32 s27, s27, exec_lo
	s_wait_loadcnt 0x0
	v_add_nc_u64_e32 v[22:23], 8, v[22:23]
	s_delay_alu instid0(VALU_DEP_1)
	v_cmp_ge_u64_e64 s10, v[22:23], v[20:21]
	s_or_not1_b32 s26, s10, exec_lo
.LBB6_14995:                            ;   in Loop: Header=BB6_14997 Depth=2
	s_wait_xcnt 0x0
	s_or_b32 exec_lo, exec_lo, s29
	s_delay_alu instid0(SALU_CYCLE_1)
	s_and_not1_b32 s10, s23, exec_lo
	s_and_b32 s23, s27, exec_lo
	s_and_not1_b32 s22, s22, exec_lo
	s_and_b32 s26, s26, exec_lo
	s_or_b32 s23, s10, s23
	s_or_b32 s22, s22, s26
.LBB6_14996:                            ;   in Loop: Header=BB6_14997 Depth=2
	s_or_b32 exec_lo, exec_lo, s25
	s_delay_alu instid0(SALU_CYCLE_1) | instskip(NEXT) | instid1(SALU_CYCLE_1)
	s_and_b32 s10, exec_lo, s22
	s_or_b32 s19, s10, s19
	s_and_not1_b32 s10, s21, exec_lo
	s_and_b32 s21, s23, exec_lo
	s_delay_alu instid0(SALU_CYCLE_1)
	s_or_b32 s21, s10, s21
	s_and_not1_b32 exec_lo, exec_lo, s19
	s_cbranch_execz .LBB6_15001
.LBB6_14997:                            ;   Parent Loop BB6_14873 Depth=1
                                        ; =>  This Inner Loop Header: Depth=2
	s_sleep 1
	flat_load_b64 v[22:23], v[46:47] scope:SCOPE_SYS
	s_or_b32 s23, s23, exec_lo
	s_or_b32 s22, s22, exec_lo
                                        ; implicit-def: $vgpr0
	s_wait_loadcnt_dscnt 0x0
	scratch_store_b64 off, v[22:23], s33 offset:188 ; 8-byte Folded Spill
	s_wait_xcnt 0x0
	s_and_saveexec_b32 s25, vcc_lo
	s_cbranch_execz .LBB6_14996
; %bb.14998:                            ;   in Loop: Header=BB6_14997 Depth=2
	s_cmp_lt_i32 s24, 0x270f
	s_mov_b32 s26, -1
	s_cselect_b32 s28, -1, 0
	s_cmp_gt_i32 s24, 0x270e
	s_cbranch_scc0 .LBB6_15000
; %bb.14999:                            ;   in Loop: Header=BB6_14997 Depth=2
	s_trap 2
	ds_load_b64 v[22:23], v0
	s_and_not1_b32 s24, s28, exec_lo
	s_mov_b32 s27, 0
	s_wait_storecnt_dscnt 0x0
	flat_load_b32 v0, v[22:23] scope:SCOPE_SYS
	s_wait_loadcnt_dscnt 0x0
	global_inv scope:SCOPE_SYS
	v_cmp_eq_u32_e64 s10, 0, v0
	s_and_b32 s10, s10, exec_lo
	s_delay_alu instid0(SALU_CYCLE_1)
	s_or_b32 s28, s24, s10
	s_mov_b32 s24, 0
	s_and_saveexec_b32 s29, s28
	s_cbranch_execz .LBB6_14995
	s_branch .LBB6_14994
.LBB6_15000:                            ;   in Loop: Header=BB6_14997 Depth=2
	s_add_co_i32 s24, s24, 1
	s_mov_b32 s27, -1
                                        ; implicit-def: $vgpr0
	s_and_saveexec_b32 s29, s28
	s_cbranch_execz .LBB6_14995
	s_branch .LBB6_14994
.LBB6_15001:                            ;   in Loop: Header=BB6_14873 Depth=1
	s_or_b32 exec_lo, exec_lo, s19
	s_xor_b32 s10, s21, -1
	s_delay_alu instid0(SALU_CYCLE_1) | instskip(NEXT) | instid1(SALU_CYCLE_1)
	s_and_saveexec_b32 s19, s10
	s_xor_b32 s10, exec_lo, s19
	s_cbranch_execz .LBB6_15003
; %bb.15002:                            ;   in Loop: Header=BB6_14873 Depth=1
	v_or_b32_e32 v58, 64, v58
	s_wait_loadcnt 0x0
	s_wait_storecnt 0x0
	ds_store_b32 v0, v0
	s_trap 2
.LBB6_15003:                            ;   in Loop: Header=BB6_14873 Depth=1
	s_or_b32 exec_lo, exec_lo, s10
.LBB6_15004:                            ;   in Loop: Header=BB6_14873 Depth=1
	s_delay_alu instid0(SALU_CYCLE_1) | instskip(SKIP_3) | instid1(VALU_DEP_1)
	s_or_b32 exec_lo, exec_lo, s18
	v_and_b32_e32 v0, 0x100, v58
	s_mov_b32 s10, -1
	;;#ASMSTART
	s_wakeup
	;;#ASMEND
                                        ; implicit-def: $vgpr22_vgpr23
	v_cmp_ne_u32_e32 vcc_lo, 0, v0
	v_and_b32_e32 v0, 7, v62
	s_and_saveexec_b32 s18, vcc_lo
	s_cbranch_execz .LBB6_15008
; %bb.15005:                            ;   in Loop: Header=BB6_14873 Depth=1
	s_delay_alu instid0(VALU_DEP_1)
	v_mad_nc_u64_u32 v[24:25], v0, 24, v[60:61]
	v_ashrrev_i32_e32 v19, 31, v18
	s_clause 0x1
	flat_load_b32 v22, v[24:25]
	flat_store_b64 v[24:25], v[18:19] offset:8
	s_wait_loadcnt_dscnt 0x1
	v_cmp_eq_u32_e64 s10, 1, v22
	v_cmp_ne_u32_e32 vcc_lo, 1, v22
                                        ; implicit-def: $vgpr22_vgpr23
	s_wait_xcnt 0x0
	s_and_saveexec_b32 s19, s10
	s_cbranch_execz .LBB6_15007
; %bb.15006:                            ;   in Loop: Header=BB6_14873 Depth=1
	flat_load_b32 v22, v[24:25] offset:4 scope:SCOPE_SYS
	s_wait_loadcnt_dscnt 0x0
	v_ashrrev_i32_e32 v23, 31, v22
.LBB6_15007:                            ;   in Loop: Header=BB6_14873 Depth=1
	s_wait_xcnt 0x0
	s_or_b32 exec_lo, exec_lo, s19
	s_delay_alu instid0(SALU_CYCLE_1)
	s_or_not1_b32 s10, vcc_lo, exec_lo
.LBB6_15008:                            ;   in Loop: Header=BB6_14873 Depth=1
	s_or_b32 exec_lo, exec_lo, s18
	s_and_saveexec_b32 s18, s10
; %bb.15009:                            ;   in Loop: Header=BB6_14873 Depth=1
	v_mul_u64_e32 v[22:23], v[0:1], v[44:45]
; %bb.15010:                            ;   in Loop: Header=BB6_14873 Depth=1
	s_or_b32 exec_lo, exec_lo, s18
	scratch_load_b64 v[24:25], off, s33 offset:268 ; 8-byte Folded Reload
	v_and_b32_e32 v0, 0x2000, v58
	s_mov_b32 s10, exec_lo
	s_wait_loadcnt 0x0
	v_add_nc_u64_e32 v[22:23], v[24:25], v[22:23]
	ds_store_b64 v0, v[22:23] offset:784
	s_wait_xcnt 0x0
	v_cmpx_ne_u32_e32 0, v0
	s_cbranch_execz .LBB6_15012
; %bb.15011:                            ;   in Loop: Header=BB6_14873 Depth=1
	ds_load_b64 v[22:23], v0 offset:872
	s_wait_dscnt 0x0
	v_add_nc_u64_e32 v[22:23], 1, v[22:23]
	ds_store_b64 v0, v[22:23] offset:872
.LBB6_15012:                            ;   in Loop: Header=BB6_14873 Depth=1
	s_or_b32 exec_lo, exec_lo, s10
	v_mov_b64_e32 v[62:63], v[20:21]
.LBB6_15013:                            ;   in Loop: Header=BB6_14873 Depth=1
	s_or_b32 exec_lo, exec_lo, s16
	s_and_saveexec_b32 s10, s2
	s_cbranch_execz .LBB6_15032
; %bb.15014:                            ;   in Loop: Header=BB6_14873 Depth=1
	s_and_saveexec_b32 s16, s3
	s_delay_alu instid0(SALU_CYCLE_1)
	s_xor_b32 s16, exec_lo, s16
	s_cbranch_execz .LBB6_15029
; %bb.15015:                            ;   in Loop: Header=BB6_14873 Depth=1
	s_and_saveexec_b32 s18, s4
	s_cbranch_execz .LBB6_15028
; %bb.15016:                            ;   in Loop: Header=BB6_14873 Depth=1
	s_mov_b32 s21, exec_lo
	s_mov_b32 s19, exec_lo
	v_mbcnt_lo_u32_b32 v0, s21, 0
	global_wb scope:SCOPE_DEV
	s_wait_storecnt 0x0
	s_wait_loadcnt_dscnt 0x0
	global_inv scope:SCOPE_DEV
	v_cmpx_eq_u32_e32 0, v0
	s_cbranch_execz .LBB6_15018
; %bb.15017:                            ;   in Loop: Header=BB6_14873 Depth=1
	s_bcnt1_i32_b32 s21, s21
	s_delay_alu instid0(SALU_CYCLE_1)
	v_mov_b32_e32 v0, s21
	s_wait_loadcnt 0x0
	ds_add_u64 v0, v[0:1]
	s_trap 2
.LBB6_15018:                            ;   in Loop: Header=BB6_14873 Depth=1
	s_or_b32 exec_lo, exec_lo, s19
	s_trap 2
	ds_load_b64 v[20:21], v0
	s_wait_dscnt 0x0
	scratch_load_b64 v[22:23], off, s33 offset:196 th:TH_LOAD_LU ; 8-byte Folded Reload
	s_mov_b32 s19, exec_lo
	s_wait_loadcnt 0x0
	v_add_nc_u64_e32 v[22:23], v[22:23], v[2:3]
	scratch_store_b64 off, v[22:23], s33 offset:196 ; 8-byte Folded Spill
	s_wait_xcnt 0x0
	v_cmpx_lt_u64_e64 v[20:21], v[22:23]
	s_cbranch_execz .LBB6_15027
; %bb.15019:                            ;   in Loop: Header=BB6_14873 Depth=1
	s_mov_b32 s21, 0
	s_mov_b32 s24, 0
                                        ; implicit-def: $sgpr22
                                        ; implicit-def: $sgpr23
	s_branch .LBB6_15021
.LBB6_15020:                            ;   in Loop: Header=BB6_15021 Depth=2
	s_wait_xcnt 0x0
	s_or_b32 exec_lo, exec_lo, s26
	s_delay_alu instid0(SALU_CYCLE_1) | instskip(NEXT) | instid1(SALU_CYCLE_1)
	s_and_b32 s25, exec_lo, s27
	s_or_b32 s21, s25, s21
	s_and_not1_b32 s22, s22, exec_lo
	s_and_b32 s25, s23, exec_lo
	s_delay_alu instid0(SALU_CYCLE_1)
	s_or_b32 s22, s22, s25
	s_and_not1_b32 exec_lo, exec_lo, s21
	s_cbranch_execz .LBB6_15025
.LBB6_15021:                            ;   Parent Loop BB6_14873 Depth=1
                                        ; =>  This Inner Loop Header: Depth=2
	s_add_co_i32 s24, s24, 1
	s_delay_alu instid0(SALU_CYCLE_1) | instskip(SKIP_1) | instid1(SALU_CYCLE_1)
	s_cmp_lg_u32 s24, 0x2710
	s_cselect_b32 s25, -1, 0
	s_and_b32 vcc_lo, exec_lo, s25
	s_cbranch_vccz .LBB6_15023
; %bb.15022:                            ;   in Loop: Header=BB6_15021 Depth=2
	s_mov_b32 s27, -1
	s_or_b32 s23, s23, exec_lo
	s_and_saveexec_b32 s26, s25
	s_cbranch_execz .LBB6_15020
	s_branch .LBB6_15024
.LBB6_15023:                            ;   in Loop: Header=BB6_15021 Depth=2
	s_trap 2
	ds_load_b64 v[20:21], v0
	s_and_not1_b32 s25, s25, exec_lo
	s_mov_b32 s24, 0
	s_wait_storecnt_dscnt 0x0
	flat_load_b32 v0, v[20:21] scope:SCOPE_SYS
	s_wait_loadcnt_dscnt 0x0
	global_inv scope:SCOPE_SYS
	v_cmp_eq_u32_e32 vcc_lo, 0, v0
	s_and_b32 s26, vcc_lo, exec_lo
	s_delay_alu instid0(SALU_CYCLE_1)
	s_or_b32 s25, s25, s26
	s_mov_b32 s27, -1
	s_or_b32 s23, s23, exec_lo
	s_wait_xcnt 0x0
	s_and_saveexec_b32 s26, s25
	s_cbranch_execz .LBB6_15020
.LBB6_15024:                            ;   in Loop: Header=BB6_15021 Depth=2
	s_sleep 1
	s_trap 2
	ds_load_b64 v[20:21], v0
	s_wait_dscnt 0x0
	scratch_load_b64 v[22:23], off, s33 offset:196 ; 8-byte Folded Reload
	s_and_not1_b32 s23, s23, exec_lo
	s_wait_loadcnt 0x0
	v_cmp_ge_u64_e32 vcc_lo, v[20:21], v[22:23]
	s_or_not1_b32 s27, vcc_lo, exec_lo
	s_branch .LBB6_15020
.LBB6_15025:                            ;   in Loop: Header=BB6_14873 Depth=1
	s_or_b32 exec_lo, exec_lo, s21
	s_and_saveexec_b32 s21, s22
	s_delay_alu instid0(SALU_CYCLE_1)
	s_xor_b32 s21, exec_lo, s21
	s_cbranch_execz .LBB6_15027
; %bb.15026:                            ;   in Loop: Header=BB6_14873 Depth=1
	ds_store_b32 v0, v33
	s_trap 2
.LBB6_15027:                            ;   in Loop: Header=BB6_14873 Depth=1
	s_or_b32 exec_lo, exec_lo, s19
	;;#ASMSTART
	s_wakeup
	;;#ASMEND
.LBB6_15028:                            ;   in Loop: Header=BB6_14873 Depth=1
	s_or_b32 exec_lo, exec_lo, s18
.LBB6_15029:                            ;   in Loop: Header=BB6_14873 Depth=1
	s_and_not1_saveexec_b32 s16, s16
	s_cbranch_execz .LBB6_15031
; %bb.15030:                            ;   in Loop: Header=BB6_14873 Depth=1
	global_wb scope:SCOPE_DEV
	s_wait_storecnt 0x0
	s_wait_loadcnt_dscnt 0x0
	global_inv scope:SCOPE_DEV
	s_barrier_signal -1
	s_barrier_wait -1
.LBB6_15031:                            ;   in Loop: Header=BB6_14873 Depth=1
	s_or_b32 exec_lo, exec_lo, s16
.LBB6_15032:                            ;   in Loop: Header=BB6_14873 Depth=1
	s_delay_alu instid0(SALU_CYCLE_1)
	s_or_b32 exec_lo, exec_lo, s10
	s_trap 2
	ds_load_b32 v0, v0
	v_cmp_lt_i32_e32 vcc_lo, 0, v18
	s_wait_dscnt 0x0
	v_readfirstlane_b32 s10, v0
	v_and_b32_e32 v0, 16, v58
	s_cmp_eq_u32 s10, 0
	s_delay_alu instid0(VALU_DEP_1) | instskip(SKIP_1) | instid1(SALU_CYCLE_1)
	v_cmp_ne_u32_e64 s10, 0, v0
	s_cselect_b32 s16, -1, 0
	s_and_b32 s16, vcc_lo, s16
	s_delay_alu instid0(SALU_CYCLE_1) | instskip(NEXT) | instid1(SALU_CYCLE_1)
	s_and_b32 s16, s10, s16
	s_and_saveexec_b32 s10, s16
	s_cbranch_execz .LBB6_15034
; %bb.15033:                            ;   in Loop: Header=BB6_14873 Depth=1
	global_wb scope:SCOPE_SYS
	s_wait_loadcnt 0x0
	s_wait_storecnt 0x0
	global_inv scope:SCOPE_SYS
.LBB6_15034:                            ;   in Loop: Header=BB6_14873 Depth=1
	s_or_b32 exec_lo, exec_lo, s10
	s_delay_alu instid0(SALU_CYCLE_1)
	s_mov_b32 s10, exec_lo
	v_cmpx_ne_u32_e32 0, v0
	s_cbranch_execz .LBB6_14871
; %bb.15035:                            ;   in Loop: Header=BB6_14873 Depth=1
	s_and_saveexec_b32 s16, s7
	s_cbranch_execz .LBB6_14870
; %bb.15036:                            ;   in Loop: Header=BB6_14873 Depth=1
	global_wb scope:SCOPE_SYS
	s_wait_loadcnt 0x0
	s_wait_storecnt 0x0
	flat_store_b32 v[74:75], v33 scope:SCOPE_SYS
	s_branch .LBB6_14870
.LBB6_15037:
	s_or_b32 exec_lo, exec_lo, s13
.LBB6_15038:
	s_delay_alu instid0(SALU_CYCLE_1)
	s_or_b32 exec_lo, exec_lo, s12
.LBB6_15039:
	s_delay_alu instid0(SALU_CYCLE_1) | instskip(SKIP_2) | instid1(VALU_DEP_1)
	s_or_b32 exec_lo, exec_lo, s11
	v_and_b32_e32 v0, 0x800, v58
	s_mov_b32 s1, exec_lo
	v_cmpx_eq_u32_e32 0, v0
	s_cbranch_execz .LBB6_15072
; %bb.15040:
	v_and_b32_e32 v0, 48, v58
	s_mov_b32 s0, exec_lo
	s_delay_alu instid0(VALU_DEP_1)
	v_cmpx_ne_u32_e32 0, v0
	s_cbranch_execz .LBB6_15042
; %bb.15041:
	s_wait_dscnt 0x0
	flat_store_b64 v[72:73], v[62:63] offset:104
.LBB6_15042:
	s_wait_xcnt 0x0
	s_or_b32 exec_lo, exec_lo, s0
	v_and_b32_e32 v0, 0x88, v58
	s_mov_b32 s2, exec_lo
	s_delay_alu instid0(VALU_DEP_1)
	v_cmpx_eq_u32_e32 0x88, v0
	s_cbranch_execz .LBB6_15052
; %bb.15043:
	s_wait_dscnt 0x0
	v_add_nc_u32_e32 v0, -1, v62
	v_and_b32_e32 v4, 64, v58
	s_mov_b32 s3, 0
	s_delay_alu instid0(VALU_DEP_2) | instskip(NEXT) | instid1(VALU_DEP_2)
	v_and_b32_e32 v0, 7, v0
	v_cmp_eq_u32_e64 s0, 0, v4
	s_delay_alu instid0(VALU_DEP_2)
	v_mad_nc_u64_u32 v[0:1], v0, 24, v[60:61]
	flat_load_b64 v[2:3], v[0:1] offset:8 scope:SCOPE_SYS
	s_wait_loadcnt_dscnt 0x0
	v_cmp_ne_u64_e32 vcc_lo, -1, v[2:3]
	s_and_b32 s0, vcc_lo, s0
	s_wait_xcnt 0x0
	s_and_b32 exec_lo, exec_lo, s0
	s_cbranch_execz .LBB6_15052
; %bb.15044:
	s_mov_b32 s5, 0
                                        ; implicit-def: $sgpr0
                                        ; implicit-def: $sgpr4
	s_branch .LBB6_15047
.LBB6_15045:                            ;   in Loop: Header=BB6_15047 Depth=1
	flat_load_b64 v[4:5], v[0:1] offset:8 scope:SCOPE_SYS
	s_wait_loadcnt 0x0
	s_and_not1_b32 s4, s4, exec_lo
	s_wait_dscnt 0x0
	v_cmp_eq_u64_e32 vcc_lo, -1, v[4:5]
	s_or_not1_b32 s7, vcc_lo, exec_lo
.LBB6_15046:                            ;   in Loop: Header=BB6_15047 Depth=1
	s_wait_xcnt 0x0
	s_or_b32 exec_lo, exec_lo, s10
	s_delay_alu instid0(SALU_CYCLE_1) | instskip(NEXT) | instid1(SALU_CYCLE_1)
	s_and_b32 s6, exec_lo, s7
	s_or_b32 s3, s6, s3
	s_and_not1_b32 s0, s0, exec_lo
	s_and_b32 s6, s4, exec_lo
	s_delay_alu instid0(SALU_CYCLE_1)
	s_or_b32 s0, s0, s6
	s_and_not1_b32 exec_lo, exec_lo, s3
	s_cbranch_execz .LBB6_15050
.LBB6_15047:                            ; =>This Inner Loop Header: Depth=1
	s_cmp_lt_i32 s5, 0x270f
	s_cselect_b32 s6, -1, 0
	s_delay_alu instid0(SALU_CYCLE_1)
	s_and_b32 vcc_lo, exec_lo, s6
	s_cbranch_vccnz .LBB6_15049
; %bb.15048:                            ;   in Loop: Header=BB6_15047 Depth=1
	s_trap 2
	ds_load_b64 v[2:3], v0
	s_and_not1_b32 s6, s6, exec_lo
	s_mov_b32 s5, 0
	s_wait_storecnt_dscnt 0x0
	flat_load_b32 v2, v[2:3] scope:SCOPE_SYS
	s_wait_loadcnt_dscnt 0x0
	global_inv scope:SCOPE_SYS
	v_cmp_eq_u32_e32 vcc_lo, 0, v2
	s_and_b32 s7, vcc_lo, exec_lo
	s_delay_alu instid0(SALU_CYCLE_1)
	s_or_b32 s6, s6, s7
	s_mov_b32 s7, -1
	s_or_b32 s4, s4, exec_lo
	s_wait_xcnt 0x0
	s_and_saveexec_b32 s10, s6
	s_cbranch_execz .LBB6_15046
	s_branch .LBB6_15045
.LBB6_15049:                            ;   in Loop: Header=BB6_15047 Depth=1
	s_add_co_i32 s5, s5, 1
                                        ; implicit-def: $vgpr2
	s_mov_b32 s7, -1
	s_or_b32 s4, s4, exec_lo
	s_and_saveexec_b32 s10, s6
	s_cbranch_execz .LBB6_15046
	s_branch .LBB6_15045
.LBB6_15050:
	s_or_b32 exec_lo, exec_lo, s3
	s_and_saveexec_b32 s3, s0
	s_delay_alu instid0(SALU_CYCLE_1)
	s_xor_b32 s3, exec_lo, s3
	s_cbranch_execz .LBB6_15052
; %bb.15051:
	s_wait_loadcnt 0x0
	s_wait_storecnt 0x0
	ds_store_b32 v0, v2
	s_trap 2
.LBB6_15052:
	s_or_b32 exec_lo, exec_lo, s2
	v_and_b32_e32 v0, 0x2000, v58
	s_mov_b32 s0, exec_lo
	s_delay_alu instid0(VALU_DEP_1)
	v_cmpx_ne_u32_e32 0, v0
	s_cbranch_execz .LBB6_15054
; %bb.15053:
	s_trap 2
	scratch_load_b64 v[2:3], off, s33 offset:368 th:TH_LOAD_LU ; 8-byte Folded Reload
	ds_load_b64 v[0:1], v0
	s_wait_loadcnt_dscnt 0x0
	flat_store_b64 v[2:3], v[0:1] offset:16
.LBB6_15054:
	s_wait_xcnt 0x0
	s_or_b32 exec_lo, exec_lo, s0
	v_cmp_ne_u32_e32 vcc_lo, 32, v102
	s_and_b32 exec_lo, exec_lo, vcc_lo
	s_cbranch_execz .LBB6_15072
; %bb.15055:
	s_mov_b32 s0, exec_lo
	v_cmpx_ne_u32_e64 v102, v59
	s_xor_b32 s0, exec_lo, s0
	s_cbranch_execz .LBB6_15070
; %bb.15056:
	v_and_b32_e32 v0, 31, v103
	s_mov_b32 s2, exec_lo
	s_delay_alu instid0(VALU_DEP_1)
	v_cmpx_eq_u32_e32 0, v0
	s_cbranch_execz .LBB6_15069
; %bb.15057:
	s_mov_b32 s4, exec_lo
	s_mov_b32 s3, exec_lo
	v_mbcnt_lo_u32_b32 v0, s4, 0
	global_wb scope:SCOPE_DEV
	s_wait_storecnt 0x0
	s_wait_loadcnt_dscnt 0x0
	global_inv scope:SCOPE_DEV
	v_cmpx_eq_u32_e32 0, v0
	s_cbranch_execz .LBB6_15059
; %bb.15058:
	s_bcnt1_i32_b32 s4, s4
	s_delay_alu instid0(SALU_CYCLE_1)
	v_dual_mov_b32 v1, 0 :: v_dual_mov_b32 v0, s4
	s_wait_loadcnt 0x0
	ds_add_u64 v0, v[0:1]
	s_trap 2
.LBB6_15059:
	s_or_b32 exec_lo, exec_lo, s3
	s_trap 2
	ds_load_b64 v[2:3], v0
	s_wait_dscnt 0x0
	scratch_load_b64 v[4:5], off, s33 offset:196 th:TH_LOAD_LU ; 8-byte Folded Reload
	v_dual_mov_b32 v1, 0 :: v_dual_lshrrev_b32 v0, 5, v102
	s_mov_b32 s3, exec_lo
	s_wait_loadcnt 0x0
	s_delay_alu instid0(VALU_DEP_1) | instskip(NEXT) | instid1(VALU_DEP_1)
	v_add_nc_u64_e32 v[0:1], v[4:5], v[0:1]
	v_cmpx_lt_u64_e64 v[2:3], v[0:1]
	s_cbranch_execz .LBB6_15068
; %bb.15060:
	s_mov_b32 s4, 0
	s_mov_b32 s7, 0
                                        ; implicit-def: $sgpr5
                                        ; implicit-def: $sgpr6
	s_branch .LBB6_15062
.LBB6_15061:                            ;   in Loop: Header=BB6_15062 Depth=1
	s_or_b32 exec_lo, exec_lo, s11
	s_delay_alu instid0(SALU_CYCLE_1) | instskip(NEXT) | instid1(SALU_CYCLE_1)
	s_and_b32 s10, exec_lo, s12
	s_or_b32 s4, s10, s4
	s_and_not1_b32 s5, s5, exec_lo
	s_and_b32 s10, s6, exec_lo
	s_delay_alu instid0(SALU_CYCLE_1)
	s_or_b32 s5, s5, s10
	s_and_not1_b32 exec_lo, exec_lo, s4
	s_cbranch_execz .LBB6_15066
.LBB6_15062:                            ; =>This Inner Loop Header: Depth=1
	s_add_co_i32 s7, s7, 1
	s_delay_alu instid0(SALU_CYCLE_1) | instskip(SKIP_1) | instid1(SALU_CYCLE_1)
	s_cmp_lg_u32 s7, 0x2710
	s_cselect_b32 s10, -1, 0
	s_and_b32 vcc_lo, exec_lo, s10
	s_cbranch_vccz .LBB6_15064
; %bb.15063:                            ;   in Loop: Header=BB6_15062 Depth=1
	s_mov_b32 s12, -1
	s_or_b32 s6, s6, exec_lo
	s_and_saveexec_b32 s11, s10
	s_cbranch_execz .LBB6_15061
	s_branch .LBB6_15065
.LBB6_15064:                            ;   in Loop: Header=BB6_15062 Depth=1
	s_trap 2
	ds_load_b64 v[2:3], v0
	s_and_not1_b32 s10, s10, exec_lo
	s_mov_b32 s7, 0
	s_wait_dscnt 0x0
	flat_load_b32 v2, v[2:3] scope:SCOPE_SYS
	s_wait_loadcnt_dscnt 0x0
	global_inv scope:SCOPE_SYS
	v_cmp_eq_u32_e32 vcc_lo, 0, v2
	s_and_b32 s11, vcc_lo, exec_lo
	s_delay_alu instid0(SALU_CYCLE_1)
	s_or_b32 s10, s10, s11
	s_mov_b32 s12, -1
	s_or_b32 s6, s6, exec_lo
	s_wait_xcnt 0x0
	s_and_saveexec_b32 s11, s10
	s_cbranch_execz .LBB6_15061
.LBB6_15065:                            ;   in Loop: Header=BB6_15062 Depth=1
	s_sleep 1
	s_trap 2
	ds_load_b64 v[2:3], v0
	s_wait_dscnt 0x0
	s_and_not1_b32 s6, s6, exec_lo
	v_cmp_ge_u64_e32 vcc_lo, v[2:3], v[0:1]
	s_or_not1_b32 s12, vcc_lo, exec_lo
	s_branch .LBB6_15061
.LBB6_15066:
	s_or_b32 exec_lo, exec_lo, s4
	s_and_saveexec_b32 s4, s5
	s_delay_alu instid0(SALU_CYCLE_1)
	s_xor_b32 s4, exec_lo, s4
	s_cbranch_execz .LBB6_15068
; %bb.15067:
	v_mov_b32_e32 v0, 1
	ds_store_b32 v0, v0
	s_trap 2
.LBB6_15068:
	s_or_b32 exec_lo, exec_lo, s3
	;;#ASMSTART
	s_wakeup
	;;#ASMEND
.LBB6_15069:
	s_or_b32 exec_lo, exec_lo, s2
.LBB6_15070:
	s_and_not1_saveexec_b32 s0, s0
	s_cbranch_execz .LBB6_15072
; %bb.15071:
	global_wb scope:SCOPE_DEV
	s_wait_storecnt 0x0
	s_wait_loadcnt_dscnt 0x0
	global_inv scope:SCOPE_DEV
	s_barrier_signal -1
	s_barrier_wait -1
.LBB6_15072:
	s_or_b32 exec_lo, exec_lo, s1
.LBB6_15073:
	s_and_not1_saveexec_b32 s21, s20
	s_cbranch_execz .LBB6_15075
; %bb.15074:
	s_get_pc_i64 s[0:1]
	s_add_nc_u64 s[0:1], s[0:1], __PRETTY_FUNCTION__._ZN10PrimitivesI14__hip_fp8_e5m210FuncMinMaxIS0_E12FanSymmetricILi1EELi0E11ProtoSimpleILi1ELi1ELi0ELi4ELi0ELi0EELi0ELb0ELi0ELi0ELi0EEC2EiiPKiS9_PKvPvmhhhP15ncclDevWorkCollP14ncclDevWorkP2pii@rel64+4
	s_get_pc_i64 s[2:3]
	s_add_nc_u64 s[2:3], s[2:3], __assert_fail@rel64+4
	v_dual_mov_b32 v0, s0 :: v_dual_mov_b32 v1, s1
	s_swap_pc_i64 s[30:31], s[2:3]
	; divergent unreachable
.LBB6_15075:
	s_or_b32 exec_lo, exec_lo, s21
	s_clause 0x1e
	scratch_load_b32 v126, off, s33
	scratch_load_b32 v125, off, s33 offset:4
	scratch_load_b32 v124, off, s33 offset:8
	;; [unrolled: 1-line block ×30, first 2 shown]
	s_wait_dscnt 0x0
	s_clause 0xf
	scratch_load_b32 v63, off, s33 offset:124
	scratch_load_b32 v62, off, s33 offset:128
	;; [unrolled: 1-line block ×16, first 2 shown]
	v_readlane_b32 s30, v127, 0
	v_readlane_b32 s31, v127, 1
	s_mov_b32 s32, s33
	s_wait_xcnt 0x0
	s_or_saveexec_b32 s0, -1
	scratch_load_b32 v127, off, s33 offset:464 ; 4-byte Folded Reload
	s_wait_xcnt 0x0
	s_mov_b32 exec_lo, s0
	s_mov_b32 s33, s58
	s_wait_loadcnt 0x0
	s_set_pc_i64 s[30:31]
.Lfunc_end6:
	.size	_ZN12_GLOBAL__N_17runRingI14__hip_fp8_e5m210FuncMinMaxIS1_E11ProtoSimpleILi1ELi1ELi0ELi4ELi0ELi0EELi0ELi4ELi0EEEviiP15ncclDevWorkColl, .Lfunc_end6-_ZN12_GLOBAL__N_17runRingI14__hip_fp8_e5m210FuncMinMaxIS1_E11ProtoSimpleILi1ELi1ELi0ELi4ELi0ELi0EELi0ELi4ELi0EEEviiP15ncclDevWorkColl
                                        ; -- End function
	.set .L_ZN12_GLOBAL__N_17runRingI14__hip_fp8_e5m210FuncMinMaxIS1_E11ProtoSimpleILi1ELi1ELi0ELi4ELi0ELi0EELi0ELi4ELi0EEEviiP15ncclDevWorkColl.num_vgpr, max(128, .L__assert_fail.num_vgpr)
	.set .L_ZN12_GLOBAL__N_17runRingI14__hip_fp8_e5m210FuncMinMaxIS1_E11ProtoSimpleILi1ELi1ELi0ELi4ELi0ELi0EELi0ELi4ELi0EEEviiP15ncclDevWorkColl.num_agpr, max(0, .L__assert_fail.num_agpr)
	.set .L_ZN12_GLOBAL__N_17runRingI14__hip_fp8_e5m210FuncMinMaxIS1_E11ProtoSimpleILi1ELi1ELi0ELi4ELi0ELi0EELi0ELi4ELi0EEEviiP15ncclDevWorkColl.numbered_sgpr, max(59, .L__assert_fail.numbered_sgpr)
	.set .L_ZN12_GLOBAL__N_17runRingI14__hip_fp8_e5m210FuncMinMaxIS1_E11ProtoSimpleILi1ELi1ELi0ELi4ELi0ELi0EELi0ELi4ELi0EEEviiP15ncclDevWorkColl.num_named_barrier, max(0, .L__assert_fail.num_named_barrier)
	.set .L_ZN12_GLOBAL__N_17runRingI14__hip_fp8_e5m210FuncMinMaxIS1_E11ProtoSimpleILi1ELi1ELi0ELi4ELi0ELi0EELi0ELi4ELi0EEEviiP15ncclDevWorkColl.private_seg_size, 480+max(.L__assert_fail.private_seg_size)
	.set .L_ZN12_GLOBAL__N_17runRingI14__hip_fp8_e5m210FuncMinMaxIS1_E11ProtoSimpleILi1ELi1ELi0ELi4ELi0ELi0EELi0ELi4ELi0EEEviiP15ncclDevWorkColl.uses_vcc, or(1, .L__assert_fail.uses_vcc)
	.set .L_ZN12_GLOBAL__N_17runRingI14__hip_fp8_e5m210FuncMinMaxIS1_E11ProtoSimpleILi1ELi1ELi0ELi4ELi0ELi0EELi0ELi4ELi0EEEviiP15ncclDevWorkColl.uses_flat_scratch, or(1, .L__assert_fail.uses_flat_scratch)
	.set .L_ZN12_GLOBAL__N_17runRingI14__hip_fp8_e5m210FuncMinMaxIS1_E11ProtoSimpleILi1ELi1ELi0ELi4ELi0ELi0EELi0ELi4ELi0EEEviiP15ncclDevWorkColl.has_dyn_sized_stack, or(0, .L__assert_fail.has_dyn_sized_stack)
	.set .L_ZN12_GLOBAL__N_17runRingI14__hip_fp8_e5m210FuncMinMaxIS1_E11ProtoSimpleILi1ELi1ELi0ELi4ELi0ELi0EELi0ELi4ELi0EEEviiP15ncclDevWorkColl.has_recursion, or(1, .L__assert_fail.has_recursion)
	.set .L_ZN12_GLOBAL__N_17runRingI14__hip_fp8_e5m210FuncMinMaxIS1_E11ProtoSimpleILi1ELi1ELi0ELi4ELi0ELi0EELi0ELi4ELi0EEEviiP15ncclDevWorkColl.has_indirect_call, or(0, .L__assert_fail.has_indirect_call)
	.section	.AMDGPU.csdata,"",@progbits
; Function info:
; codeLenInByte = 395552
; TotalNumSgprs: 61
; NumVgprs: 128
; ScratchSize: 544
; MemoryBound: 1
	.text
	.p2align	2                               ; -- Begin function _Z50ncclDevFunc_Reduce_RING_SIMPLE_MinMax_f8e5m2_0_0_4v
	.type	_Z50ncclDevFunc_Reduce_RING_SIMPLE_MinMax_f8e5m2_0_0_4v,@function
_Z50ncclDevFunc_Reduce_RING_SIMPLE_MinMax_f8e5m2_0_0_4v: ; @_Z50ncclDevFunc_Reduce_RING_SIMPLE_MinMax_f8e5m2_0_0_4v
; %bb.0:
	s_wait_loadcnt_dscnt 0x0
	s_wait_kmcnt 0x0
	s_mov_b32 s74, s33
	s_mov_b32 s33, s32
	s_or_saveexec_b32 s0, -1
	scratch_store_b32 off, v42, s33 offset:12 ; 4-byte Folded Spill
	s_wait_xcnt 0x0
	s_mov_b32 exec_lo, s0
	s_add_co_i32 s32, s32, 32
	s_clause 0x2
	scratch_store_b32 off, v40, s33 offset:8
	; meta instruction
	scratch_store_b32 off, v41, s33 offset:4
	; meta instruction
	scratch_store_b32 off, v127, s33
	v_writelane_b32 v42, s30, 0
	v_writelane_b32 v42, s31, 1
	s_trap 2
	ds_load_b32 v0, v0
	s_wait_xcnt 0x2
	v_mov_b32_e32 v40, v31
	s_mov_b32 s59, s12
	s_mov_b64 s[60:61], s[8:9]
	s_mov_b32 s2, exec_lo
	s_wait_xcnt 0x1
	v_and_b32_e32 v41, 0x3ff, v40
	s_wait_dscnt 0x0
	s_wait_xcnt 0x0
	s_delay_alu instid0(VALU_DEP_1)
	v_cmpx_lt_i32_e64 v41, v0
	s_cbranch_execz .LBB7_5
; %bb.1:
	s_load_b32 s0, s[60:61], 0x0
	s_bfe_u32 s1, ttmp6, 0x4000c
	s_and_b32 s3, ttmp6, 15
	s_add_co_i32 s1, s1, 1
	s_getreg_b32 s4, hwreg(HW_REG_IB_STS2, 6, 4)
	s_mul_i32 s1, ttmp9, s1
	v_mov_b32_e32 v2, v41
	s_add_co_i32 s3, s3, s1
	s_cmp_eq_u32 s4, 0
                                        ; implicit-def: $vgpr3
	s_cselect_b32 s1, ttmp9, s3
	s_mov_b32 s3, 0
	s_wait_kmcnt 0x0
	s_cmp_lt_u32 s1, s0
	s_mov_b32 s1, 0
	s_cselect_b32 s0, 12, 18
	s_delay_alu instid0(SALU_CYCLE_1)
	s_add_nc_u64 s[4:5], s[60:61], s[0:1]
	s_load_u16 s0, s[4:5], 0x0
	s_trap 2
	ds_load_b32 v1, v0
	s_wait_dscnt 0x0
	s_wait_kmcnt 0x0
	v_mul_lo_u32 v1, v1, s0
	s_branch .LBB7_3
.LBB7_2:                                ;   in Loop: Header=BB7_3 Depth=1
	s_or_b32 exec_lo, exec_lo, s4
	v_dual_add_nc_u32 v2, s0, v2 :: v_dual_add_nc_u32 v3, v3, v1
	s_delay_alu instid0(VALU_DEP_1) | instskip(SKIP_1) | instid1(SALU_CYCLE_1)
	v_cmp_ge_i32_e32 vcc_lo, v2, v0
	s_or_b32 s3, vcc_lo, s3
	s_and_not1_b32 exec_lo, exec_lo, s3
	s_cbranch_execz .LBB7_5
.LBB7_3:                                ; =>This Inner Loop Header: Depth=1
	ds_load_b32 v4, v3
	s_mov_b32 s4, exec_lo
	s_wait_dscnt 0x0
	v_and_b32_e32 v4, 0x1000000, v4
	s_delay_alu instid0(VALU_DEP_1)
	v_cmpx_ne_u32_e32 0, v4
	s_cbranch_execz .LBB7_2
; %bb.4:                                ;   in Loop: Header=BB7_3 Depth=1
	ds_load_b64 v[4:5], v3 offset:104
	s_wait_dscnt 0x0
	flat_load_u8 v4, v[4:5]
	s_wait_xcnt 0x0
	v_mov_b32_e32 v5, s1
	s_wait_loadcnt_dscnt 0x0
	v_and_b32_e32 v4, 0xffff, v4
	ds_store_b64 v3, v[4:5] offset:104
	s_branch .LBB7_2
.LBB7_5:
	s_or_b32 exec_lo, exec_lo, s2
	s_wait_storecnt_dscnt 0x0
	s_barrier_signal -1
	s_barrier_wait -1
	s_trap 2
	ds_load_b32 v0, v0
	s_wait_dscnt 0x0
	v_cmp_gt_i32_e32 vcc_lo, 1, v0
	s_cbranch_vccnz .LBB7_13
; %bb.6:
	s_mov_b32 s72, 0
	s_get_pc_i64 s[62:63]
	s_add_nc_u64 s[62:63], s[62:63], _ZN12_GLOBAL__N_17runRingI14__hip_fp8_e5m210FuncMinMaxIS1_E11ProtoSimpleILi1ELi1ELi0ELi4ELi0ELi0EELi0ELi4ELi0EEEviiP15ncclDevWorkColl@rel64+4
	s_branch .LBB7_8
.LBB7_7:                                ;   in Loop: Header=BB7_8 Depth=1
	s_or_b32 exec_lo, exec_lo, s73
	s_trap 2
	ds_load_b32 v0, v0
	s_add_co_i32 s72, s72, 1
	s_wait_dscnt 0x0
	v_cmp_lt_i32_e32 vcc_lo, s72, v0
	s_cbranch_vccz .LBB7_13
.LBB7_8:                                ; =>This Inner Loop Header: Depth=1
	s_trap 2
	ds_load_b32 v0, v0
	s_cmp_eq_u32 s72, 0
	s_cbranch_scc1 .LBB7_11
; %bb.9:                                ;   in Loop: Header=BB7_8 Depth=1
	s_trap 2
	s_wait_dscnt 0x0
	ds_load_b32 v1, v0
	s_wait_dscnt 0x0
	v_xor_b32_e32 v1, v1, v0
	s_delay_alu instid0(VALU_DEP_1) | instskip(NEXT) | instid1(VALU_DEP_1)
	v_and_b32_e32 v1, 0xff0000, v1
	v_cmp_eq_u32_e32 vcc_lo, 0, v1
	s_cbranch_vccnz .LBB7_11
; %bb.10:                               ;   in Loop: Header=BB7_8 Depth=1
	s_barrier_signal -1
	s_barrier_wait -1
	ds_load_b32 v0, v0
.LBB7_11:                               ;   in Loop: Header=BB7_8 Depth=1
	s_wait_dscnt 0x0
	v_lshrrev_b32_e32 v0, 11, v0
	s_mov_b32 s73, exec_lo
	s_delay_alu instid0(VALU_DEP_1) | instskip(NEXT) | instid1(VALU_DEP_1)
	v_and_b32_e32 v1, 0x1fe0, v0
	v_cmpx_lt_u32_e64 v41, v1
	s_cbranch_execz .LBB7_7
; %bb.12:                               ;   in Loop: Header=BB7_8 Depth=1
	s_mov_b64 s[0:1], src_shared_base
	v_dual_mov_b32 v31, v40 :: v_dual_mov_b32 v0, v41
	v_mov_b32_e32 v3, s1
	s_mov_b64 s[8:9], s[60:61]
	s_mov_b32 s12, s59
	s_swap_pc_i64 s[30:31], s[62:63]
	s_branch .LBB7_7
.LBB7_13:
	s_clause 0x2
	scratch_load_b32 v127, off, s33
	scratch_load_b32 v41, off, s33 offset:4
	scratch_load_b32 v40, off, s33 offset:8
	v_readlane_b32 s30, v42, 0
	v_readlane_b32 s31, v42, 1
	s_mov_b32 s32, s33
	s_wait_xcnt 0x0
	s_or_saveexec_b32 s0, -1
	scratch_load_b32 v42, off, s33 offset:12 ; 4-byte Folded Reload
	s_wait_xcnt 0x0
	s_mov_b32 exec_lo, s0
	s_mov_b32 s33, s74
	s_wait_loadcnt 0x0
	s_set_pc_i64 s[30:31]
.Lfunc_end7:
	.size	_Z50ncclDevFunc_Reduce_RING_SIMPLE_MinMax_f8e5m2_0_0_4v, .Lfunc_end7-_Z50ncclDevFunc_Reduce_RING_SIMPLE_MinMax_f8e5m2_0_0_4v
                                        ; -- End function
	.set .L_Z50ncclDevFunc_Reduce_RING_SIMPLE_MinMax_f8e5m2_0_0_4v.num_vgpr, max(128, .L_ZN12_GLOBAL__N_17runRingI14__hip_fp8_e5m210FuncMinMaxIS1_E11ProtoSimpleILi1ELi1ELi0ELi4ELi0ELi0EELi0ELi4ELi0EEEviiP15ncclDevWorkColl.num_vgpr)
	.set .L_Z50ncclDevFunc_Reduce_RING_SIMPLE_MinMax_f8e5m2_0_0_4v.num_agpr, max(0, .L_ZN12_GLOBAL__N_17runRingI14__hip_fp8_e5m210FuncMinMaxIS1_E11ProtoSimpleILi1ELi1ELi0ELi4ELi0ELi0EELi0ELi4ELi0EEEviiP15ncclDevWorkColl.num_agpr)
	.set .L_Z50ncclDevFunc_Reduce_RING_SIMPLE_MinMax_f8e5m2_0_0_4v.numbered_sgpr, max(75, .L_ZN12_GLOBAL__N_17runRingI14__hip_fp8_e5m210FuncMinMaxIS1_E11ProtoSimpleILi1ELi1ELi0ELi4ELi0ELi0EELi0ELi4ELi0EEEviiP15ncclDevWorkColl.numbered_sgpr)
	.set .L_Z50ncclDevFunc_Reduce_RING_SIMPLE_MinMax_f8e5m2_0_0_4v.num_named_barrier, max(0, .L_ZN12_GLOBAL__N_17runRingI14__hip_fp8_e5m210FuncMinMaxIS1_E11ProtoSimpleILi1ELi1ELi0ELi4ELi0ELi0EELi0ELi4ELi0EEEviiP15ncclDevWorkColl.num_named_barrier)
	.set .L_Z50ncclDevFunc_Reduce_RING_SIMPLE_MinMax_f8e5m2_0_0_4v.private_seg_size, 32+max(.L_ZN12_GLOBAL__N_17runRingI14__hip_fp8_e5m210FuncMinMaxIS1_E11ProtoSimpleILi1ELi1ELi0ELi4ELi0ELi0EELi0ELi4ELi0EEEviiP15ncclDevWorkColl.private_seg_size)
	.set .L_Z50ncclDevFunc_Reduce_RING_SIMPLE_MinMax_f8e5m2_0_0_4v.uses_vcc, or(1, .L_ZN12_GLOBAL__N_17runRingI14__hip_fp8_e5m210FuncMinMaxIS1_E11ProtoSimpleILi1ELi1ELi0ELi4ELi0ELi0EELi0ELi4ELi0EEEviiP15ncclDevWorkColl.uses_vcc)
	.set .L_Z50ncclDevFunc_Reduce_RING_SIMPLE_MinMax_f8e5m2_0_0_4v.uses_flat_scratch, or(1, .L_ZN12_GLOBAL__N_17runRingI14__hip_fp8_e5m210FuncMinMaxIS1_E11ProtoSimpleILi1ELi1ELi0ELi4ELi0ELi0EELi0ELi4ELi0EEEviiP15ncclDevWorkColl.uses_flat_scratch)
	.set .L_Z50ncclDevFunc_Reduce_RING_SIMPLE_MinMax_f8e5m2_0_0_4v.has_dyn_sized_stack, or(0, .L_ZN12_GLOBAL__N_17runRingI14__hip_fp8_e5m210FuncMinMaxIS1_E11ProtoSimpleILi1ELi1ELi0ELi4ELi0ELi0EELi0ELi4ELi0EEEviiP15ncclDevWorkColl.has_dyn_sized_stack)
	.set .L_Z50ncclDevFunc_Reduce_RING_SIMPLE_MinMax_f8e5m2_0_0_4v.has_recursion, or(1, .L_ZN12_GLOBAL__N_17runRingI14__hip_fp8_e5m210FuncMinMaxIS1_E11ProtoSimpleILi1ELi1ELi0ELi4ELi0ELi0EELi0ELi4ELi0EEEviiP15ncclDevWorkColl.has_recursion)
	.set .L_Z50ncclDevFunc_Reduce_RING_SIMPLE_MinMax_f8e5m2_0_0_4v.has_indirect_call, or(0, .L_ZN12_GLOBAL__N_17runRingI14__hip_fp8_e5m210FuncMinMaxIS1_E11ProtoSimpleILi1ELi1ELi0ELi4ELi0ELi0EELi0ELi4ELi0EEEviiP15ncclDevWorkColl.has_indirect_call)
	.section	.AMDGPU.csdata,"",@progbits
; Function info:
; codeLenInByte = 756
; TotalNumSgprs: 77
; NumVgprs: 128
; ScratchSize: 576
; MemoryBound: 0
	.text
	.p2alignl 7, 3214868480
	.fill 96, 4, 3214868480
	.section	.AMDGPU.gpr_maximums,"",@progbits
	.set amdgpu.max_num_vgpr, 128
	.set amdgpu.max_num_agpr, 0
	.set amdgpu.max_num_sgpr, 75
	.text
	.type	__const.__assert_fail.fmt,@object ; @__const.__assert_fail.fmt
	.section	.rodata.str1.16,"aMS",@progbits,1
	.p2align	4, 0x0
__const.__assert_fail.fmt:
	.asciz	"%s:%u: %s: Device-side assertion `%s' failed.\n"
	.size	__const.__assert_fail.fmt, 47

	.type	.str.3,@object                  ; @.str.3
	.section	.rodata.str1.1,"aMS",@progbits,1
.str.3:
	.asciz	"2*(nrecv+nsend) <= nthreads"
	.size	.str.3, 28

	.type	.str.4,@object                  ; @.str.4
.str.4:
	.asciz	"/root/src/amdgpu-assembly/repos/ROCm__rccl/hipify/src/device/prims_simple.h"
	.size	.str.4, 76

	.type	__PRETTY_FUNCTION__._ZN10PrimitivesI14__hip_fp8_e5m210FuncMinMaxIS0_E12FanSymmetricILi1EELi0E11ProtoSimpleILi1ELi1ELi0ELi1ELi0ELi0EELi0ELb0ELi0ELi0ELi0EEC2EiiPKiS9_PKvPvmhhhP15ncclDevWorkCollP14ncclDevWorkP2pii,@object ; @__PRETTY_FUNCTION__._ZN10PrimitivesI14__hip_fp8_e5m210FuncMinMaxIS0_E12FanSymmetricILi1EELi0E11ProtoSimpleILi1ELi1ELi0ELi1ELi0ELi0EELi0ELb0ELi0ELi0ELi0EEC2EiiPKiS9_PKvPvmhhhP15ncclDevWorkCollP14ncclDevWorkP2pii
__PRETTY_FUNCTION__._ZN10PrimitivesI14__hip_fp8_e5m210FuncMinMaxIS0_E12FanSymmetricILi1EELi0E11ProtoSimpleILi1ELi1ELi0ELi1ELi0ELi0EELi0ELb0ELi0ELi0ELi0EEC2EiiPKiS9_PKvPvmhhhP15ncclDevWorkCollP14ncclDevWorkP2pii:
	.asciz	"Primitives<__hip_fp8_e5m2, FuncMinMax<__hip_fp8_e5m2>, FanSymmetric<1>, 0, ProtoSimple<1, 1, 0, 1>, 0>::Primitives(int, int, const int *, const int *, const void *, void *, uint64_t, uint8_t, uint8_t, uint8_t, struct ncclDevWorkColl *, struct ncclDevWorkP2p *, int, int) [T = __hip_fp8_e5m2, RedOp = FuncMinMax<__hip_fp8_e5m2>, Fan = FanSymmetric<1>, Direct = 0, Proto = ProtoSimple<1, 1, 0, 1>, P2p = 0, isNetOffload = false, Metadata = 0, Pipeline = 0, useAcc = 0]"
	.size	__PRETTY_FUNCTION__._ZN10PrimitivesI14__hip_fp8_e5m210FuncMinMaxIS0_E12FanSymmetricILi1EELi0E11ProtoSimpleILi1ELi1ELi0ELi1ELi0ELi0EELi0ELb0ELi0ELi0ELi0EEC2EiiPKiS9_PKvPvmhhhP15ncclDevWorkCollP14ncclDevWorkP2pii, 467

	.type	__PRETTY_FUNCTION__._ZN10PrimitivesI14__hip_fp8_e5m210FuncMinMaxIS0_E12FanSymmetricILi1EELi0E11ProtoSimpleILi1ELi1ELi0ELi2ELi0ELi0EELi0ELb0ELi0ELi0ELi0EEC2EiiPKiS9_PKvPvmhhhP15ncclDevWorkCollP14ncclDevWorkP2pii,@object ; @__PRETTY_FUNCTION__._ZN10PrimitivesI14__hip_fp8_e5m210FuncMinMaxIS0_E12FanSymmetricILi1EELi0E11ProtoSimpleILi1ELi1ELi0ELi2ELi0ELi0EELi0ELb0ELi0ELi0ELi0EEC2EiiPKiS9_PKvPvmhhhP15ncclDevWorkCollP14ncclDevWorkP2pii
__PRETTY_FUNCTION__._ZN10PrimitivesI14__hip_fp8_e5m210FuncMinMaxIS0_E12FanSymmetricILi1EELi0E11ProtoSimpleILi1ELi1ELi0ELi2ELi0ELi0EELi0ELb0ELi0ELi0ELi0EEC2EiiPKiS9_PKvPvmhhhP15ncclDevWorkCollP14ncclDevWorkP2pii:
	.asciz	"Primitives<__hip_fp8_e5m2, FuncMinMax<__hip_fp8_e5m2>, FanSymmetric<1>, 0, ProtoSimple<1, 1, 0, 2>, 0>::Primitives(int, int, const int *, const int *, const void *, void *, uint64_t, uint8_t, uint8_t, uint8_t, struct ncclDevWorkColl *, struct ncclDevWorkP2p *, int, int) [T = __hip_fp8_e5m2, RedOp = FuncMinMax<__hip_fp8_e5m2>, Fan = FanSymmetric<1>, Direct = 0, Proto = ProtoSimple<1, 1, 0, 2>, P2p = 0, isNetOffload = false, Metadata = 0, Pipeline = 0, useAcc = 0]"
	.size	__PRETTY_FUNCTION__._ZN10PrimitivesI14__hip_fp8_e5m210FuncMinMaxIS0_E12FanSymmetricILi1EELi0E11ProtoSimpleILi1ELi1ELi0ELi2ELi0ELi0EELi0ELb0ELi0ELi0ELi0EEC2EiiPKiS9_PKvPvmhhhP15ncclDevWorkCollP14ncclDevWorkP2pii, 467

	.type	__PRETTY_FUNCTION__._ZN10PrimitivesI14__hip_fp8_e5m210FuncMinMaxIS0_E12FanSymmetricILi1EELi0E11ProtoSimpleILi1ELi1ELi0ELi4ELi0ELi0EELi0ELb0ELi0ELi0ELi0EEC2EiiPKiS9_PKvPvmhhhP15ncclDevWorkCollP14ncclDevWorkP2pii,@object ; @__PRETTY_FUNCTION__._ZN10PrimitivesI14__hip_fp8_e5m210FuncMinMaxIS0_E12FanSymmetricILi1EELi0E11ProtoSimpleILi1ELi1ELi0ELi4ELi0ELi0EELi0ELb0ELi0ELi0ELi0EEC2EiiPKiS9_PKvPvmhhhP15ncclDevWorkCollP14ncclDevWorkP2pii
__PRETTY_FUNCTION__._ZN10PrimitivesI14__hip_fp8_e5m210FuncMinMaxIS0_E12FanSymmetricILi1EELi0E11ProtoSimpleILi1ELi1ELi0ELi4ELi0ELi0EELi0ELb0ELi0ELi0ELi0EEC2EiiPKiS9_PKvPvmhhhP15ncclDevWorkCollP14ncclDevWorkP2pii:
	.asciz	"Primitives<__hip_fp8_e5m2, FuncMinMax<__hip_fp8_e5m2>, FanSymmetric<1>, 0, ProtoSimple<1, 1, 0, 4>, 0>::Primitives(int, int, const int *, const int *, const void *, void *, uint64_t, uint8_t, uint8_t, uint8_t, struct ncclDevWorkColl *, struct ncclDevWorkP2p *, int, int) [T = __hip_fp8_e5m2, RedOp = FuncMinMax<__hip_fp8_e5m2>, Fan = FanSymmetric<1>, Direct = 0, Proto = ProtoSimple<1, 1, 0, 4>, P2p = 0, isNetOffload = false, Metadata = 0, Pipeline = 0, useAcc = 0]"
	.size	__PRETTY_FUNCTION__._ZN10PrimitivesI14__hip_fp8_e5m210FuncMinMaxIS0_E12FanSymmetricILi1EELi0E11ProtoSimpleILi1ELi1ELi0ELi4ELi0ELi0EELi0ELb0ELi0ELi0ELi0EEC2EiiPKiS9_PKvPvmhhhP15ncclDevWorkCollP14ncclDevWorkP2pii, 467

	.type	__hip_cuid_965a7ef139012829,@object ; @__hip_cuid_965a7ef139012829
	.section	.bss,"aw",@nobits
	.globl	__hip_cuid_965a7ef139012829
__hip_cuid_965a7ef139012829:
	.byte	0                               ; 0x0
	.size	__hip_cuid_965a7ef139012829, 1

	.ident	"AMD clang version 22.0.0git (https://github.com/RadeonOpenCompute/llvm-project roc-7.2.4 26084 f58b06dce1f9c15707c5f808fd002e18c2accf7e)"
	.section	".note.GNU-stack","",@progbits
	.addrsig
	.addrsig_sym _Z50ncclDevFunc_Reduce_RING_SIMPLE_MinMax_f8e5m2_0_0_1v
	.addrsig_sym _Z50ncclDevFunc_Reduce_RING_SIMPLE_MinMax_f8e5m2_0_0_2v
	.addrsig_sym _Z50ncclDevFunc_Reduce_RING_SIMPLE_MinMax_f8e5m2_0_0_4v
	.addrsig_sym ncclShmem
	.addrsig_sym __hip_cuid_965a7ef139012829
	.amdgpu_metadata
---
amdhsa.kernels:  []
amdhsa.target:   amdgcn-amd-amdhsa--gfx1250
amdhsa.version:
  - 1
  - 2
...

	.end_amdgpu_metadata
